;; amdgpu-corpus repo=ROCm/rccl kind=compiled arch=gfx906 opt=O3
	.amdgcn_target "amdgcn-amd-amdhsa--gfx906"
	.amdhsa_code_object_version 6
	.text
	.p2align	2                               ; -- Begin function __ockl_fprintf_append_string_n
	.type	__ockl_fprintf_append_string_n,@function
__ockl_fprintf_append_string_n:         ; @__ockl_fprintf_append_string_n
; %bb.0:
	s_waitcnt vmcnt(0) expcnt(0) lgkmcnt(0)
	v_or_b32_e32 v2, 2, v0
	v_cmp_eq_u32_e32 vcc, 0, v6
	s_getpc_b64 s[4:5]
	s_add_u32 s4, s4, .str.3@rel32@lo+4
	s_addc_u32 s5, s5, .str.3@rel32@hi+12
	s_mov_b32 s20, 0
	v_cndmask_b32_e32 v36, v2, v0, vcc
	s_mov_b64 s[6:7], 0
	s_cmp_lg_u64 s[4:5], 0
	v_mbcnt_lo_u32_b32 v37, -1, 0
	s_cbranch_scc0 .LBB0_112
; %bb.1:
	s_load_dwordx2 s[10:11], s[8:9], 0x50
	s_getpc_b64 s[4:5]
	s_add_u32 s4, s4, .str.3@rel32@lo+4
	s_addc_u32 s5, s5, .str.3@rel32@hi+12
	v_and_b32_e32 v0, -3, v36
	v_mov_b32_e32 v31, s5
	v_mov_b32_e32 v11, v1
	v_and_b32_e32 v38, 2, v36
	v_mov_b32_e32 v3, 0
	v_mbcnt_hi_u32_b32 v39, -1, v37
	v_mov_b32_e32 v30, s4
	s_movk_i32 s21, 0x1e0
	v_mov_b32_e32 v8, 2
	v_mov_b32_e32 v9, 1
	;; [unrolled: 1-line block ×3, first 2 shown]
	s_branch .LBB0_3
.LBB0_2:                                ;   in Loop: Header=BB0_3 Depth=1
	s_or_b64 exec, exec, s[14:15]
	v_sub_co_u32_e32 v4, vcc, v4, v32
	v_subb_co_u32_e32 v5, vcc, v5, v33, vcc
	v_cmp_eq_u64_e32 vcc, 0, v[4:5]
	s_or_b64 s[6:7], vcc, s[6:7]
	v_add_co_u32_e32 v30, vcc, v30, v32
	v_addc_co_u32_e32 v31, vcc, v31, v33, vcc
	s_andn2_b64 exec, exec, s[6:7]
	s_cbranch_execz .LBB0_85
.LBB0_3:                                ; =>This Loop Header: Depth=1
                                        ;     Child Loop BB0_6 Depth 2
                                        ;     Child Loop BB0_14 Depth 2
	;; [unrolled: 1-line block ×11, first 2 shown]
	v_cmp_gt_u64_e32 vcc, 56, v[4:5]
	v_add_co_u32_e64 v16, s[4:5], 8, v30
	v_cndmask_b32_e32 v33, 0, v5, vcc
	v_cndmask_b32_e32 v32, 56, v4, vcc
	v_cmp_gt_u64_e32 vcc, 8, v[4:5]
	v_addc_co_u32_e64 v17, s[4:5], 0, v31, s[4:5]
	s_and_saveexec_b64 s[4:5], vcc
	s_xor_b64 s[4:5], exec, s[4:5]
	s_cbranch_execz .LBB0_9
; %bb.4:                                ;   in Loop: Header=BB0_3 Depth=1
	s_waitcnt vmcnt(0)
	v_mov_b32_e32 v12, 0
	v_cmp_ne_u64_e32 vcc, 0, v[4:5]
	v_mov_b32_e32 v13, 0
	s_and_saveexec_b64 s[12:13], vcc
	s_cbranch_execz .LBB0_8
; %bb.5:                                ;   in Loop: Header=BB0_3 Depth=1
	v_lshlrev_b64 v[6:7], 3, v[32:33]
	v_mov_b32_e32 v12, 0
	v_mov_b32_e32 v14, v30
	s_mov_b64 s[14:15], 0
	v_mov_b32_e32 v13, 0
	v_mov_b32_e32 v15, v31
	s_mov_b64 s[16:17], 0
.LBB0_6:                                ;   Parent Loop BB0_3 Depth=1
                                        ; =>  This Inner Loop Header: Depth=2
	global_load_ubyte v0, v[14:15], off
	v_mov_b32_e32 v17, s20
	v_add_co_u32_e32 v14, vcc, 1, v14
	v_addc_co_u32_e32 v15, vcc, 0, v15, vcc
	s_waitcnt vmcnt(0)
	v_and_b32_e32 v16, 0xffff, v0
	v_lshlrev_b64 v[16:17], s16, v[16:17]
	s_add_u32 s16, s16, 8
	s_addc_u32 s17, s17, 0
	v_cmp_eq_u32_e32 vcc, s16, v6
	v_or_b32_e32 v13, v17, v13
	s_or_b64 s[14:15], vcc, s[14:15]
	v_or_b32_e32 v12, v16, v12
	s_andn2_b64 exec, exec, s[14:15]
	s_cbranch_execnz .LBB0_6
; %bb.7:                                ;   in Loop: Header=BB0_3 Depth=1
	s_or_b64 exec, exec, s[14:15]
.LBB0_8:                                ;   in Loop: Header=BB0_3 Depth=1
	s_or_b64 exec, exec, s[12:13]
	v_mov_b32_e32 v16, v30
	v_mov_b32_e32 v17, v31
.LBB0_9:                                ;   in Loop: Header=BB0_3 Depth=1
	s_or_saveexec_b64 s[4:5], s[4:5]
	v_mov_b32_e32 v0, 0
	s_xor_b64 exec, exec, s[4:5]
	s_cbranch_execz .LBB0_11
; %bb.10:                               ;   in Loop: Header=BB0_3 Depth=1
	global_load_dwordx2 v[12:13], v[30:31], off
	v_add_u32_e32 v0, -8, v32
.LBB0_11:                               ;   in Loop: Header=BB0_3 Depth=1
	s_or_b64 exec, exec, s[4:5]
	v_add_co_u32_e64 v6, s[4:5], 8, v16
	v_cmp_gt_u32_e32 vcc, 8, v0
	v_addc_co_u32_e64 v7, s[4:5], 0, v17, s[4:5]
                                        ; implicit-def: $vgpr14_vgpr15
	s_and_saveexec_b64 s[4:5], vcc
	s_xor_b64 s[4:5], exec, s[4:5]
	s_cbranch_execz .LBB0_17
; %bb.12:                               ;   in Loop: Header=BB0_3 Depth=1
	v_mov_b32_e32 v14, 0
	v_mov_b32_e32 v15, 0
	v_cmp_ne_u32_e32 vcc, 0, v0
	s_and_saveexec_b64 s[12:13], vcc
	s_cbranch_execz .LBB0_16
; %bb.13:                               ;   in Loop: Header=BB0_3 Depth=1
	v_mov_b32_e32 v14, 0
	s_mov_b64 s[14:15], 0
	v_mov_b32_e32 v15, 0
	s_mov_b64 s[16:17], 0
	s_mov_b64 s[18:19], 0
.LBB0_14:                               ;   Parent Loop BB0_3 Depth=1
                                        ; =>  This Inner Loop Header: Depth=2
	v_mov_b32_e32 v2, s19
	v_add_co_u32_e32 v6, vcc, s18, v16
	v_addc_co_u32_e32 v7, vcc, v17, v2, vcc
	global_load_ubyte v2, v[6:7], off
	s_add_u32 s18, s18, 1
	v_mov_b32_e32 v7, s20
	s_addc_u32 s19, s19, 0
	v_cmp_eq_u32_e32 vcc, s18, v0
	s_waitcnt vmcnt(0)
	v_and_b32_e32 v6, 0xffff, v2
	v_lshlrev_b64 v[6:7], s16, v[6:7]
	s_add_u32 s16, s16, 8
	s_addc_u32 s17, s17, 0
	v_or_b32_e32 v15, v7, v15
	s_or_b64 s[14:15], vcc, s[14:15]
	v_or_b32_e32 v14, v6, v14
	s_andn2_b64 exec, exec, s[14:15]
	s_cbranch_execnz .LBB0_14
; %bb.15:                               ;   in Loop: Header=BB0_3 Depth=1
	s_or_b64 exec, exec, s[14:15]
.LBB0_16:                               ;   in Loop: Header=BB0_3 Depth=1
	s_or_b64 exec, exec, s[12:13]
	v_mov_b32_e32 v6, v16
	v_mov_b32_e32 v7, v17
                                        ; implicit-def: $vgpr0
.LBB0_17:                               ;   in Loop: Header=BB0_3 Depth=1
	s_or_saveexec_b64 s[4:5], s[4:5]
	v_mov_b32_e32 v2, 0
	s_xor_b64 exec, exec, s[4:5]
	s_cbranch_execz .LBB0_19
; %bb.18:                               ;   in Loop: Header=BB0_3 Depth=1
	global_load_dwordx2 v[14:15], v[16:17], off
	v_add_u32_e32 v2, -8, v0
.LBB0_19:                               ;   in Loop: Header=BB0_3 Depth=1
	s_or_b64 exec, exec, s[4:5]
	v_add_co_u32_e64 v20, s[4:5], 8, v6
	v_cmp_gt_u32_e32 vcc, 8, v2
	v_addc_co_u32_e64 v21, s[4:5], 0, v7, s[4:5]
	s_and_saveexec_b64 s[4:5], vcc
	s_xor_b64 s[4:5], exec, s[4:5]
	s_cbranch_execz .LBB0_25
; %bb.20:                               ;   in Loop: Header=BB0_3 Depth=1
	v_mov_b32_e32 v16, 0
	v_mov_b32_e32 v17, 0
	v_cmp_ne_u32_e32 vcc, 0, v2
	s_and_saveexec_b64 s[12:13], vcc
	s_cbranch_execz .LBB0_24
; %bb.21:                               ;   in Loop: Header=BB0_3 Depth=1
	v_mov_b32_e32 v16, 0
	s_mov_b64 s[14:15], 0
	v_mov_b32_e32 v17, 0
	s_mov_b64 s[16:17], 0
	s_mov_b64 s[18:19], 0
.LBB0_22:                               ;   Parent Loop BB0_3 Depth=1
                                        ; =>  This Inner Loop Header: Depth=2
	v_mov_b32_e32 v0, s19
	v_add_co_u32_e32 v18, vcc, s18, v6
	v_addc_co_u32_e32 v19, vcc, v7, v0, vcc
	global_load_ubyte v0, v[18:19], off
	s_add_u32 s18, s18, 1
	v_mov_b32_e32 v19, s20
	s_addc_u32 s19, s19, 0
	v_cmp_eq_u32_e32 vcc, s18, v2
	s_waitcnt vmcnt(0)
	v_and_b32_e32 v18, 0xffff, v0
	v_lshlrev_b64 v[18:19], s16, v[18:19]
	s_add_u32 s16, s16, 8
	s_addc_u32 s17, s17, 0
	v_or_b32_e32 v17, v19, v17
	s_or_b64 s[14:15], vcc, s[14:15]
	v_or_b32_e32 v16, v18, v16
	s_andn2_b64 exec, exec, s[14:15]
	s_cbranch_execnz .LBB0_22
; %bb.23:                               ;   in Loop: Header=BB0_3 Depth=1
	s_or_b64 exec, exec, s[14:15]
.LBB0_24:                               ;   in Loop: Header=BB0_3 Depth=1
	s_or_b64 exec, exec, s[12:13]
	v_mov_b32_e32 v21, v7
	v_mov_b32_e32 v20, v6
                                        ; implicit-def: $vgpr2
.LBB0_25:                               ;   in Loop: Header=BB0_3 Depth=1
	s_or_saveexec_b64 s[4:5], s[4:5]
	v_mov_b32_e32 v0, 0
	s_xor_b64 exec, exec, s[4:5]
	s_cbranch_execz .LBB0_27
; %bb.26:                               ;   in Loop: Header=BB0_3 Depth=1
	global_load_dwordx2 v[16:17], v[6:7], off
	v_add_u32_e32 v0, -8, v2
.LBB0_27:                               ;   in Loop: Header=BB0_3 Depth=1
	s_or_b64 exec, exec, s[4:5]
	v_add_co_u32_e64 v6, s[4:5], 8, v20
	v_cmp_gt_u32_e32 vcc, 8, v0
	v_addc_co_u32_e64 v7, s[4:5], 0, v21, s[4:5]
                                        ; implicit-def: $vgpr18_vgpr19
	s_and_saveexec_b64 s[4:5], vcc
	s_xor_b64 s[4:5], exec, s[4:5]
	s_cbranch_execz .LBB0_33
; %bb.28:                               ;   in Loop: Header=BB0_3 Depth=1
	v_mov_b32_e32 v18, 0
	v_mov_b32_e32 v19, 0
	v_cmp_ne_u32_e32 vcc, 0, v0
	s_and_saveexec_b64 s[12:13], vcc
	s_cbranch_execz .LBB0_32
; %bb.29:                               ;   in Loop: Header=BB0_3 Depth=1
	v_mov_b32_e32 v18, 0
	s_mov_b64 s[14:15], 0
	v_mov_b32_e32 v19, 0
	s_mov_b64 s[16:17], 0
	s_mov_b64 s[18:19], 0
.LBB0_30:                               ;   Parent Loop BB0_3 Depth=1
                                        ; =>  This Inner Loop Header: Depth=2
	v_mov_b32_e32 v2, s19
	v_add_co_u32_e32 v6, vcc, s18, v20
	v_addc_co_u32_e32 v7, vcc, v21, v2, vcc
	global_load_ubyte v2, v[6:7], off
	s_add_u32 s18, s18, 1
	v_mov_b32_e32 v7, s20
	s_addc_u32 s19, s19, 0
	v_cmp_eq_u32_e32 vcc, s18, v0
	s_waitcnt vmcnt(0)
	v_and_b32_e32 v6, 0xffff, v2
	v_lshlrev_b64 v[6:7], s16, v[6:7]
	s_add_u32 s16, s16, 8
	s_addc_u32 s17, s17, 0
	v_or_b32_e32 v19, v7, v19
	s_or_b64 s[14:15], vcc, s[14:15]
	v_or_b32_e32 v18, v6, v18
	s_andn2_b64 exec, exec, s[14:15]
	s_cbranch_execnz .LBB0_30
; %bb.31:                               ;   in Loop: Header=BB0_3 Depth=1
	s_or_b64 exec, exec, s[14:15]
.LBB0_32:                               ;   in Loop: Header=BB0_3 Depth=1
	s_or_b64 exec, exec, s[12:13]
	v_mov_b32_e32 v6, v20
	v_mov_b32_e32 v7, v21
                                        ; implicit-def: $vgpr0
.LBB0_33:                               ;   in Loop: Header=BB0_3 Depth=1
	s_or_saveexec_b64 s[4:5], s[4:5]
	v_mov_b32_e32 v2, 0
	s_xor_b64 exec, exec, s[4:5]
	s_cbranch_execz .LBB0_35
; %bb.34:                               ;   in Loop: Header=BB0_3 Depth=1
	global_load_dwordx2 v[18:19], v[20:21], off
	v_add_u32_e32 v2, -8, v0
.LBB0_35:                               ;   in Loop: Header=BB0_3 Depth=1
	s_or_b64 exec, exec, s[4:5]
	v_add_co_u32_e64 v24, s[4:5], 8, v6
	v_cmp_gt_u32_e32 vcc, 8, v2
	v_addc_co_u32_e64 v25, s[4:5], 0, v7, s[4:5]
	s_and_saveexec_b64 s[4:5], vcc
	s_xor_b64 s[4:5], exec, s[4:5]
	s_cbranch_execz .LBB0_41
; %bb.36:                               ;   in Loop: Header=BB0_3 Depth=1
	v_mov_b32_e32 v20, 0
	v_mov_b32_e32 v21, 0
	v_cmp_ne_u32_e32 vcc, 0, v2
	s_and_saveexec_b64 s[12:13], vcc
	s_cbranch_execz .LBB0_40
; %bb.37:                               ;   in Loop: Header=BB0_3 Depth=1
	v_mov_b32_e32 v20, 0
	s_mov_b64 s[14:15], 0
	v_mov_b32_e32 v21, 0
	s_mov_b64 s[16:17], 0
	s_mov_b64 s[18:19], 0
.LBB0_38:                               ;   Parent Loop BB0_3 Depth=1
                                        ; =>  This Inner Loop Header: Depth=2
	v_mov_b32_e32 v0, s19
	v_add_co_u32_e32 v22, vcc, s18, v6
	v_addc_co_u32_e32 v23, vcc, v7, v0, vcc
	global_load_ubyte v0, v[22:23], off
	s_add_u32 s18, s18, 1
	v_mov_b32_e32 v23, s20
	s_addc_u32 s19, s19, 0
	v_cmp_eq_u32_e32 vcc, s18, v2
	s_waitcnt vmcnt(0)
	v_and_b32_e32 v22, 0xffff, v0
	v_lshlrev_b64 v[22:23], s16, v[22:23]
	s_add_u32 s16, s16, 8
	s_addc_u32 s17, s17, 0
	v_or_b32_e32 v21, v23, v21
	s_or_b64 s[14:15], vcc, s[14:15]
	v_or_b32_e32 v20, v22, v20
	s_andn2_b64 exec, exec, s[14:15]
	s_cbranch_execnz .LBB0_38
; %bb.39:                               ;   in Loop: Header=BB0_3 Depth=1
	s_or_b64 exec, exec, s[14:15]
.LBB0_40:                               ;   in Loop: Header=BB0_3 Depth=1
	s_or_b64 exec, exec, s[12:13]
	v_mov_b32_e32 v25, v7
	v_mov_b32_e32 v24, v6
                                        ; implicit-def: $vgpr2
.LBB0_41:                               ;   in Loop: Header=BB0_3 Depth=1
	s_or_saveexec_b64 s[4:5], s[4:5]
	v_mov_b32_e32 v0, 0
	s_xor_b64 exec, exec, s[4:5]
	s_cbranch_execz .LBB0_43
; %bb.42:                               ;   in Loop: Header=BB0_3 Depth=1
	global_load_dwordx2 v[20:21], v[6:7], off
	v_add_u32_e32 v0, -8, v2
.LBB0_43:                               ;   in Loop: Header=BB0_3 Depth=1
	s_or_b64 exec, exec, s[4:5]
	v_add_co_u32_e64 v6, s[4:5], 8, v24
	v_cmp_gt_u32_e32 vcc, 8, v0
	v_addc_co_u32_e64 v7, s[4:5], 0, v25, s[4:5]
                                        ; implicit-def: $vgpr22_vgpr23
	s_and_saveexec_b64 s[4:5], vcc
	s_xor_b64 s[4:5], exec, s[4:5]
	s_cbranch_execz .LBB0_49
; %bb.44:                               ;   in Loop: Header=BB0_3 Depth=1
	v_mov_b32_e32 v22, 0
	v_mov_b32_e32 v23, 0
	v_cmp_ne_u32_e32 vcc, 0, v0
	s_and_saveexec_b64 s[12:13], vcc
	s_cbranch_execz .LBB0_48
; %bb.45:                               ;   in Loop: Header=BB0_3 Depth=1
	v_mov_b32_e32 v22, 0
	s_mov_b64 s[14:15], 0
	v_mov_b32_e32 v23, 0
	s_mov_b64 s[16:17], 0
	s_mov_b64 s[18:19], 0
.LBB0_46:                               ;   Parent Loop BB0_3 Depth=1
                                        ; =>  This Inner Loop Header: Depth=2
	v_mov_b32_e32 v2, s19
	v_add_co_u32_e32 v6, vcc, s18, v24
	v_addc_co_u32_e32 v7, vcc, v25, v2, vcc
	global_load_ubyte v2, v[6:7], off
	s_add_u32 s18, s18, 1
	v_mov_b32_e32 v7, s20
	s_addc_u32 s19, s19, 0
	v_cmp_eq_u32_e32 vcc, s18, v0
	s_waitcnt vmcnt(0)
	v_and_b32_e32 v6, 0xffff, v2
	v_lshlrev_b64 v[6:7], s16, v[6:7]
	s_add_u32 s16, s16, 8
	s_addc_u32 s17, s17, 0
	v_or_b32_e32 v23, v7, v23
	s_or_b64 s[14:15], vcc, s[14:15]
	v_or_b32_e32 v22, v6, v22
	s_andn2_b64 exec, exec, s[14:15]
	s_cbranch_execnz .LBB0_46
; %bb.47:                               ;   in Loop: Header=BB0_3 Depth=1
	s_or_b64 exec, exec, s[14:15]
.LBB0_48:                               ;   in Loop: Header=BB0_3 Depth=1
	s_or_b64 exec, exec, s[12:13]
	v_mov_b32_e32 v6, v24
	v_mov_b32_e32 v7, v25
                                        ; implicit-def: $vgpr0
.LBB0_49:                               ;   in Loop: Header=BB0_3 Depth=1
	s_or_saveexec_b64 s[4:5], s[4:5]
	v_mov_b32_e32 v2, 0
	s_xor_b64 exec, exec, s[4:5]
	s_cbranch_execz .LBB0_51
; %bb.50:                               ;   in Loop: Header=BB0_3 Depth=1
	global_load_dwordx2 v[22:23], v[24:25], off
	v_add_u32_e32 v2, -8, v0
.LBB0_51:                               ;   in Loop: Header=BB0_3 Depth=1
	s_or_b64 exec, exec, s[4:5]
	v_cmp_gt_u32_e32 vcc, 8, v2
	s_and_saveexec_b64 s[4:5], vcc
	s_xor_b64 s[4:5], exec, s[4:5]
	s_cbranch_execz .LBB0_57
; %bb.52:                               ;   in Loop: Header=BB0_3 Depth=1
	v_mov_b32_e32 v24, 0
	v_mov_b32_e32 v25, 0
	v_cmp_ne_u32_e32 vcc, 0, v2
	s_and_saveexec_b64 s[12:13], vcc
	s_cbranch_execz .LBB0_56
; %bb.53:                               ;   in Loop: Header=BB0_3 Depth=1
	v_mov_b32_e32 v24, 0
	s_mov_b64 s[14:15], 0
	v_mov_b32_e32 v25, 0
	s_mov_b64 s[16:17], 0
.LBB0_54:                               ;   Parent Loop BB0_3 Depth=1
                                        ; =>  This Inner Loop Header: Depth=2
	global_load_ubyte v0, v[6:7], off
	v_mov_b32_e32 v27, s20
	v_add_co_u32_e32 v6, vcc, 1, v6
	v_add_u32_e32 v2, -1, v2
	v_addc_co_u32_e32 v7, vcc, 0, v7, vcc
	v_cmp_eq_u32_e32 vcc, 0, v2
	s_waitcnt vmcnt(0)
	v_and_b32_e32 v26, 0xffff, v0
	v_lshlrev_b64 v[26:27], s16, v[26:27]
	s_add_u32 s16, s16, 8
	s_addc_u32 s17, s17, 0
	v_or_b32_e32 v25, v27, v25
	s_or_b64 s[14:15], vcc, s[14:15]
	v_or_b32_e32 v24, v26, v24
	s_andn2_b64 exec, exec, s[14:15]
	s_cbranch_execnz .LBB0_54
; %bb.55:                               ;   in Loop: Header=BB0_3 Depth=1
	s_or_b64 exec, exec, s[14:15]
.LBB0_56:                               ;   in Loop: Header=BB0_3 Depth=1
	s_or_b64 exec, exec, s[12:13]
                                        ; implicit-def: $vgpr6_vgpr7
.LBB0_57:                               ;   in Loop: Header=BB0_3 Depth=1
	s_andn2_saveexec_b64 s[4:5], s[4:5]
	s_cbranch_execz .LBB0_59
; %bb.58:                               ;   in Loop: Header=BB0_3 Depth=1
	global_load_dwordx2 v[24:25], v[6:7], off
.LBB0_59:                               ;   in Loop: Header=BB0_3 Depth=1
	s_or_b64 exec, exec, s[4:5]
	v_readfirstlane_b32 s4, v39
	v_mov_b32_e32 v6, 0
	v_mov_b32_e32 v7, 0
	v_cmp_eq_u32_e64 s[4:5], s4, v39
	s_and_saveexec_b64 s[12:13], s[4:5]
	s_cbranch_execz .LBB0_65
; %bb.60:                               ;   in Loop: Header=BB0_3 Depth=1
	s_waitcnt lgkmcnt(0)
	global_load_dwordx2 v[28:29], v3, s[10:11] offset:24 glc
	s_waitcnt vmcnt(0)
	buffer_wbinvl1_vol
	global_load_dwordx2 v[6:7], v3, s[10:11] offset:40
	global_load_dwordx2 v[26:27], v3, s[10:11]
	s_waitcnt vmcnt(1)
	v_and_b32_e32 v0, v6, v28
	v_and_b32_e32 v2, v7, v29
	v_mul_lo_u32 v2, v2, 24
	v_mul_hi_u32 v6, v0, 24
	v_mul_lo_u32 v0, v0, 24
	v_add_u32_e32 v2, v6, v2
	s_waitcnt vmcnt(0)
	v_add_co_u32_e32 v6, vcc, v26, v0
	v_addc_co_u32_e32 v7, vcc, v27, v2, vcc
	global_load_dwordx2 v[26:27], v[6:7], off glc
	s_waitcnt vmcnt(0)
	global_atomic_cmpswap_x2 v[6:7], v3, v[26:29], s[10:11] offset:24 glc
	s_waitcnt vmcnt(0)
	buffer_wbinvl1_vol
	v_cmp_ne_u64_e32 vcc, v[6:7], v[28:29]
	s_and_saveexec_b64 s[14:15], vcc
	s_cbranch_execz .LBB0_64
; %bb.61:                               ;   in Loop: Header=BB0_3 Depth=1
	s_mov_b64 s[16:17], 0
.LBB0_62:                               ;   Parent Loop BB0_3 Depth=1
                                        ; =>  This Inner Loop Header: Depth=2
	s_sleep 1
	global_load_dwordx2 v[26:27], v3, s[10:11] offset:40
	global_load_dwordx2 v[34:35], v3, s[10:11]
	v_mov_b32_e32 v29, v7
	v_mov_b32_e32 v28, v6
	s_waitcnt vmcnt(1)
	v_and_b32_e32 v0, v26, v28
	s_waitcnt vmcnt(0)
	v_mad_u64_u32 v[6:7], s[18:19], v0, 24, v[34:35]
	v_and_b32_e32 v2, v27, v29
	v_mov_b32_e32 v0, v7
	v_mad_u64_u32 v[26:27], s[18:19], v2, 24, v[0:1]
	v_mov_b32_e32 v7, v26
	global_load_dwordx2 v[26:27], v[6:7], off glc
	s_waitcnt vmcnt(0)
	global_atomic_cmpswap_x2 v[6:7], v3, v[26:29], s[10:11] offset:24 glc
	s_waitcnt vmcnt(0)
	buffer_wbinvl1_vol
	v_cmp_eq_u64_e32 vcc, v[6:7], v[28:29]
	s_or_b64 s[16:17], vcc, s[16:17]
	s_andn2_b64 exec, exec, s[16:17]
	s_cbranch_execnz .LBB0_62
; %bb.63:                               ;   in Loop: Header=BB0_3 Depth=1
	s_or_b64 exec, exec, s[16:17]
.LBB0_64:                               ;   in Loop: Header=BB0_3 Depth=1
	s_or_b64 exec, exec, s[14:15]
.LBB0_65:                               ;   in Loop: Header=BB0_3 Depth=1
	s_or_b64 exec, exec, s[12:13]
	s_waitcnt lgkmcnt(0)
	global_load_dwordx2 v[34:35], v3, s[10:11] offset:40
	global_load_dwordx4 v[26:29], v3, s[10:11]
	v_readfirstlane_b32 s13, v7
	v_readfirstlane_b32 s12, v6
	s_mov_b64 s[14:15], exec
	s_waitcnt vmcnt(1)
	v_readfirstlane_b32 s16, v34
	v_readfirstlane_b32 s17, v35
	s_and_b64 s[16:17], s[16:17], s[12:13]
	s_mul_i32 s18, s17, 24
	s_mul_hi_u32 s19, s16, 24
	s_mul_i32 s22, s16, 24
	s_add_i32 s18, s19, s18
	v_mov_b32_e32 v0, s18
	s_waitcnt vmcnt(0)
	v_add_co_u32_e32 v34, vcc, s22, v26
	v_addc_co_u32_e32 v35, vcc, v27, v0, vcc
	s_and_saveexec_b64 s[18:19], s[4:5]
	s_cbranch_execz .LBB0_67
; %bb.66:                               ;   in Loop: Header=BB0_3 Depth=1
	v_mov_b32_e32 v6, s14
	v_mov_b32_e32 v7, s15
	global_store_dwordx4 v[34:35], v[6:9], off offset:8
.LBB0_67:                               ;   in Loop: Header=BB0_3 Depth=1
	s_or_b64 exec, exec, s[18:19]
	s_lshl_b64 s[14:15], s[16:17], 12
	v_mov_b32_e32 v2, s15
	v_add_co_u32_e32 v0, vcc, s14, v28
	v_addc_co_u32_e32 v28, vcc, v29, v2, vcc
	v_cmp_gt_u64_e32 vcc, 57, v[4:5]
	v_and_b32_e32 v7, 0xffffff1f, v10
	v_cndmask_b32_e32 v2, 0, v38, vcc
	v_lshl_add_u32 v6, v32, 2, 28
	v_or_b32_e32 v2, v7, v2
	v_and_or_b32 v10, v6, s21, v2
	v_lshlrev_b32_e32 v29, 6, v39
	v_readfirstlane_b32 s14, v0
	v_readfirstlane_b32 s15, v28
	s_nop 4
	global_store_dwordx4 v29, v[10:13], s[14:15]
	global_store_dwordx4 v29, v[14:17], s[14:15] offset:16
	global_store_dwordx4 v29, v[18:21], s[14:15] offset:32
	;; [unrolled: 1-line block ×3, first 2 shown]
	s_and_saveexec_b64 s[14:15], s[4:5]
	s_cbranch_execz .LBB0_75
; %bb.68:                               ;   in Loop: Header=BB0_3 Depth=1
	global_load_dwordx2 v[14:15], v3, s[10:11] offset:32 glc
	global_load_dwordx2 v[6:7], v3, s[10:11] offset:40
	v_mov_b32_e32 v12, s12
	v_mov_b32_e32 v13, s13
	s_waitcnt vmcnt(0)
	v_readfirstlane_b32 s16, v6
	v_readfirstlane_b32 s17, v7
	s_and_b64 s[16:17], s[16:17], s[12:13]
	s_mul_i32 s17, s17, 24
	s_mul_hi_u32 s18, s16, 24
	s_mul_i32 s16, s16, 24
	s_add_i32 s17, s18, s17
	v_mov_b32_e32 v2, s17
	v_add_co_u32_e32 v6, vcc, s16, v26
	v_addc_co_u32_e32 v7, vcc, v27, v2, vcc
	global_store_dwordx2 v[6:7], v[14:15], off
	s_waitcnt vmcnt(0)
	global_atomic_cmpswap_x2 v[12:13], v3, v[12:15], s[10:11] offset:32 glc
	s_waitcnt vmcnt(0)
	v_cmp_ne_u64_e32 vcc, v[12:13], v[14:15]
	s_and_saveexec_b64 s[16:17], vcc
	s_cbranch_execz .LBB0_71
; %bb.69:                               ;   in Loop: Header=BB0_3 Depth=1
	s_mov_b64 s[18:19], 0
.LBB0_70:                               ;   Parent Loop BB0_3 Depth=1
                                        ; =>  This Inner Loop Header: Depth=2
	s_sleep 1
	global_store_dwordx2 v[6:7], v[12:13], off
	v_mov_b32_e32 v10, s12
	v_mov_b32_e32 v11, s13
	s_waitcnt vmcnt(0)
	global_atomic_cmpswap_x2 v[10:11], v3, v[10:13], s[10:11] offset:32 glc
	s_waitcnt vmcnt(0)
	v_cmp_eq_u64_e32 vcc, v[10:11], v[12:13]
	v_mov_b32_e32 v13, v11
	s_or_b64 s[18:19], vcc, s[18:19]
	v_mov_b32_e32 v12, v10
	s_andn2_b64 exec, exec, s[18:19]
	s_cbranch_execnz .LBB0_70
.LBB0_71:                               ;   in Loop: Header=BB0_3 Depth=1
	s_or_b64 exec, exec, s[16:17]
	global_load_dwordx2 v[6:7], v3, s[10:11] offset:16
	s_mov_b64 s[18:19], exec
	v_mbcnt_lo_u32_b32 v2, s18, 0
	v_mbcnt_hi_u32_b32 v2, s19, v2
	v_cmp_eq_u32_e32 vcc, 0, v2
	s_and_saveexec_b64 s[16:17], vcc
	s_cbranch_execz .LBB0_73
; %bb.72:                               ;   in Loop: Header=BB0_3 Depth=1
	s_bcnt1_i32_b64 s18, s[18:19]
	v_mov_b32_e32 v2, s18
	s_waitcnt vmcnt(0)
	global_atomic_add_x2 v[6:7], v[2:3], off offset:8
.LBB0_73:                               ;   in Loop: Header=BB0_3 Depth=1
	s_or_b64 exec, exec, s[16:17]
	s_waitcnt vmcnt(0)
	global_load_dwordx2 v[10:11], v[6:7], off offset:16
	s_waitcnt vmcnt(0)
	v_cmp_eq_u64_e32 vcc, 0, v[10:11]
	s_cbranch_vccnz .LBB0_75
; %bb.74:                               ;   in Loop: Header=BB0_3 Depth=1
	global_load_dword v2, v[6:7], off offset:24
	s_waitcnt vmcnt(0)
	v_readfirstlane_b32 s16, v2
	s_and_b32 m0, s16, 0xffffff
	global_store_dwordx2 v[10:11], v[2:3], off
	s_sendmsg sendmsg(MSG_INTERRUPT)
.LBB0_75:                               ;   in Loop: Header=BB0_3 Depth=1
	s_or_b64 exec, exec, s[14:15]
	v_add_co_u32_e32 v6, vcc, v0, v29
	v_addc_co_u32_e32 v7, vcc, 0, v28, vcc
	s_branch .LBB0_79
.LBB0_76:                               ;   in Loop: Header=BB0_79 Depth=2
	s_or_b64 exec, exec, s[14:15]
	v_readfirstlane_b32 s14, v0
	s_cmp_eq_u32 s14, 0
	s_cbranch_scc1 .LBB0_78
; %bb.77:                               ;   in Loop: Header=BB0_79 Depth=2
	s_sleep 1
	s_cbranch_execnz .LBB0_79
	s_branch .LBB0_81
.LBB0_78:                               ;   in Loop: Header=BB0_3 Depth=1
	s_branch .LBB0_81
.LBB0_79:                               ;   Parent Loop BB0_3 Depth=1
                                        ; =>  This Inner Loop Header: Depth=2
	v_mov_b32_e32 v0, 1
	s_and_saveexec_b64 s[14:15], s[4:5]
	s_cbranch_execz .LBB0_76
; %bb.80:                               ;   in Loop: Header=BB0_79 Depth=2
	global_load_dword v0, v[34:35], off offset:20 glc
	s_waitcnt vmcnt(0)
	buffer_wbinvl1_vol
	v_and_b32_e32 v0, 1, v0
	s_branch .LBB0_76
.LBB0_81:                               ;   in Loop: Header=BB0_3 Depth=1
	global_load_dwordx4 v[10:13], v[6:7], off
	s_and_saveexec_b64 s[14:15], s[4:5]
	s_cbranch_execz .LBB0_2
; %bb.82:                               ;   in Loop: Header=BB0_3 Depth=1
	global_load_dwordx2 v[6:7], v3, s[10:11] offset:40
	global_load_dwordx2 v[16:17], v3, s[10:11] offset:24 glc
	global_load_dwordx2 v[12:13], v3, s[10:11]
	s_waitcnt vmcnt(2)
	v_readfirstlane_b32 s16, v6
	v_readfirstlane_b32 s17, v7
	s_add_u32 s18, s16, 1
	s_addc_u32 s19, s17, 0
	s_add_u32 s4, s18, s12
	s_addc_u32 s5, s19, s13
	s_cmp_eq_u64 s[4:5], 0
	s_cselect_b32 s5, s19, s5
	s_cselect_b32 s4, s18, s4
	s_and_b64 s[12:13], s[4:5], s[16:17]
	s_mul_i32 s13, s13, 24
	s_mul_hi_u32 s16, s12, 24
	s_mul_i32 s12, s12, 24
	s_add_i32 s13, s16, s13
	v_mov_b32_e32 v0, s13
	s_waitcnt vmcnt(0)
	v_add_co_u32_e32 v6, vcc, s12, v12
	v_addc_co_u32_e32 v7, vcc, v13, v0, vcc
	v_mov_b32_e32 v14, s4
	global_store_dwordx2 v[6:7], v[16:17], off
	v_mov_b32_e32 v15, s5
	s_waitcnt vmcnt(0)
	global_atomic_cmpswap_x2 v[14:15], v3, v[14:17], s[10:11] offset:24 glc
	s_waitcnt vmcnt(0)
	v_cmp_ne_u64_e32 vcc, v[14:15], v[16:17]
	s_and_b64 exec, exec, vcc
	s_cbranch_execz .LBB0_2
; %bb.83:                               ;   in Loop: Header=BB0_3 Depth=1
	s_mov_b64 s[12:13], 0
.LBB0_84:                               ;   Parent Loop BB0_3 Depth=1
                                        ; =>  This Inner Loop Header: Depth=2
	s_sleep 1
	global_store_dwordx2 v[6:7], v[14:15], off
	v_mov_b32_e32 v12, s4
	v_mov_b32_e32 v13, s5
	s_waitcnt vmcnt(0)
	global_atomic_cmpswap_x2 v[12:13], v3, v[12:15], s[10:11] offset:24 glc
	s_waitcnt vmcnt(0)
	v_cmp_eq_u64_e32 vcc, v[12:13], v[14:15]
	v_mov_b32_e32 v15, v13
	s_or_b64 s[12:13], vcc, s[12:13]
	v_mov_b32_e32 v14, v12
	s_andn2_b64 exec, exec, s[12:13]
	s_cbranch_execnz .LBB0_84
	s_branch .LBB0_2
.LBB0_85:
	s_or_b64 exec, exec, s[6:7]
	s_branch .LBB0_113
.LBB0_86:
	s_load_dwordx2 s[6:7], s[8:9], 0x50
	v_mbcnt_hi_u32_b32 v3, -1, v37
	v_readfirstlane_b32 s4, v3
	v_mov_b32_e32 v8, 0
	v_mov_b32_e32 v9, 0
	v_cmp_eq_u32_e64 s[4:5], s4, v3
	s_and_saveexec_b64 s[8:9], s[4:5]
	s_cbranch_execz .LBB0_92
; %bb.87:
	v_mov_b32_e32 v0, 0
	s_waitcnt lgkmcnt(0)
	global_load_dwordx2 v[6:7], v0, s[6:7] offset:24 glc
	s_waitcnt vmcnt(0)
	buffer_wbinvl1_vol
	global_load_dwordx2 v[4:5], v0, s[6:7] offset:40
	global_load_dwordx2 v[8:9], v0, s[6:7]
	s_waitcnt vmcnt(1)
	v_and_b32_e32 v2, v4, v6
	v_and_b32_e32 v4, v5, v7
	v_mul_lo_u32 v4, v4, 24
	v_mul_hi_u32 v5, v2, 24
	v_mul_lo_u32 v2, v2, 24
	v_add_u32_e32 v5, v5, v4
	s_waitcnt vmcnt(0)
	v_add_co_u32_e32 v4, vcc, v8, v2
	v_addc_co_u32_e32 v5, vcc, v9, v5, vcc
	global_load_dwordx2 v[4:5], v[4:5], off glc
	s_waitcnt vmcnt(0)
	global_atomic_cmpswap_x2 v[8:9], v0, v[4:7], s[6:7] offset:24 glc
	s_waitcnt vmcnt(0)
	buffer_wbinvl1_vol
	v_cmp_ne_u64_e32 vcc, v[8:9], v[6:7]
	s_and_saveexec_b64 s[10:11], vcc
	s_cbranch_execz .LBB0_91
; %bb.88:
	s_mov_b64 s[12:13], 0
.LBB0_89:                               ; =>This Inner Loop Header: Depth=1
	s_sleep 1
	global_load_dwordx2 v[4:5], v0, s[6:7] offset:40
	global_load_dwordx2 v[10:11], v0, s[6:7]
	v_mov_b32_e32 v6, v8
	v_mov_b32_e32 v7, v9
	s_waitcnt vmcnt(1)
	v_and_b32_e32 v2, v4, v6
	s_waitcnt vmcnt(0)
	v_mad_u64_u32 v[8:9], s[14:15], v2, 24, v[10:11]
	v_and_b32_e32 v4, v5, v7
	v_mov_b32_e32 v2, v9
	v_mad_u64_u32 v[4:5], s[14:15], v4, 24, v[2:3]
	v_mov_b32_e32 v9, v4
	global_load_dwordx2 v[4:5], v[8:9], off glc
	s_waitcnt vmcnt(0)
	global_atomic_cmpswap_x2 v[8:9], v0, v[4:7], s[6:7] offset:24 glc
	s_waitcnt vmcnt(0)
	buffer_wbinvl1_vol
	v_cmp_eq_u64_e32 vcc, v[8:9], v[6:7]
	s_or_b64 s[12:13], vcc, s[12:13]
	s_andn2_b64 exec, exec, s[12:13]
	s_cbranch_execnz .LBB0_89
; %bb.90:
	s_or_b64 exec, exec, s[12:13]
.LBB0_91:
	s_or_b64 exec, exec, s[10:11]
.LBB0_92:
	s_or_b64 exec, exec, s[8:9]
	v_mov_b32_e32 v2, 0
	s_waitcnt lgkmcnt(0)
	global_load_dwordx2 v[10:11], v2, s[6:7] offset:40
	global_load_dwordx4 v[4:7], v2, s[6:7]
	v_readfirstlane_b32 s9, v9
	v_readfirstlane_b32 s8, v8
	s_mov_b64 s[10:11], exec
	s_waitcnt vmcnt(1)
	v_readfirstlane_b32 s12, v10
	v_readfirstlane_b32 s13, v11
	s_and_b64 s[12:13], s[12:13], s[8:9]
	s_mul_i32 s14, s13, 24
	s_mul_hi_u32 s15, s12, 24
	s_mul_i32 s16, s12, 24
	s_add_i32 s14, s15, s14
	v_mov_b32_e32 v0, s14
	s_waitcnt vmcnt(0)
	v_add_co_u32_e32 v8, vcc, s16, v4
	v_addc_co_u32_e32 v9, vcc, v5, v0, vcc
	s_and_saveexec_b64 s[14:15], s[4:5]
	s_cbranch_execz .LBB0_94
; %bb.93:
	v_mov_b32_e32 v10, s10
	v_mov_b32_e32 v11, s11
	;; [unrolled: 1-line block ×4, first 2 shown]
	global_store_dwordx4 v[8:9], v[10:13], off offset:8
.LBB0_94:
	s_or_b64 exec, exec, s[14:15]
	s_lshl_b64 s[10:11], s[12:13], 12
	v_mov_b32_e32 v0, s11
	v_add_co_u32_e32 v6, vcc, s10, v6
	v_addc_co_u32_e32 v7, vcc, v7, v0, vcc
	s_movk_i32 s10, 0xff1f
	v_and_or_b32 v0, v36, s10, 32
	v_lshlrev_b32_e32 v10, 6, v3
	s_mov_b32 s12, 0
	v_mov_b32_e32 v3, v2
	v_readfirstlane_b32 s10, v6
	v_readfirstlane_b32 s11, v7
	s_mov_b32 s13, s12
	s_mov_b32 s14, s12
	;; [unrolled: 1-line block ×3, first 2 shown]
	s_nop 1
	global_store_dwordx4 v10, v[0:3], s[10:11]
	s_nop 0
	v_mov_b32_e32 v0, s12
	v_mov_b32_e32 v1, s13
	;; [unrolled: 1-line block ×4, first 2 shown]
	global_store_dwordx4 v10, v[0:3], s[10:11] offset:16
	global_store_dwordx4 v10, v[0:3], s[10:11] offset:32
	;; [unrolled: 1-line block ×3, first 2 shown]
	s_and_saveexec_b64 s[10:11], s[4:5]
	s_cbranch_execz .LBB0_102
; %bb.95:
	v_mov_b32_e32 v6, 0
	global_load_dwordx2 v[12:13], v6, s[6:7] offset:32 glc
	global_load_dwordx2 v[0:1], v6, s[6:7] offset:40
	v_mov_b32_e32 v10, s8
	v_mov_b32_e32 v11, s9
	s_waitcnt vmcnt(0)
	v_and_b32_e32 v0, s8, v0
	v_and_b32_e32 v1, s9, v1
	v_mul_lo_u32 v1, v1, 24
	v_mul_hi_u32 v2, v0, 24
	v_mul_lo_u32 v0, v0, 24
	v_add_u32_e32 v1, v2, v1
	v_add_co_u32_e32 v4, vcc, v4, v0
	v_addc_co_u32_e32 v5, vcc, v5, v1, vcc
	global_store_dwordx2 v[4:5], v[12:13], off
	s_waitcnt vmcnt(0)
	global_atomic_cmpswap_x2 v[2:3], v6, v[10:13], s[6:7] offset:32 glc
	s_waitcnt vmcnt(0)
	v_cmp_ne_u64_e32 vcc, v[2:3], v[12:13]
	s_and_saveexec_b64 s[12:13], vcc
	s_cbranch_execz .LBB0_98
; %bb.96:
	s_mov_b64 s[14:15], 0
.LBB0_97:                               ; =>This Inner Loop Header: Depth=1
	s_sleep 1
	global_store_dwordx2 v[4:5], v[2:3], off
	v_mov_b32_e32 v0, s8
	v_mov_b32_e32 v1, s9
	s_waitcnt vmcnt(0)
	global_atomic_cmpswap_x2 v[0:1], v6, v[0:3], s[6:7] offset:32 glc
	s_waitcnt vmcnt(0)
	v_cmp_eq_u64_e32 vcc, v[0:1], v[2:3]
	v_mov_b32_e32 v3, v1
	s_or_b64 s[14:15], vcc, s[14:15]
	v_mov_b32_e32 v2, v0
	s_andn2_b64 exec, exec, s[14:15]
	s_cbranch_execnz .LBB0_97
.LBB0_98:
	s_or_b64 exec, exec, s[12:13]
	v_mov_b32_e32 v3, 0
	global_load_dwordx2 v[0:1], v3, s[6:7] offset:16
	s_mov_b64 s[12:13], exec
	v_mbcnt_lo_u32_b32 v2, s12, 0
	v_mbcnt_hi_u32_b32 v2, s13, v2
	v_cmp_eq_u32_e32 vcc, 0, v2
	s_and_saveexec_b64 s[14:15], vcc
	s_cbranch_execz .LBB0_100
; %bb.99:
	s_bcnt1_i32_b64 s12, s[12:13]
	v_mov_b32_e32 v2, s12
	s_waitcnt vmcnt(0)
	global_atomic_add_x2 v[0:1], v[2:3], off offset:8
.LBB0_100:
	s_or_b64 exec, exec, s[14:15]
	s_waitcnt vmcnt(0)
	global_load_dwordx2 v[2:3], v[0:1], off offset:16
	s_waitcnt vmcnt(0)
	v_cmp_eq_u64_e32 vcc, 0, v[2:3]
	s_cbranch_vccnz .LBB0_102
; %bb.101:
	global_load_dword v0, v[0:1], off offset:24
	v_mov_b32_e32 v1, 0
	s_waitcnt vmcnt(0)
	v_readfirstlane_b32 s12, v0
	s_and_b32 m0, s12, 0xffffff
	global_store_dwordx2 v[2:3], v[0:1], off
	s_sendmsg sendmsg(MSG_INTERRUPT)
.LBB0_102:
	s_or_b64 exec, exec, s[10:11]
	s_branch .LBB0_106
.LBB0_103:                              ;   in Loop: Header=BB0_106 Depth=1
	s_or_b64 exec, exec, s[10:11]
	v_readfirstlane_b32 s10, v0
	s_cmp_eq_u32 s10, 0
	s_cbranch_scc1 .LBB0_105
; %bb.104:                              ;   in Loop: Header=BB0_106 Depth=1
	s_sleep 1
	s_cbranch_execnz .LBB0_106
	s_branch .LBB0_108
.LBB0_105:
	s_branch .LBB0_108
.LBB0_106:                              ; =>This Inner Loop Header: Depth=1
	v_mov_b32_e32 v0, 1
	s_and_saveexec_b64 s[10:11], s[4:5]
	s_cbranch_execz .LBB0_103
; %bb.107:                              ;   in Loop: Header=BB0_106 Depth=1
	global_load_dword v0, v[8:9], off offset:20 glc
	s_waitcnt vmcnt(0)
	buffer_wbinvl1_vol
	v_and_b32_e32 v0, 1, v0
	s_branch .LBB0_103
.LBB0_108:
	s_and_saveexec_b64 s[10:11], s[4:5]
	s_cbranch_execz .LBB0_111
; %bb.109:
	v_mov_b32_e32 v6, 0
	global_load_dwordx2 v[0:1], v6, s[6:7] offset:40
	global_load_dwordx2 v[9:10], v6, s[6:7] offset:24 glc
	global_load_dwordx2 v[2:3], v6, s[6:7]
	s_waitcnt vmcnt(2)
	v_readfirstlane_b32 s12, v0
	v_readfirstlane_b32 s13, v1
	s_add_u32 s14, s12, 1
	s_addc_u32 s15, s13, 0
	s_add_u32 s4, s14, s8
	s_addc_u32 s5, s15, s9
	s_cmp_eq_u64 s[4:5], 0
	s_cselect_b32 s5, s15, s5
	s_cselect_b32 s4, s14, s4
	s_and_b64 s[8:9], s[4:5], s[12:13]
	s_mul_i32 s9, s9, 24
	s_mul_hi_u32 s12, s8, 24
	s_mul_i32 s8, s8, 24
	s_add_i32 s9, s12, s9
	v_mov_b32_e32 v0, s9
	s_waitcnt vmcnt(0)
	v_add_co_u32_e32 v4, vcc, s8, v2
	v_addc_co_u32_e32 v5, vcc, v3, v0, vcc
	v_mov_b32_e32 v7, s4
	global_store_dwordx2 v[4:5], v[9:10], off
	v_mov_b32_e32 v8, s5
	s_waitcnt vmcnt(0)
	global_atomic_cmpswap_x2 v[2:3], v6, v[7:10], s[6:7] offset:24 glc
	s_mov_b64 s[8:9], 0
	s_waitcnt vmcnt(0)
	v_cmp_ne_u64_e32 vcc, v[2:3], v[9:10]
	s_and_b64 exec, exec, vcc
	s_cbranch_execz .LBB0_111
.LBB0_110:                              ; =>This Inner Loop Header: Depth=1
	s_sleep 1
	global_store_dwordx2 v[4:5], v[2:3], off
	v_mov_b32_e32 v0, s4
	v_mov_b32_e32 v1, s5
	s_waitcnt vmcnt(0)
	global_atomic_cmpswap_x2 v[0:1], v6, v[0:3], s[6:7] offset:24 glc
	s_waitcnt vmcnt(0)
	v_cmp_eq_u64_e32 vcc, v[0:1], v[2:3]
	v_mov_b32_e32 v3, v1
	s_or_b64 s[8:9], vcc, s[8:9]
	v_mov_b32_e32 v2, v0
	s_andn2_b64 exec, exec, s[8:9]
	s_cbranch_execnz .LBB0_110
.LBB0_111:
	s_or_b64 exec, exec, s[10:11]
	s_waitcnt vmcnt(0) lgkmcnt(0)
	s_setpc_b64 s[30:31]
.LBB0_112:
	s_cbranch_execnz .LBB0_86
.LBB0_113:
	s_waitcnt vmcnt(0) lgkmcnt(0)
	s_setpc_b64 s[30:31]
.Lfunc_end0:
	.size	__ockl_fprintf_append_string_n, .Lfunc_end0-__ockl_fprintf_append_string_n
                                        ; -- End function
	.set .L__ockl_fprintf_append_string_n.num_vgpr, 40
	.set .L__ockl_fprintf_append_string_n.num_agpr, 0
	.set .L__ockl_fprintf_append_string_n.numbered_sgpr, 32
	.set .L__ockl_fprintf_append_string_n.num_named_barrier, 0
	.set .L__ockl_fprintf_append_string_n.private_seg_size, 0
	.set .L__ockl_fprintf_append_string_n.uses_vcc, 1
	.set .L__ockl_fprintf_append_string_n.uses_flat_scratch, 0
	.set .L__ockl_fprintf_append_string_n.has_dyn_sized_stack, 0
	.set .L__ockl_fprintf_append_string_n.has_recursion, 0
	.set .L__ockl_fprintf_append_string_n.has_indirect_call, 0
	.section	.AMDGPU.csdata,"",@progbits
; Function info:
; codeLenInByte = 3900
; TotalNumSgprs: 36
; NumVgprs: 40
; ScratchSize: 0
; MemoryBound: 0
	.text
	.p2align	2                               ; -- Begin function __assert_fail
	.type	__assert_fail,@function
__assert_fail:                          ; @__assert_fail
; %bb.0:
	s_waitcnt vmcnt(0) expcnt(0) lgkmcnt(0)
	s_mov_b32 s25, s33
	s_mov_b32 s33, s32
	s_or_saveexec_b64 s[4:5], -1
	buffer_store_dword v40, off, s[0:3], s33 offset:48 ; 4-byte Folded Spill
	s_mov_b64 exec, s[4:5]
	v_writelane_b32 v40, s30, 0
	s_addk_i32 s32, 0x1000
	v_writelane_b32 v40, s31, 1
	v_mov_b32_e32 v8, 0
	s_getpc_b64 s[4:5]
	s_add_u32 s4, s4, __const.__assert_fail.fmt@rel32@lo+35
	s_addc_u32 s5, s5, __const.__assert_fail.fmt@rel32@hi+43
	v_mov_b32_e32 v5, v1
	v_mov_b32_e32 v4, v0
	global_load_dwordx4 v[0:3], v8, s[4:5]
	s_getpc_b64 s[16:17]
	s_add_u32 s16, s16, __const.__assert_fail.fmt@rel32@lo+4
	s_addc_u32 s17, s17, __const.__assert_fail.fmt@rel32@hi+12
	s_getpc_b64 s[18:19]
	s_add_u32 s18, s18, __const.__assert_fail.fmt@rel32@lo+20
	s_addc_u32 s19, s19, __const.__assert_fail.fmt@rel32@hi+28
	v_mbcnt_lo_u32_b32 v9, -1, 0
	s_load_dwordx4 s[4:7], s[16:17], 0x0
	s_load_dwordx4 s[12:15], s[18:19], 0x0
	s_load_dwordx2 s[10:11], s[8:9], 0x50
	v_mbcnt_hi_u32_b32 v34, -1, v9
	v_mov_b32_e32 v6, 0
	v_readfirstlane_b32 s16, v34
	v_mov_b32_e32 v7, 0
	s_waitcnt lgkmcnt(0)
	v_mov_b32_e32 v9, s7
	v_mov_b32_e32 v11, s5
	;; [unrolled: 1-line block ×3, first 2 shown]
	v_cmp_eq_u32_e64 s[4:5], s16, v34
	v_mov_b32_e32 v10, s6
	v_mov_b32_e32 v13, s15
	;; [unrolled: 1-line block ×5, first 2 shown]
	buffer_store_dword v9, off, s[0:3], s33 offset:12
	buffer_store_dword v10, off, s[0:3], s33 offset:8
	buffer_store_dword v11, off, s[0:3], s33 offset:4
	buffer_store_dword v12, off, s[0:3], s33
	buffer_store_dword v13, off, s[0:3], s33 offset:28
	buffer_store_dword v14, off, s[0:3], s33 offset:24
	;; [unrolled: 1-line block ×4, first 2 shown]
	s_waitcnt vmcnt(8)
	buffer_store_dword v3, off, s[0:3], s33 offset:43
	buffer_store_dword v2, off, s[0:3], s33 offset:39
	;; [unrolled: 1-line block ×4, first 2 shown]
	s_and_saveexec_b64 s[6:7], s[4:5]
	s_cbranch_execz .LBB1_6
; %bb.1:
	global_load_dwordx2 v[2:3], v8, s[10:11] offset:24 glc
	s_waitcnt vmcnt(0)
	buffer_wbinvl1_vol
	global_load_dwordx2 v[0:1], v8, s[10:11] offset:40
	global_load_dwordx2 v[6:7], v8, s[10:11]
	s_waitcnt vmcnt(1)
	v_and_b32_e32 v0, v0, v2
	v_and_b32_e32 v1, v1, v3
	v_mul_lo_u32 v1, v1, 24
	v_mul_hi_u32 v9, v0, 24
	v_mul_lo_u32 v0, v0, 24
	v_add_u32_e32 v1, v9, v1
	s_waitcnt vmcnt(0)
	v_add_co_u32_e32 v0, vcc, v6, v0
	v_addc_co_u32_e32 v1, vcc, v7, v1, vcc
	global_load_dwordx2 v[0:1], v[0:1], off glc
	s_waitcnt vmcnt(0)
	global_atomic_cmpswap_x2 v[6:7], v8, v[0:3], s[10:11] offset:24 glc
	s_waitcnt vmcnt(0)
	buffer_wbinvl1_vol
	v_cmp_ne_u64_e32 vcc, v[6:7], v[2:3]
	s_and_saveexec_b64 s[12:13], vcc
	s_cbranch_execz .LBB1_5
; %bb.2:
	s_mov_b64 s[14:15], 0
	v_mov_b32_e32 v0, 0
.LBB1_3:                                ; =>This Inner Loop Header: Depth=1
	s_sleep 1
	global_load_dwordx2 v[1:2], v0, s[10:11] offset:40
	global_load_dwordx2 v[9:10], v0, s[10:11]
	v_mov_b32_e32 v12, v7
	v_mov_b32_e32 v11, v6
	s_waitcnt vmcnt(1)
	v_and_b32_e32 v1, v1, v11
	s_waitcnt vmcnt(0)
	v_mad_u64_u32 v[6:7], s[16:17], v1, 24, v[9:10]
	v_and_b32_e32 v2, v2, v12
	v_mov_b32_e32 v1, v7
	v_mad_u64_u32 v[1:2], s[16:17], v2, 24, v[1:2]
	v_mov_b32_e32 v7, v1
	global_load_dwordx2 v[9:10], v[6:7], off glc
	s_waitcnt vmcnt(0)
	global_atomic_cmpswap_x2 v[6:7], v0, v[9:12], s[10:11] offset:24 glc
	s_waitcnt vmcnt(0)
	buffer_wbinvl1_vol
	v_cmp_eq_u64_e32 vcc, v[6:7], v[11:12]
	s_or_b64 s[14:15], vcc, s[14:15]
	s_andn2_b64 exec, exec, s[14:15]
	s_cbranch_execnz .LBB1_3
; %bb.4:
	s_or_b64 exec, exec, s[14:15]
.LBB1_5:
	s_or_b64 exec, exec, s[12:13]
.LBB1_6:
	s_or_b64 exec, exec, s[6:7]
	global_load_dwordx2 v[9:10], v8, s[10:11] offset:40
	global_load_dwordx4 v[0:3], v8, s[10:11]
	v_readfirstlane_b32 s7, v7
	v_readfirstlane_b32 s6, v6
	s_mov_b64 s[12:13], exec
	s_waitcnt vmcnt(1)
	v_readfirstlane_b32 s14, v9
	v_readfirstlane_b32 s15, v10
	s_and_b64 s[14:15], s[14:15], s[6:7]
	s_mul_i32 s16, s15, 24
	s_mul_hi_u32 s17, s14, 24
	s_mul_i32 s18, s14, 24
	s_add_i32 s16, s17, s16
	v_mov_b32_e32 v6, s16
	s_waitcnt vmcnt(0)
	v_add_co_u32_e32 v10, vcc, s18, v0
	v_addc_co_u32_e32 v11, vcc, v1, v6, vcc
	s_and_saveexec_b64 s[16:17], s[4:5]
	s_cbranch_execz .LBB1_8
; %bb.7:
	v_mov_b32_e32 v6, s12
	v_mov_b32_e32 v7, s13
	;; [unrolled: 1-line block ×4, first 2 shown]
	global_store_dwordx4 v[10:11], v[6:9], off offset:8
.LBB1_8:
	s_or_b64 exec, exec, s[16:17]
	s_lshl_b64 s[12:13], s[14:15], 12
	v_mov_b32_e32 v6, s13
	v_add_co_u32_e32 v2, vcc, s12, v2
	s_mov_b32 s12, 0
	v_addc_co_u32_e32 v3, vcc, v3, v6, vcc
	v_lshlrev_b32_e32 v35, 6, v34
	s_mov_b32 s15, s12
	v_mov_b32_e32 v7, 0
	v_add_co_u32_e32 v12, vcc, v2, v35
	s_mov_b32 s13, s12
	s_mov_b32 s14, s12
	v_mov_b32_e32 v17, s15
	v_addc_co_u32_e32 v13, vcc, 0, v3, vcc
	v_mov_b32_e32 v6, 33
	v_mov_b32_e32 v8, 1
	;; [unrolled: 1-line block ×3, first 2 shown]
	v_readfirstlane_b32 s16, v2
	v_readfirstlane_b32 s17, v3
	v_mov_b32_e32 v16, s14
	v_mov_b32_e32 v15, s13
	;; [unrolled: 1-line block ×3, first 2 shown]
	s_nop 1
	global_store_dwordx4 v35, v[6:9], s[16:17]
	global_store_dwordx4 v35, v[14:17], s[16:17] offset:16
	global_store_dwordx4 v35, v[14:17], s[16:17] offset:32
	;; [unrolled: 1-line block ×3, first 2 shown]
	s_and_saveexec_b64 s[12:13], s[4:5]
	s_cbranch_execz .LBB1_16
; %bb.9:
	global_load_dwordx2 v[16:17], v7, s[10:11] offset:32 glc
	global_load_dwordx2 v[2:3], v7, s[10:11] offset:40
	v_mov_b32_e32 v14, s6
	v_mov_b32_e32 v15, s7
	s_waitcnt vmcnt(0)
	v_and_b32_e32 v2, s6, v2
	v_and_b32_e32 v3, s7, v3
	v_mul_lo_u32 v3, v3, 24
	v_mul_hi_u32 v6, v2, 24
	v_mul_lo_u32 v2, v2, 24
	v_add_u32_e32 v3, v6, v3
	v_add_co_u32_e32 v8, vcc, v0, v2
	v_addc_co_u32_e32 v9, vcc, v1, v3, vcc
	global_store_dwordx2 v[8:9], v[16:17], off
	s_waitcnt vmcnt(0)
	global_atomic_cmpswap_x2 v[2:3], v7, v[14:17], s[10:11] offset:32 glc
	s_waitcnt vmcnt(0)
	v_cmp_ne_u64_e32 vcc, v[2:3], v[16:17]
	s_and_saveexec_b64 s[14:15], vcc
	s_cbranch_execz .LBB1_12
; %bb.10:
	s_mov_b64 s[16:17], 0
	v_mov_b32_e32 v6, 0
.LBB1_11:                               ; =>This Inner Loop Header: Depth=1
	s_sleep 1
	global_store_dwordx2 v[8:9], v[2:3], off
	v_mov_b32_e32 v0, s6
	v_mov_b32_e32 v1, s7
	s_waitcnt vmcnt(0)
	global_atomic_cmpswap_x2 v[0:1], v6, v[0:3], s[10:11] offset:32 glc
	s_waitcnt vmcnt(0)
	v_cmp_eq_u64_e32 vcc, v[0:1], v[2:3]
	v_mov_b32_e32 v3, v1
	s_or_b64 s[16:17], vcc, s[16:17]
	v_mov_b32_e32 v2, v0
	s_andn2_b64 exec, exec, s[16:17]
	s_cbranch_execnz .LBB1_11
.LBB1_12:
	s_or_b64 exec, exec, s[14:15]
	v_mov_b32_e32 v3, 0
	global_load_dwordx2 v[0:1], v3, s[10:11] offset:16
	s_mov_b64 s[14:15], exec
	v_mbcnt_lo_u32_b32 v2, s14, 0
	v_mbcnt_hi_u32_b32 v2, s15, v2
	v_cmp_eq_u32_e32 vcc, 0, v2
	s_and_saveexec_b64 s[16:17], vcc
	s_cbranch_execz .LBB1_14
; %bb.13:
	s_bcnt1_i32_b64 s14, s[14:15]
	v_mov_b32_e32 v2, s14
	s_waitcnt vmcnt(0)
	global_atomic_add_x2 v[0:1], v[2:3], off offset:8
.LBB1_14:
	s_or_b64 exec, exec, s[16:17]
	s_waitcnt vmcnt(0)
	global_load_dwordx2 v[2:3], v[0:1], off offset:16
	s_waitcnt vmcnt(0)
	v_cmp_eq_u64_e32 vcc, 0, v[2:3]
	s_cbranch_vccnz .LBB1_16
; %bb.15:
	global_load_dword v0, v[0:1], off offset:24
	v_mov_b32_e32 v1, 0
	s_waitcnt vmcnt(0)
	v_readfirstlane_b32 s14, v0
	s_and_b32 m0, s14, 0xffffff
	global_store_dwordx2 v[2:3], v[0:1], off
	s_sendmsg sendmsg(MSG_INTERRUPT)
.LBB1_16:
	s_or_b64 exec, exec, s[12:13]
	s_branch .LBB1_20
.LBB1_17:                               ;   in Loop: Header=BB1_20 Depth=1
	s_or_b64 exec, exec, s[12:13]
	v_readfirstlane_b32 s12, v0
	s_cmp_eq_u32 s12, 0
	s_cbranch_scc1 .LBB1_19
; %bb.18:                               ;   in Loop: Header=BB1_20 Depth=1
	s_sleep 1
	s_cbranch_execnz .LBB1_20
	s_branch .LBB1_22
.LBB1_19:
	s_branch .LBB1_22
.LBB1_20:                               ; =>This Inner Loop Header: Depth=1
	v_mov_b32_e32 v0, 1
	s_and_saveexec_b64 s[12:13], s[4:5]
	s_cbranch_execz .LBB1_17
; %bb.21:                               ;   in Loop: Header=BB1_20 Depth=1
	global_load_dword v0, v[10:11], off offset:20 glc
	s_waitcnt vmcnt(0)
	buffer_wbinvl1_vol
	v_and_b32_e32 v0, 1, v0
	s_branch .LBB1_17
.LBB1_22:
	global_load_dwordx2 v[6:7], v[12:13], off
	s_and_saveexec_b64 s[12:13], s[4:5]
	s_cbranch_execz .LBB1_25
; %bb.23:
	v_mov_b32_e32 v10, 0
	global_load_dwordx2 v[0:1], v10, s[10:11] offset:40
	global_load_dwordx2 v[13:14], v10, s[10:11] offset:24 glc
	global_load_dwordx2 v[2:3], v10, s[10:11]
	s_waitcnt vmcnt(2)
	v_readfirstlane_b32 s14, v0
	v_readfirstlane_b32 s15, v1
	s_add_u32 s16, s14, 1
	s_addc_u32 s17, s15, 0
	s_add_u32 s4, s16, s6
	s_addc_u32 s5, s17, s7
	s_cmp_eq_u64 s[4:5], 0
	s_cselect_b32 s5, s17, s5
	s_cselect_b32 s4, s16, s4
	s_and_b64 s[6:7], s[4:5], s[14:15]
	s_mul_i32 s7, s7, 24
	s_mul_hi_u32 s14, s6, 24
	s_mul_i32 s6, s6, 24
	s_add_i32 s7, s14, s7
	v_mov_b32_e32 v0, s7
	s_waitcnt vmcnt(0)
	v_add_co_u32_e32 v8, vcc, s6, v2
	v_addc_co_u32_e32 v9, vcc, v3, v0, vcc
	v_mov_b32_e32 v11, s4
	global_store_dwordx2 v[8:9], v[13:14], off
	v_mov_b32_e32 v12, s5
	s_waitcnt vmcnt(0)
	global_atomic_cmpswap_x2 v[2:3], v10, v[11:14], s[10:11] offset:24 glc
	s_mov_b64 s[6:7], 0
	s_waitcnt vmcnt(0)
	v_cmp_ne_u64_e32 vcc, v[2:3], v[13:14]
	s_and_b64 exec, exec, vcc
	s_cbranch_execz .LBB1_25
.LBB1_24:                               ; =>This Inner Loop Header: Depth=1
	s_sleep 1
	global_store_dwordx2 v[8:9], v[2:3], off
	v_mov_b32_e32 v0, s4
	v_mov_b32_e32 v1, s5
	s_waitcnt vmcnt(0)
	global_atomic_cmpswap_x2 v[0:1], v10, v[0:3], s[10:11] offset:24 glc
	s_waitcnt vmcnt(0)
	v_cmp_eq_u64_e32 vcc, v[0:1], v[2:3]
	v_mov_b32_e32 v3, v1
	s_or_b64 s[6:7], vcc, s[6:7]
	v_mov_b32_e32 v2, v0
	s_andn2_b64 exec, exec, s[6:7]
	s_cbranch_execnz .LBB1_24
.LBB1_25:
	s_or_b64 exec, exec, s[12:13]
	s_lshr_b32 s6, s33, 6
	s_mov_b64 s[4:5], 0
.LBB1_26:                               ; =>This Inner Loop Header: Depth=1
	v_mov_b32_e32 v0, s6
	buffer_load_ubyte v1, v0, s[0:3], 0 offen
	s_add_i32 s6, s6, 1
	v_mov_b32_e32 v0, s6
	s_waitcnt vmcnt(0)
	v_cmp_eq_u16_e32 vcc, 0, v1
	s_or_b64 s[4:5], vcc, s[4:5]
	s_andn2_b64 exec, exec, s[4:5]
	s_cbranch_execnz .LBB1_26
; %bb.27:
	s_or_b64 exec, exec, s[4:5]
	s_lshr_b32 s4, s33, 6
	s_cmp_lg_u32 s4, -1
	s_cbranch_scc0 .LBB1_112
; %bb.28:
	v_lshrrev_b32_e64 v1, 6, s33
	v_subrev_u32_e32 v28, v1, v0
	v_ashrrev_i32_e32 v29, 31, v28
	v_and_b32_e32 v36, 2, v6
	v_mov_b32_e32 v31, 0
	v_and_b32_e32 v0, -3, v6
	v_mov_b32_e32 v1, v7
	s_mov_b64 s[12:13], 0
	v_lshrrev_b32_e64 v37, 6, s33
	s_mov_b32 s20, 0
	s_movk_i32 s21, 0x1e0
	v_mov_b32_e32 v10, 2
	v_mov_b32_e32 v11, 1
	s_branch .LBB1_30
.LBB1_29:                               ;   in Loop: Header=BB1_30 Depth=1
	s_or_b64 exec, exec, s[6:7]
	v_sub_co_u32_e32 v28, vcc, v28, v38
	v_subb_co_u32_e32 v29, vcc, v29, v39, vcc
	v_cmp_eq_u64_e32 vcc, 0, v[28:29]
	v_add_u32_e32 v37, v37, v38
	s_or_b64 s[12:13], vcc, s[12:13]
	s_andn2_b64 exec, exec, s[12:13]
	s_cbranch_execz .LBB1_113
.LBB1_30:                               ; =>This Loop Header: Depth=1
                                        ;     Child Loop BB1_33 Depth 2
                                        ;     Child Loop BB1_41 Depth 2
	;; [unrolled: 1-line block ×11, first 2 shown]
	v_cmp_gt_u64_e32 vcc, 56, v[28:29]
	v_cmp_gt_u64_e64 s[4:5], 8, v[28:29]
	v_cndmask_b32_e32 v38, 56, v28, vcc
	v_add_u32_e32 v9, 8, v37
	s_and_saveexec_b64 s[6:7], s[4:5]
	s_xor_b64 s[6:7], exec, s[6:7]
	s_cbranch_execz .LBB1_36
; %bb.31:                               ;   in Loop: Header=BB1_30 Depth=1
	v_mov_b32_e32 v2, 0
	v_cmp_ne_u64_e64 s[4:5], 0, v[28:29]
	v_mov_b32_e32 v3, 0
	s_and_saveexec_b64 s[14:15], s[4:5]
	s_cbranch_execz .LBB1_35
; %bb.32:                               ;   in Loop: Header=BB1_30 Depth=1
	v_mov_b32_e32 v2, 0
	s_mov_b32 s22, 0
	s_mov_b64 s[16:17], 0
	v_mov_b32_e32 v3, 0
	s_mov_b64 s[18:19], 0
.LBB1_33:                               ;   Parent Loop BB1_30 Depth=1
                                        ; =>  This Inner Loop Header: Depth=2
	v_add_u32_e32 v8, s22, v37
	buffer_load_ubyte v8, v8, s[0:3], 0 offen
	v_mov_b32_e32 v9, s20
	s_add_i32 s22, s22, 1
	v_cmp_eq_u32_e64 s[4:5], s22, v38
	s_waitcnt vmcnt(0)
	v_and_b32_e32 v8, 0xffff, v8
	v_lshlrev_b64 v[8:9], s18, v[8:9]
	s_add_u32 s18, s18, 8
	s_addc_u32 s19, s19, 0
	v_or_b32_e32 v3, v9, v3
	s_or_b64 s[16:17], s[4:5], s[16:17]
	v_or_b32_e32 v2, v8, v2
	s_andn2_b64 exec, exec, s[16:17]
	s_cbranch_execnz .LBB1_33
; %bb.34:                               ;   in Loop: Header=BB1_30 Depth=1
	s_or_b64 exec, exec, s[16:17]
.LBB1_35:                               ;   in Loop: Header=BB1_30 Depth=1
	s_or_b64 exec, exec, s[14:15]
	v_mov_b32_e32 v9, v37
.LBB1_36:                               ;   in Loop: Header=BB1_30 Depth=1
	s_or_saveexec_b64 s[4:5], s[6:7]
	v_mov_b32_e32 v14, 0
	s_xor_b64 exec, exec, s[4:5]
	s_cbranch_execz .LBB1_38
; %bb.37:                               ;   in Loop: Header=BB1_30 Depth=1
	buffer_load_dword v2, v37, s[0:3], 0 offen
	buffer_load_dword v3, v37, s[0:3], 0 offen offset:4
	v_add_u32_e32 v14, -8, v38
.LBB1_38:                               ;   in Loop: Header=BB1_30 Depth=1
	s_or_b64 exec, exec, s[4:5]
	v_cmp_gt_u32_e64 s[4:5], 8, v14
	v_add_u32_e32 v8, 8, v9
                                        ; implicit-def: $vgpr12_vgpr13
	s_and_saveexec_b64 s[6:7], s[4:5]
	s_xor_b64 s[6:7], exec, s[6:7]
	s_cbranch_execz .LBB1_44
; %bb.39:                               ;   in Loop: Header=BB1_30 Depth=1
	v_mov_b32_e32 v12, 0
	v_mov_b32_e32 v13, 0
	v_cmp_ne_u32_e64 s[4:5], 0, v14
	s_and_saveexec_b64 s[14:15], s[4:5]
	s_cbranch_execz .LBB1_43
; %bb.40:                               ;   in Loop: Header=BB1_30 Depth=1
	v_mov_b32_e32 v12, 0
	s_mov_b32 s22, 0
	s_mov_b64 s[16:17], 0
	v_mov_b32_e32 v13, 0
	s_mov_b64 s[18:19], 0
.LBB1_41:                               ;   Parent Loop BB1_30 Depth=1
                                        ; =>  This Inner Loop Header: Depth=2
	v_add_u32_e32 v8, s22, v9
	buffer_load_ubyte v8, v8, s[0:3], 0 offen
	v_mov_b32_e32 v16, s20
	s_add_i32 s22, s22, 1
	v_cmp_eq_u32_e64 s[4:5], s22, v14
	s_waitcnt vmcnt(0)
	v_and_b32_e32 v15, 0xffff, v8
	v_lshlrev_b64 v[15:16], s18, v[15:16]
	s_add_u32 s18, s18, 8
	s_addc_u32 s19, s19, 0
	v_or_b32_e32 v13, v16, v13
	s_or_b64 s[16:17], s[4:5], s[16:17]
	v_or_b32_e32 v12, v15, v12
	s_andn2_b64 exec, exec, s[16:17]
	s_cbranch_execnz .LBB1_41
; %bb.42:                               ;   in Loop: Header=BB1_30 Depth=1
	s_or_b64 exec, exec, s[16:17]
.LBB1_43:                               ;   in Loop: Header=BB1_30 Depth=1
	s_or_b64 exec, exec, s[14:15]
	v_mov_b32_e32 v8, v9
                                        ; implicit-def: $vgpr14
.LBB1_44:                               ;   in Loop: Header=BB1_30 Depth=1
	s_or_saveexec_b64 s[4:5], s[6:7]
	v_mov_b32_e32 v16, 0
	s_xor_b64 exec, exec, s[4:5]
	s_cbranch_execz .LBB1_46
; %bb.45:                               ;   in Loop: Header=BB1_30 Depth=1
	buffer_load_dword v12, v9, s[0:3], 0 offen
	buffer_load_dword v13, v9, s[0:3], 0 offen offset:4
	v_add_u32_e32 v16, -8, v14
.LBB1_46:                               ;   in Loop: Header=BB1_30 Depth=1
	s_or_b64 exec, exec, s[4:5]
	v_cmp_gt_u32_e64 s[4:5], 8, v16
	v_add_u32_e32 v9, 8, v8
	s_and_saveexec_b64 s[6:7], s[4:5]
	s_xor_b64 s[6:7], exec, s[6:7]
	s_cbranch_execz .LBB1_52
; %bb.47:                               ;   in Loop: Header=BB1_30 Depth=1
	v_mov_b32_e32 v14, 0
	v_mov_b32_e32 v15, 0
	v_cmp_ne_u32_e64 s[4:5], 0, v16
	s_and_saveexec_b64 s[14:15], s[4:5]
	s_cbranch_execz .LBB1_51
; %bb.48:                               ;   in Loop: Header=BB1_30 Depth=1
	v_mov_b32_e32 v14, 0
	s_mov_b32 s22, 0
	s_mov_b64 s[16:17], 0
	v_mov_b32_e32 v15, 0
	s_mov_b64 s[18:19], 0
.LBB1_49:                               ;   Parent Loop BB1_30 Depth=1
                                        ; =>  This Inner Loop Header: Depth=2
	v_add_u32_e32 v9, s22, v8
	buffer_load_ubyte v9, v9, s[0:3], 0 offen
	v_mov_b32_e32 v18, s20
	s_add_i32 s22, s22, 1
	v_cmp_eq_u32_e64 s[4:5], s22, v16
	s_waitcnt vmcnt(0)
	v_and_b32_e32 v17, 0xffff, v9
	v_lshlrev_b64 v[17:18], s18, v[17:18]
	s_add_u32 s18, s18, 8
	s_addc_u32 s19, s19, 0
	v_or_b32_e32 v15, v18, v15
	s_or_b64 s[16:17], s[4:5], s[16:17]
	v_or_b32_e32 v14, v17, v14
	s_andn2_b64 exec, exec, s[16:17]
	s_cbranch_execnz .LBB1_49
; %bb.50:                               ;   in Loop: Header=BB1_30 Depth=1
	s_or_b64 exec, exec, s[16:17]
.LBB1_51:                               ;   in Loop: Header=BB1_30 Depth=1
	s_or_b64 exec, exec, s[14:15]
	v_mov_b32_e32 v9, v8
                                        ; implicit-def: $vgpr16
.LBB1_52:                               ;   in Loop: Header=BB1_30 Depth=1
	s_or_saveexec_b64 s[4:5], s[6:7]
	v_mov_b32_e32 v18, 0
	s_xor_b64 exec, exec, s[4:5]
	s_cbranch_execz .LBB1_54
; %bb.53:                               ;   in Loop: Header=BB1_30 Depth=1
	buffer_load_dword v14, v8, s[0:3], 0 offen
	buffer_load_dword v15, v8, s[0:3], 0 offen offset:4
	v_add_u32_e32 v18, -8, v16
.LBB1_54:                               ;   in Loop: Header=BB1_30 Depth=1
	s_or_b64 exec, exec, s[4:5]
	v_cmp_gt_u32_e64 s[4:5], 8, v18
	v_add_u32_e32 v8, 8, v9
                                        ; implicit-def: $vgpr16_vgpr17
	s_and_saveexec_b64 s[6:7], s[4:5]
	s_xor_b64 s[6:7], exec, s[6:7]
	s_cbranch_execz .LBB1_60
; %bb.55:                               ;   in Loop: Header=BB1_30 Depth=1
	v_mov_b32_e32 v16, 0
	v_mov_b32_e32 v17, 0
	v_cmp_ne_u32_e64 s[4:5], 0, v18
	s_and_saveexec_b64 s[14:15], s[4:5]
	s_cbranch_execz .LBB1_59
; %bb.56:                               ;   in Loop: Header=BB1_30 Depth=1
	v_mov_b32_e32 v16, 0
	s_mov_b32 s22, 0
	s_mov_b64 s[16:17], 0
	v_mov_b32_e32 v17, 0
	s_mov_b64 s[18:19], 0
.LBB1_57:                               ;   Parent Loop BB1_30 Depth=1
                                        ; =>  This Inner Loop Header: Depth=2
	v_add_u32_e32 v8, s22, v9
	buffer_load_ubyte v8, v8, s[0:3], 0 offen
	v_mov_b32_e32 v20, s20
	s_add_i32 s22, s22, 1
	v_cmp_eq_u32_e64 s[4:5], s22, v18
	s_waitcnt vmcnt(0)
	v_and_b32_e32 v19, 0xffff, v8
	v_lshlrev_b64 v[19:20], s18, v[19:20]
	s_add_u32 s18, s18, 8
	s_addc_u32 s19, s19, 0
	v_or_b32_e32 v17, v20, v17
	s_or_b64 s[16:17], s[4:5], s[16:17]
	v_or_b32_e32 v16, v19, v16
	s_andn2_b64 exec, exec, s[16:17]
	s_cbranch_execnz .LBB1_57
; %bb.58:                               ;   in Loop: Header=BB1_30 Depth=1
	s_or_b64 exec, exec, s[16:17]
.LBB1_59:                               ;   in Loop: Header=BB1_30 Depth=1
	s_or_b64 exec, exec, s[14:15]
	v_mov_b32_e32 v8, v9
                                        ; implicit-def: $vgpr18
.LBB1_60:                               ;   in Loop: Header=BB1_30 Depth=1
	s_or_saveexec_b64 s[4:5], s[6:7]
	v_mov_b32_e32 v20, 0
	s_xor_b64 exec, exec, s[4:5]
	s_cbranch_execz .LBB1_62
; %bb.61:                               ;   in Loop: Header=BB1_30 Depth=1
	buffer_load_dword v16, v9, s[0:3], 0 offen
	buffer_load_dword v17, v9, s[0:3], 0 offen offset:4
	v_add_u32_e32 v20, -8, v18
.LBB1_62:                               ;   in Loop: Header=BB1_30 Depth=1
	s_or_b64 exec, exec, s[4:5]
	v_cmp_gt_u32_e64 s[4:5], 8, v20
	v_add_u32_e32 v9, 8, v8
	s_and_saveexec_b64 s[6:7], s[4:5]
	s_xor_b64 s[6:7], exec, s[6:7]
	s_cbranch_execz .LBB1_68
; %bb.63:                               ;   in Loop: Header=BB1_30 Depth=1
	v_mov_b32_e32 v18, 0
	v_mov_b32_e32 v19, 0
	v_cmp_ne_u32_e64 s[4:5], 0, v20
	s_and_saveexec_b64 s[14:15], s[4:5]
	s_cbranch_execz .LBB1_67
; %bb.64:                               ;   in Loop: Header=BB1_30 Depth=1
	v_mov_b32_e32 v18, 0
	s_mov_b32 s22, 0
	s_mov_b64 s[16:17], 0
	v_mov_b32_e32 v19, 0
	s_mov_b64 s[18:19], 0
.LBB1_65:                               ;   Parent Loop BB1_30 Depth=1
                                        ; =>  This Inner Loop Header: Depth=2
	v_add_u32_e32 v9, s22, v8
	buffer_load_ubyte v9, v9, s[0:3], 0 offen
	v_mov_b32_e32 v22, s20
	s_add_i32 s22, s22, 1
	v_cmp_eq_u32_e64 s[4:5], s22, v20
	s_waitcnt vmcnt(0)
	v_and_b32_e32 v21, 0xffff, v9
	v_lshlrev_b64 v[21:22], s18, v[21:22]
	s_add_u32 s18, s18, 8
	s_addc_u32 s19, s19, 0
	v_or_b32_e32 v19, v22, v19
	s_or_b64 s[16:17], s[4:5], s[16:17]
	v_or_b32_e32 v18, v21, v18
	s_andn2_b64 exec, exec, s[16:17]
	s_cbranch_execnz .LBB1_65
; %bb.66:                               ;   in Loop: Header=BB1_30 Depth=1
	s_or_b64 exec, exec, s[16:17]
.LBB1_67:                               ;   in Loop: Header=BB1_30 Depth=1
	s_or_b64 exec, exec, s[14:15]
	v_mov_b32_e32 v9, v8
                                        ; implicit-def: $vgpr20
.LBB1_68:                               ;   in Loop: Header=BB1_30 Depth=1
	s_or_saveexec_b64 s[4:5], s[6:7]
	v_mov_b32_e32 v22, 0
	s_xor_b64 exec, exec, s[4:5]
	s_cbranch_execz .LBB1_70
; %bb.69:                               ;   in Loop: Header=BB1_30 Depth=1
	buffer_load_dword v18, v8, s[0:3], 0 offen
	buffer_load_dword v19, v8, s[0:3], 0 offen offset:4
	v_add_u32_e32 v22, -8, v20
.LBB1_70:                               ;   in Loop: Header=BB1_30 Depth=1
	s_or_b64 exec, exec, s[4:5]
	v_cmp_gt_u32_e64 s[4:5], 8, v22
	v_add_u32_e32 v8, 8, v9
                                        ; implicit-def: $vgpr20_vgpr21
	s_and_saveexec_b64 s[6:7], s[4:5]
	s_xor_b64 s[6:7], exec, s[6:7]
	s_cbranch_execz .LBB1_76
; %bb.71:                               ;   in Loop: Header=BB1_30 Depth=1
	v_mov_b32_e32 v20, 0
	v_mov_b32_e32 v21, 0
	v_cmp_ne_u32_e64 s[4:5], 0, v22
	s_and_saveexec_b64 s[14:15], s[4:5]
	s_cbranch_execz .LBB1_75
; %bb.72:                               ;   in Loop: Header=BB1_30 Depth=1
	v_mov_b32_e32 v20, 0
	s_mov_b32 s22, 0
	s_mov_b64 s[16:17], 0
	v_mov_b32_e32 v21, 0
	s_mov_b64 s[18:19], 0
.LBB1_73:                               ;   Parent Loop BB1_30 Depth=1
                                        ; =>  This Inner Loop Header: Depth=2
	v_add_u32_e32 v8, s22, v9
	buffer_load_ubyte v8, v8, s[0:3], 0 offen
	v_mov_b32_e32 v24, s20
	s_add_i32 s22, s22, 1
	v_cmp_eq_u32_e64 s[4:5], s22, v22
	s_waitcnt vmcnt(0)
	v_and_b32_e32 v23, 0xffff, v8
	v_lshlrev_b64 v[23:24], s18, v[23:24]
	s_add_u32 s18, s18, 8
	s_addc_u32 s19, s19, 0
	v_or_b32_e32 v21, v24, v21
	s_or_b64 s[16:17], s[4:5], s[16:17]
	v_or_b32_e32 v20, v23, v20
	s_andn2_b64 exec, exec, s[16:17]
	s_cbranch_execnz .LBB1_73
; %bb.74:                               ;   in Loop: Header=BB1_30 Depth=1
	s_or_b64 exec, exec, s[16:17]
.LBB1_75:                               ;   in Loop: Header=BB1_30 Depth=1
	s_or_b64 exec, exec, s[14:15]
	v_mov_b32_e32 v8, v9
                                        ; implicit-def: $vgpr22
.LBB1_76:                               ;   in Loop: Header=BB1_30 Depth=1
	s_or_saveexec_b64 s[4:5], s[6:7]
	v_mov_b32_e32 v24, 0
	s_xor_b64 exec, exec, s[4:5]
	s_cbranch_execz .LBB1_78
; %bb.77:                               ;   in Loop: Header=BB1_30 Depth=1
	buffer_load_dword v20, v9, s[0:3], 0 offen
	buffer_load_dword v21, v9, s[0:3], 0 offen offset:4
	v_add_u32_e32 v24, -8, v22
.LBB1_78:                               ;   in Loop: Header=BB1_30 Depth=1
	s_or_b64 exec, exec, s[4:5]
	v_cmp_gt_u32_e64 s[4:5], 8, v24
	s_and_saveexec_b64 s[6:7], s[4:5]
	s_xor_b64 s[6:7], exec, s[6:7]
	s_cbranch_execz .LBB1_84
; %bb.79:                               ;   in Loop: Header=BB1_30 Depth=1
	v_mov_b32_e32 v22, 0
	v_mov_b32_e32 v23, 0
	v_cmp_ne_u32_e64 s[4:5], 0, v24
	s_and_saveexec_b64 s[14:15], s[4:5]
	s_cbranch_execz .LBB1_83
; %bb.80:                               ;   in Loop: Header=BB1_30 Depth=1
	v_mov_b32_e32 v22, 0
	s_mov_b64 s[16:17], 0
	v_mov_b32_e32 v23, 0
	s_mov_b64 s[18:19], 0
.LBB1_81:                               ;   Parent Loop BB1_30 Depth=1
                                        ; =>  This Inner Loop Header: Depth=2
	buffer_load_ubyte v9, v8, s[0:3], 0 offen
	v_mov_b32_e32 v26, s20
	v_add_u32_e32 v24, -1, v24
	v_cmp_eq_u32_e64 s[4:5], 0, v24
	v_add_u32_e32 v8, 1, v8
	s_waitcnt vmcnt(0)
	v_and_b32_e32 v25, 0xffff, v9
	v_lshlrev_b64 v[25:26], s18, v[25:26]
	s_add_u32 s18, s18, 8
	s_addc_u32 s19, s19, 0
	v_or_b32_e32 v23, v26, v23
	s_or_b64 s[16:17], s[4:5], s[16:17]
	v_or_b32_e32 v22, v25, v22
	s_andn2_b64 exec, exec, s[16:17]
	s_cbranch_execnz .LBB1_81
; %bb.82:                               ;   in Loop: Header=BB1_30 Depth=1
	s_or_b64 exec, exec, s[16:17]
.LBB1_83:                               ;   in Loop: Header=BB1_30 Depth=1
	s_or_b64 exec, exec, s[14:15]
                                        ; implicit-def: $vgpr8
.LBB1_84:                               ;   in Loop: Header=BB1_30 Depth=1
	s_andn2_saveexec_b64 s[4:5], s[6:7]
	s_cbranch_execz .LBB1_86
; %bb.85:                               ;   in Loop: Header=BB1_30 Depth=1
	buffer_load_dword v22, v8, s[0:3], 0 offen
	buffer_load_dword v23, v8, s[0:3], 0 offen offset:4
.LBB1_86:                               ;   in Loop: Header=BB1_30 Depth=1
	s_or_b64 exec, exec, s[4:5]
	v_readfirstlane_b32 s4, v34
	v_mov_b32_e32 v8, 0
	v_mov_b32_e32 v9, 0
	v_cmp_eq_u32_e64 s[4:5], s4, v34
	s_and_saveexec_b64 s[14:15], s[4:5]
	s_cbranch_execz .LBB1_92
; %bb.87:                               ;   in Loop: Header=BB1_30 Depth=1
	global_load_dwordx2 v[26:27], v31, s[10:11] offset:24 glc
	s_waitcnt vmcnt(0)
	buffer_wbinvl1_vol
	global_load_dwordx2 v[8:9], v31, s[10:11] offset:40
	global_load_dwordx2 v[24:25], v31, s[10:11]
	s_waitcnt vmcnt(1)
	v_and_b32_e32 v8, v8, v26
	v_and_b32_e32 v9, v9, v27
	v_mul_lo_u32 v9, v9, 24
	v_mul_hi_u32 v30, v8, 24
	v_mul_lo_u32 v8, v8, 24
	v_add_u32_e32 v9, v30, v9
	s_waitcnt vmcnt(0)
	v_add_co_u32_e64 v8, s[6:7], v24, v8
	v_addc_co_u32_e64 v9, s[6:7], v25, v9, s[6:7]
	global_load_dwordx2 v[24:25], v[8:9], off glc
	s_waitcnt vmcnt(0)
	global_atomic_cmpswap_x2 v[8:9], v31, v[24:27], s[10:11] offset:24 glc
	s_waitcnt vmcnt(0)
	buffer_wbinvl1_vol
	v_cmp_ne_u64_e64 s[6:7], v[8:9], v[26:27]
	s_and_saveexec_b64 s[16:17], s[6:7]
	s_cbranch_execz .LBB1_91
; %bb.88:                               ;   in Loop: Header=BB1_30 Depth=1
	s_mov_b64 s[18:19], 0
.LBB1_89:                               ;   Parent Loop BB1_30 Depth=1
                                        ; =>  This Inner Loop Header: Depth=2
	s_sleep 1
	global_load_dwordx2 v[24:25], v31, s[10:11] offset:40
	global_load_dwordx2 v[32:33], v31, s[10:11]
	v_mov_b32_e32 v27, v9
	v_mov_b32_e32 v26, v8
	s_waitcnt vmcnt(1)
	v_and_b32_e32 v8, v24, v26
	s_waitcnt vmcnt(0)
	v_mad_u64_u32 v[8:9], s[6:7], v8, 24, v[32:33]
	v_and_b32_e32 v24, v25, v27
	v_mad_u64_u32 v[24:25], s[6:7], v24, 24, v[9:10]
	v_mov_b32_e32 v9, v24
	global_load_dwordx2 v[24:25], v[8:9], off glc
	s_waitcnt vmcnt(0)
	global_atomic_cmpswap_x2 v[8:9], v31, v[24:27], s[10:11] offset:24 glc
	s_waitcnt vmcnt(0)
	buffer_wbinvl1_vol
	v_cmp_eq_u64_e64 s[6:7], v[8:9], v[26:27]
	s_or_b64 s[18:19], s[6:7], s[18:19]
	s_andn2_b64 exec, exec, s[18:19]
	s_cbranch_execnz .LBB1_89
; %bb.90:                               ;   in Loop: Header=BB1_30 Depth=1
	s_or_b64 exec, exec, s[18:19]
.LBB1_91:                               ;   in Loop: Header=BB1_30 Depth=1
	s_or_b64 exec, exec, s[16:17]
.LBB1_92:                               ;   in Loop: Header=BB1_30 Depth=1
	s_or_b64 exec, exec, s[14:15]
	global_load_dwordx2 v[32:33], v31, s[10:11] offset:40
	global_load_dwordx4 v[24:27], v31, s[10:11]
	v_readfirstlane_b32 s15, v9
	v_readfirstlane_b32 s14, v8
	s_mov_b64 s[16:17], exec
	s_waitcnt vmcnt(1)
	v_readfirstlane_b32 s6, v32
	v_readfirstlane_b32 s7, v33
	s_and_b64 s[18:19], s[6:7], s[14:15]
	s_mul_i32 s6, s19, 24
	s_mul_hi_u32 s7, s18, 24
	s_mul_i32 s22, s18, 24
	s_add_i32 s6, s7, s6
	v_mov_b32_e32 v8, s6
	s_waitcnt vmcnt(0)
	v_add_co_u32_e64 v32, s[6:7], s22, v24
	v_addc_co_u32_e64 v33, s[6:7], v25, v8, s[6:7]
	s_and_saveexec_b64 s[6:7], s[4:5]
	s_cbranch_execz .LBB1_94
; %bb.93:                               ;   in Loop: Header=BB1_30 Depth=1
	v_mov_b32_e32 v8, s16
	v_mov_b32_e32 v9, s17
	global_store_dwordx4 v[32:33], v[8:11], off offset:8
.LBB1_94:                               ;   in Loop: Header=BB1_30 Depth=1
	s_or_b64 exec, exec, s[6:7]
	s_lshl_b64 s[6:7], s[18:19], 12
	v_cndmask_b32_e32 v39, 0, v29, vcc
	v_mov_b32_e32 v8, s7
	v_add_co_u32_e32 v26, vcc, s6, v26
	v_addc_co_u32_e32 v27, vcc, v27, v8, vcc
	v_cmp_gt_u64_e32 vcc, 57, v[28:29]
	v_and_b32_e32 v0, 0xffffff1f, v0
	v_cndmask_b32_e32 v8, 0, v36, vcc
	v_lshl_add_u32 v9, v38, 2, 28
	v_or_b32_e32 v0, v0, v8
	v_and_or_b32 v0, v9, s21, v0
	v_readfirstlane_b32 s6, v26
	v_readfirstlane_b32 s7, v27
	s_nop 4
	global_store_dwordx4 v35, v[0:3], s[6:7]
	global_store_dwordx4 v35, v[12:15], s[6:7] offset:16
	global_store_dwordx4 v35, v[16:19], s[6:7] offset:32
	global_store_dwordx4 v35, v[20:23], s[6:7] offset:48
	s_and_saveexec_b64 s[6:7], s[4:5]
	s_cbranch_execz .LBB1_102
; %bb.95:                               ;   in Loop: Header=BB1_30 Depth=1
	global_load_dwordx2 v[14:15], v31, s[10:11] offset:32 glc
	global_load_dwordx2 v[0:1], v31, s[10:11] offset:40
	v_mov_b32_e32 v12, s14
	v_mov_b32_e32 v13, s15
	s_waitcnt vmcnt(0)
	v_readfirstlane_b32 s16, v0
	v_readfirstlane_b32 s17, v1
	s_and_b64 s[16:17], s[16:17], s[14:15]
	s_mul_i32 s17, s17, 24
	s_mul_hi_u32 s18, s16, 24
	s_mul_i32 s16, s16, 24
	s_add_i32 s17, s18, s17
	v_mov_b32_e32 v0, s17
	v_add_co_u32_e32 v8, vcc, s16, v24
	v_addc_co_u32_e32 v9, vcc, v25, v0, vcc
	global_store_dwordx2 v[8:9], v[14:15], off
	s_waitcnt vmcnt(0)
	global_atomic_cmpswap_x2 v[2:3], v31, v[12:15], s[10:11] offset:32 glc
	s_waitcnt vmcnt(0)
	v_cmp_ne_u64_e32 vcc, v[2:3], v[14:15]
	s_and_saveexec_b64 s[16:17], vcc
	s_cbranch_execz .LBB1_98
; %bb.96:                               ;   in Loop: Header=BB1_30 Depth=1
	s_mov_b64 s[18:19], 0
.LBB1_97:                               ;   Parent Loop BB1_30 Depth=1
                                        ; =>  This Inner Loop Header: Depth=2
	s_sleep 1
	global_store_dwordx2 v[8:9], v[2:3], off
	v_mov_b32_e32 v0, s14
	v_mov_b32_e32 v1, s15
	s_waitcnt vmcnt(0)
	global_atomic_cmpswap_x2 v[0:1], v31, v[0:3], s[10:11] offset:32 glc
	s_waitcnt vmcnt(0)
	v_cmp_eq_u64_e32 vcc, v[0:1], v[2:3]
	v_mov_b32_e32 v3, v1
	s_or_b64 s[18:19], vcc, s[18:19]
	v_mov_b32_e32 v2, v0
	s_andn2_b64 exec, exec, s[18:19]
	s_cbranch_execnz .LBB1_97
.LBB1_98:                               ;   in Loop: Header=BB1_30 Depth=1
	s_or_b64 exec, exec, s[16:17]
	global_load_dwordx2 v[0:1], v31, s[10:11] offset:16
	s_mov_b64 s[18:19], exec
	v_mbcnt_lo_u32_b32 v2, s18, 0
	v_mbcnt_hi_u32_b32 v2, s19, v2
	v_cmp_eq_u32_e32 vcc, 0, v2
	s_and_saveexec_b64 s[16:17], vcc
	s_cbranch_execz .LBB1_100
; %bb.99:                               ;   in Loop: Header=BB1_30 Depth=1
	s_bcnt1_i32_b64 s18, s[18:19]
	v_mov_b32_e32 v30, s18
	s_waitcnt vmcnt(0)
	global_atomic_add_x2 v[0:1], v[30:31], off offset:8
.LBB1_100:                              ;   in Loop: Header=BB1_30 Depth=1
	s_or_b64 exec, exec, s[16:17]
	s_waitcnt vmcnt(0)
	global_load_dwordx2 v[2:3], v[0:1], off offset:16
	s_waitcnt vmcnt(0)
	v_cmp_eq_u64_e32 vcc, 0, v[2:3]
	s_cbranch_vccnz .LBB1_102
; %bb.101:                              ;   in Loop: Header=BB1_30 Depth=1
	global_load_dword v30, v[0:1], off offset:24
	s_waitcnt vmcnt(0)
	v_readfirstlane_b32 s16, v30
	s_and_b32 m0, s16, 0xffffff
	global_store_dwordx2 v[2:3], v[30:31], off
	s_sendmsg sendmsg(MSG_INTERRUPT)
.LBB1_102:                              ;   in Loop: Header=BB1_30 Depth=1
	s_or_b64 exec, exec, s[6:7]
	v_add_co_u32_e32 v0, vcc, v26, v35
	v_addc_co_u32_e32 v1, vcc, 0, v27, vcc
	s_branch .LBB1_106
.LBB1_103:                              ;   in Loop: Header=BB1_106 Depth=2
	s_or_b64 exec, exec, s[6:7]
	v_readfirstlane_b32 s6, v2
	s_cmp_eq_u32 s6, 0
	s_cbranch_scc1 .LBB1_105
; %bb.104:                              ;   in Loop: Header=BB1_106 Depth=2
	s_sleep 1
	s_cbranch_execnz .LBB1_106
	s_branch .LBB1_108
.LBB1_105:                              ;   in Loop: Header=BB1_30 Depth=1
	s_branch .LBB1_108
.LBB1_106:                              ;   Parent Loop BB1_30 Depth=1
                                        ; =>  This Inner Loop Header: Depth=2
	v_mov_b32_e32 v2, 1
	s_and_saveexec_b64 s[6:7], s[4:5]
	s_cbranch_execz .LBB1_103
; %bb.107:                              ;   in Loop: Header=BB1_106 Depth=2
	global_load_dword v2, v[32:33], off offset:20 glc
	s_waitcnt vmcnt(0)
	buffer_wbinvl1_vol
	v_and_b32_e32 v2, 1, v2
	s_branch .LBB1_103
.LBB1_108:                              ;   in Loop: Header=BB1_30 Depth=1
	global_load_dwordx2 v[0:1], v[0:1], off
	s_and_saveexec_b64 s[6:7], s[4:5]
	s_cbranch_execz .LBB1_29
; %bb.109:                              ;   in Loop: Header=BB1_30 Depth=1
	global_load_dwordx2 v[2:3], v31, s[10:11] offset:40
	global_load_dwordx2 v[16:17], v31, s[10:11] offset:24 glc
	global_load_dwordx2 v[8:9], v31, s[10:11]
	s_waitcnt vmcnt(2)
	v_readfirstlane_b32 s16, v2
	v_readfirstlane_b32 s17, v3
	s_add_u32 s18, s16, 1
	s_addc_u32 s19, s17, 0
	s_add_u32 s4, s18, s14
	s_addc_u32 s5, s19, s15
	s_cmp_eq_u64 s[4:5], 0
	s_cselect_b32 s5, s19, s5
	s_cselect_b32 s4, s18, s4
	s_and_b64 s[14:15], s[4:5], s[16:17]
	s_mul_i32 s15, s15, 24
	s_mul_hi_u32 s16, s14, 24
	s_mul_i32 s14, s14, 24
	s_add_i32 s15, s16, s15
	v_mov_b32_e32 v3, s15
	s_waitcnt vmcnt(0)
	v_add_co_u32_e32 v2, vcc, s14, v8
	v_addc_co_u32_e32 v3, vcc, v9, v3, vcc
	v_mov_b32_e32 v14, s4
	global_store_dwordx2 v[2:3], v[16:17], off
	v_mov_b32_e32 v15, s5
	s_waitcnt vmcnt(0)
	global_atomic_cmpswap_x2 v[14:15], v31, v[14:17], s[10:11] offset:24 glc
	s_waitcnt vmcnt(0)
	v_cmp_ne_u64_e32 vcc, v[14:15], v[16:17]
	s_and_b64 exec, exec, vcc
	s_cbranch_execz .LBB1_29
; %bb.110:                              ;   in Loop: Header=BB1_30 Depth=1
	s_mov_b64 s[14:15], 0
.LBB1_111:                              ;   Parent Loop BB1_30 Depth=1
                                        ; =>  This Inner Loop Header: Depth=2
	s_sleep 1
	global_store_dwordx2 v[2:3], v[14:15], off
	v_mov_b32_e32 v12, s4
	v_mov_b32_e32 v13, s5
	s_waitcnt vmcnt(0)
	global_atomic_cmpswap_x2 v[8:9], v31, v[12:15], s[10:11] offset:24 glc
	s_waitcnt vmcnt(0)
	v_cmp_eq_u64_e32 vcc, v[8:9], v[14:15]
	v_mov_b32_e32 v15, v9
	s_or_b64 s[14:15], vcc, s[14:15]
	v_mov_b32_e32 v14, v8
	s_andn2_b64 exec, exec, s[14:15]
	s_cbranch_execnz .LBB1_111
	s_branch .LBB1_29
.LBB1_112:
                                        ; implicit-def: $vgpr0_vgpr1
	s_cbranch_execnz .LBB1_114
	s_branch .LBB1_140
.LBB1_113:
	s_or_b64 exec, exec, s[12:13]
	s_branch .LBB1_140
.LBB1_114:
	v_readfirstlane_b32 s4, v34
	v_mov_b32_e32 v9, 0
	v_mov_b32_e32 v10, 0
	v_cmp_eq_u32_e64 s[4:5], s4, v34
	s_and_saveexec_b64 s[6:7], s[4:5]
	s_cbranch_execz .LBB1_120
; %bb.115:
	s_waitcnt vmcnt(0)
	v_mov_b32_e32 v0, 0
	global_load_dwordx2 v[11:12], v0, s[10:11] offset:24 glc
	s_waitcnt vmcnt(0)
	buffer_wbinvl1_vol
	global_load_dwordx2 v[1:2], v0, s[10:11] offset:40
	global_load_dwordx2 v[8:9], v0, s[10:11]
	s_waitcnt vmcnt(1)
	v_and_b32_e32 v1, v1, v11
	v_and_b32_e32 v2, v2, v12
	v_mul_lo_u32 v2, v2, 24
	v_mul_hi_u32 v3, v1, 24
	v_mul_lo_u32 v1, v1, 24
	v_add_u32_e32 v2, v3, v2
	s_waitcnt vmcnt(0)
	v_add_co_u32_e32 v1, vcc, v8, v1
	v_addc_co_u32_e32 v2, vcc, v9, v2, vcc
	global_load_dwordx2 v[9:10], v[1:2], off glc
	s_waitcnt vmcnt(0)
	global_atomic_cmpswap_x2 v[9:10], v0, v[9:12], s[10:11] offset:24 glc
	s_waitcnt vmcnt(0)
	buffer_wbinvl1_vol
	v_cmp_ne_u64_e32 vcc, v[9:10], v[11:12]
	s_and_saveexec_b64 s[12:13], vcc
	s_cbranch_execz .LBB1_119
; %bb.116:
	s_mov_b64 s[14:15], 0
.LBB1_117:                              ; =>This Inner Loop Header: Depth=1
	s_sleep 1
	global_load_dwordx2 v[1:2], v0, s[10:11] offset:40
	global_load_dwordx2 v[13:14], v0, s[10:11]
	v_mov_b32_e32 v12, v10
	v_mov_b32_e32 v11, v9
	s_waitcnt vmcnt(1)
	v_and_b32_e32 v1, v1, v11
	s_waitcnt vmcnt(0)
	v_mad_u64_u32 v[8:9], s[16:17], v1, 24, v[13:14]
	v_and_b32_e32 v2, v2, v12
	v_mov_b32_e32 v1, v9
	v_mad_u64_u32 v[1:2], s[16:17], v2, 24, v[1:2]
	v_mov_b32_e32 v9, v1
	global_load_dwordx2 v[9:10], v[8:9], off glc
	s_waitcnt vmcnt(0)
	global_atomic_cmpswap_x2 v[9:10], v0, v[9:12], s[10:11] offset:24 glc
	s_waitcnt vmcnt(0)
	buffer_wbinvl1_vol
	v_cmp_eq_u64_e32 vcc, v[9:10], v[11:12]
	s_or_b64 s[14:15], vcc, s[14:15]
	s_andn2_b64 exec, exec, s[14:15]
	s_cbranch_execnz .LBB1_117
; %bb.118:
	s_or_b64 exec, exec, s[14:15]
.LBB1_119:
	s_or_b64 exec, exec, s[12:13]
.LBB1_120:
	s_or_b64 exec, exec, s[6:7]
	v_mov_b32_e32 v8, 0
	global_load_dwordx2 v[11:12], v8, s[10:11] offset:40
	global_load_dwordx4 v[0:3], v8, s[10:11]
	v_readfirstlane_b32 s7, v10
	v_readfirstlane_b32 s6, v9
	s_mov_b64 s[12:13], exec
	s_waitcnt vmcnt(1)
	v_readfirstlane_b32 s14, v11
	v_readfirstlane_b32 s15, v12
	s_and_b64 s[14:15], s[14:15], s[6:7]
	s_mul_i32 s16, s15, 24
	s_mul_hi_u32 s17, s14, 24
	s_mul_i32 s18, s14, 24
	s_add_i32 s16, s17, s16
	v_mov_b32_e32 v9, s16
	s_waitcnt vmcnt(0)
	v_add_co_u32_e32 v10, vcc, s18, v0
	v_addc_co_u32_e32 v11, vcc, v1, v9, vcc
	s_and_saveexec_b64 s[16:17], s[4:5]
	s_cbranch_execz .LBB1_122
; %bb.121:
	v_mov_b32_e32 v12, s12
	v_mov_b32_e32 v13, s13
	;; [unrolled: 1-line block ×4, first 2 shown]
	global_store_dwordx4 v[10:11], v[12:15], off offset:8
.LBB1_122:
	s_or_b64 exec, exec, s[16:17]
	s_lshl_b64 s[12:13], s[14:15], 12
	v_mov_b32_e32 v9, s13
	v_add_co_u32_e32 v2, vcc, s12, v2
	v_addc_co_u32_e32 v3, vcc, v3, v9, vcc
	s_movk_i32 s12, 0xff1f
	v_and_or_b32 v6, v6, s12, 32
	s_mov_b32 s12, 0
	v_mov_b32_e32 v9, v8
	v_readfirstlane_b32 s16, v2
	v_readfirstlane_b32 s17, v3
	v_add_co_u32_e32 v12, vcc, v2, v35
	s_mov_b32 s13, s12
	s_mov_b32 s14, s12
	;; [unrolled: 1-line block ×3, first 2 shown]
	s_nop 0
	global_store_dwordx4 v35, v[6:9], s[16:17]
	v_addc_co_u32_e32 v13, vcc, 0, v3, vcc
	v_mov_b32_e32 v6, s12
	v_mov_b32_e32 v7, s13
	;; [unrolled: 1-line block ×4, first 2 shown]
	global_store_dwordx4 v35, v[6:9], s[16:17] offset:16
	global_store_dwordx4 v35, v[6:9], s[16:17] offset:32
	;; [unrolled: 1-line block ×3, first 2 shown]
	s_and_saveexec_b64 s[12:13], s[4:5]
	s_cbranch_execz .LBB1_130
; %bb.123:
	v_mov_b32_e32 v8, 0
	global_load_dwordx2 v[16:17], v8, s[10:11] offset:32 glc
	global_load_dwordx2 v[2:3], v8, s[10:11] offset:40
	v_mov_b32_e32 v14, s6
	v_mov_b32_e32 v15, s7
	s_waitcnt vmcnt(0)
	v_readfirstlane_b32 s14, v2
	v_readfirstlane_b32 s15, v3
	s_and_b64 s[14:15], s[14:15], s[6:7]
	s_mul_i32 s15, s15, 24
	s_mul_hi_u32 s16, s14, 24
	s_mul_i32 s14, s14, 24
	s_add_i32 s15, s16, s15
	v_mov_b32_e32 v2, s15
	v_add_co_u32_e32 v6, vcc, s14, v0
	v_addc_co_u32_e32 v7, vcc, v1, v2, vcc
	global_store_dwordx2 v[6:7], v[16:17], off
	s_waitcnt vmcnt(0)
	global_atomic_cmpswap_x2 v[2:3], v8, v[14:17], s[10:11] offset:32 glc
	s_waitcnt vmcnt(0)
	v_cmp_ne_u64_e32 vcc, v[2:3], v[16:17]
	s_and_saveexec_b64 s[14:15], vcc
	s_cbranch_execz .LBB1_126
; %bb.124:
	s_mov_b64 s[16:17], 0
.LBB1_125:                              ; =>This Inner Loop Header: Depth=1
	s_sleep 1
	global_store_dwordx2 v[6:7], v[2:3], off
	v_mov_b32_e32 v0, s6
	v_mov_b32_e32 v1, s7
	s_waitcnt vmcnt(0)
	global_atomic_cmpswap_x2 v[0:1], v8, v[0:3], s[10:11] offset:32 glc
	s_waitcnt vmcnt(0)
	v_cmp_eq_u64_e32 vcc, v[0:1], v[2:3]
	v_mov_b32_e32 v3, v1
	s_or_b64 s[16:17], vcc, s[16:17]
	v_mov_b32_e32 v2, v0
	s_andn2_b64 exec, exec, s[16:17]
	s_cbranch_execnz .LBB1_125
.LBB1_126:
	s_or_b64 exec, exec, s[14:15]
	v_mov_b32_e32 v3, 0
	global_load_dwordx2 v[0:1], v3, s[10:11] offset:16
	s_mov_b64 s[14:15], exec
	v_mbcnt_lo_u32_b32 v2, s14, 0
	v_mbcnt_hi_u32_b32 v2, s15, v2
	v_cmp_eq_u32_e32 vcc, 0, v2
	s_and_saveexec_b64 s[16:17], vcc
	s_cbranch_execz .LBB1_128
; %bb.127:
	s_bcnt1_i32_b64 s14, s[14:15]
	v_mov_b32_e32 v2, s14
	s_waitcnt vmcnt(0)
	global_atomic_add_x2 v[0:1], v[2:3], off offset:8
.LBB1_128:
	s_or_b64 exec, exec, s[16:17]
	s_waitcnt vmcnt(0)
	global_load_dwordx2 v[2:3], v[0:1], off offset:16
	s_waitcnt vmcnt(0)
	v_cmp_eq_u64_e32 vcc, 0, v[2:3]
	s_cbranch_vccnz .LBB1_130
; %bb.129:
	global_load_dword v0, v[0:1], off offset:24
	v_mov_b32_e32 v1, 0
	s_waitcnt vmcnt(0)
	v_readfirstlane_b32 s14, v0
	s_and_b32 m0, s14, 0xffffff
	global_store_dwordx2 v[2:3], v[0:1], off
	s_sendmsg sendmsg(MSG_INTERRUPT)
.LBB1_130:
	s_or_b64 exec, exec, s[12:13]
	s_branch .LBB1_134
.LBB1_131:                              ;   in Loop: Header=BB1_134 Depth=1
	s_or_b64 exec, exec, s[12:13]
	v_readfirstlane_b32 s12, v0
	s_cmp_eq_u32 s12, 0
	s_cbranch_scc1 .LBB1_133
; %bb.132:                              ;   in Loop: Header=BB1_134 Depth=1
	s_sleep 1
	s_cbranch_execnz .LBB1_134
	s_branch .LBB1_136
.LBB1_133:
	s_branch .LBB1_136
.LBB1_134:                              ; =>This Inner Loop Header: Depth=1
	v_mov_b32_e32 v0, 1
	s_and_saveexec_b64 s[12:13], s[4:5]
	s_cbranch_execz .LBB1_131
; %bb.135:                              ;   in Loop: Header=BB1_134 Depth=1
	global_load_dword v0, v[10:11], off offset:20 glc
	s_waitcnt vmcnt(0)
	buffer_wbinvl1_vol
	v_and_b32_e32 v0, 1, v0
	s_branch .LBB1_131
.LBB1_136:
	global_load_dwordx2 v[0:1], v[12:13], off
	s_and_saveexec_b64 s[12:13], s[4:5]
	s_cbranch_execz .LBB1_139
; %bb.137:
	v_mov_b32_e32 v10, 0
	global_load_dwordx2 v[2:3], v10, s[10:11] offset:40
	global_load_dwordx2 v[13:14], v10, s[10:11] offset:24 glc
	global_load_dwordx2 v[6:7], v10, s[10:11]
	s_waitcnt vmcnt(2)
	v_readfirstlane_b32 s14, v2
	v_readfirstlane_b32 s15, v3
	s_add_u32 s16, s14, 1
	s_addc_u32 s17, s15, 0
	s_add_u32 s4, s16, s6
	s_addc_u32 s5, s17, s7
	s_cmp_eq_u64 s[4:5], 0
	s_cselect_b32 s5, s17, s5
	s_cselect_b32 s4, s16, s4
	s_and_b64 s[6:7], s[4:5], s[14:15]
	s_mul_i32 s7, s7, 24
	s_mul_hi_u32 s14, s6, 24
	s_mul_i32 s6, s6, 24
	s_add_i32 s7, s14, s7
	v_mov_b32_e32 v3, s7
	s_waitcnt vmcnt(0)
	v_add_co_u32_e32 v2, vcc, s6, v6
	v_addc_co_u32_e32 v3, vcc, v7, v3, vcc
	v_mov_b32_e32 v11, s4
	global_store_dwordx2 v[2:3], v[13:14], off
	v_mov_b32_e32 v12, s5
	s_waitcnt vmcnt(0)
	global_atomic_cmpswap_x2 v[8:9], v10, v[11:14], s[10:11] offset:24 glc
	s_mov_b64 s[6:7], 0
	s_waitcnt vmcnt(0)
	v_cmp_ne_u64_e32 vcc, v[8:9], v[13:14]
	s_and_b64 exec, exec, vcc
	s_cbranch_execz .LBB1_139
.LBB1_138:                              ; =>This Inner Loop Header: Depth=1
	s_sleep 1
	global_store_dwordx2 v[2:3], v[8:9], off
	v_mov_b32_e32 v6, s4
	v_mov_b32_e32 v7, s5
	s_waitcnt vmcnt(0)
	global_atomic_cmpswap_x2 v[6:7], v10, v[6:9], s[10:11] offset:24 glc
	s_waitcnt vmcnt(0)
	v_cmp_eq_u64_e32 vcc, v[6:7], v[8:9]
	v_mov_b32_e32 v9, v7
	s_or_b64 s[6:7], vcc, s[6:7]
	v_mov_b32_e32 v8, v6
	s_andn2_b64 exec, exec, s[6:7]
	s_cbranch_execnz .LBB1_138
.LBB1_139:
	s_or_b64 exec, exec, s[12:13]
.LBB1_140:
	s_getpc_b64 s[6:7]
	s_add_u32 s6, s6, .str.4@rel32@lo+4
	s_addc_u32 s7, s7, .str.4@rel32@hi+12
	s_cmp_lg_u64 s[6:7], 0
	s_cbranch_scc0 .LBB1_225
; %bb.141:
	s_getpc_b64 s[4:5]
	s_add_u32 s4, s4, .str.4@rel32@lo+80
	s_addc_u32 s5, s5, .str.4@rel32@hi+88
	s_sub_i32 s12, s4, s6
	s_ashr_i32 s13, s12, 31
	s_waitcnt vmcnt(0)
	v_and_b32_e32 v32, 2, v0
	v_mov_b32_e32 v3, 0
	v_and_b32_e32 v6, -3, v0
	v_mov_b32_e32 v7, v1
	v_mov_b32_e32 v12, 2
	;; [unrolled: 1-line block ×3, first 2 shown]
	s_branch .LBB1_143
.LBB1_142:                              ;   in Loop: Header=BB1_143 Depth=1
	s_or_b64 exec, exec, s[18:19]
	s_sub_u32 s12, s12, s14
	s_subb_u32 s13, s13, s15
	s_add_u32 s6, s6, s14
	s_addc_u32 s7, s7, s15
	s_cmp_lg_u64 s[12:13], 0
	s_cbranch_scc0 .LBB1_226
.LBB1_143:                              ; =>This Loop Header: Depth=1
                                        ;     Child Loop BB1_146 Depth 2
                                        ;     Child Loop BB1_154 Depth 2
                                        ;     Child Loop BB1_162 Depth 2
                                        ;     Child Loop BB1_170 Depth 2
                                        ;     Child Loop BB1_178 Depth 2
                                        ;     Child Loop BB1_186 Depth 2
                                        ;     Child Loop BB1_194 Depth 2
                                        ;     Child Loop BB1_202 Depth 2
                                        ;     Child Loop BB1_210 Depth 2
                                        ;     Child Loop BB1_219 Depth 2
                                        ;     Child Loop BB1_224 Depth 2
	v_cmp_lt_u64_e64 s[4:5], s[12:13], 56
	v_cmp_gt_u64_e64 s[16:17], s[12:13], 7
	s_and_b64 s[4:5], s[4:5], exec
	s_cselect_b32 s15, s13, 0
	s_cselect_b32 s14, s12, 56
	s_add_u32 s4, s6, 8
	s_addc_u32 s5, s7, 0
	s_and_b64 vcc, exec, s[16:17]
	s_cbranch_vccnz .LBB1_147
; %bb.144:                              ;   in Loop: Header=BB1_143 Depth=1
	s_cmp_eq_u64 s[12:13], 0
	s_cbranch_scc1 .LBB1_148
; %bb.145:                              ;   in Loop: Header=BB1_143 Depth=1
	v_mov_b32_e32 v8, 0
	s_lshl_b64 s[4:5], s[14:15], 3
	s_mov_b64 s[16:17], 0
	v_mov_b32_e32 v9, 0
	s_mov_b64 s[18:19], s[6:7]
.LBB1_146:                              ;   Parent Loop BB1_143 Depth=1
                                        ; =>  This Inner Loop Header: Depth=2
	global_load_ubyte v2, v3, s[18:19]
	s_waitcnt vmcnt(0)
	v_and_b32_e32 v2, 0xffff, v2
	v_lshlrev_b64 v[10:11], s16, v[2:3]
	s_add_u32 s16, s16, 8
	s_addc_u32 s17, s17, 0
	s_add_u32 s18, s18, 1
	s_addc_u32 s19, s19, 0
	v_or_b32_e32 v8, v10, v8
	s_cmp_lg_u32 s4, s16
	v_or_b32_e32 v9, v11, v9
	s_cbranch_scc1 .LBB1_146
	s_branch .LBB1_149
.LBB1_147:                              ;   in Loop: Header=BB1_143 Depth=1
	s_mov_b32 s20, 0
	s_branch .LBB1_150
.LBB1_148:                              ;   in Loop: Header=BB1_143 Depth=1
	v_mov_b32_e32 v8, 0
	v_mov_b32_e32 v9, 0
.LBB1_149:                              ;   in Loop: Header=BB1_143 Depth=1
	s_mov_b64 s[4:5], s[6:7]
	s_mov_b32 s20, 0
	s_cbranch_execnz .LBB1_151
.LBB1_150:                              ;   in Loop: Header=BB1_143 Depth=1
	global_load_dwordx2 v[8:9], v3, s[6:7]
	s_add_i32 s20, s14, -8
.LBB1_151:                              ;   in Loop: Header=BB1_143 Depth=1
	s_add_u32 s16, s4, 8
	s_addc_u32 s17, s5, 0
	s_cmp_gt_u32 s20, 7
	s_cbranch_scc1 .LBB1_155
; %bb.152:                              ;   in Loop: Header=BB1_143 Depth=1
	s_cmp_eq_u32 s20, 0
	s_cbranch_scc1 .LBB1_156
; %bb.153:                              ;   in Loop: Header=BB1_143 Depth=1
	v_mov_b32_e32 v14, 0
	s_mov_b64 s[16:17], 0
	v_mov_b32_e32 v15, 0
	s_mov_b64 s[18:19], 0
.LBB1_154:                              ;   Parent Loop BB1_143 Depth=1
                                        ; =>  This Inner Loop Header: Depth=2
	s_add_u32 s22, s4, s18
	s_addc_u32 s23, s5, s19
	global_load_ubyte v2, v3, s[22:23]
	s_add_u32 s18, s18, 1
	s_addc_u32 s19, s19, 0
	s_waitcnt vmcnt(0)
	v_and_b32_e32 v2, 0xffff, v2
	v_lshlrev_b64 v[10:11], s16, v[2:3]
	s_add_u32 s16, s16, 8
	s_addc_u32 s17, s17, 0
	v_or_b32_e32 v14, v10, v14
	s_cmp_lg_u32 s20, s18
	v_or_b32_e32 v15, v11, v15
	s_cbranch_scc1 .LBB1_154
	s_branch .LBB1_157
.LBB1_155:                              ;   in Loop: Header=BB1_143 Depth=1
                                        ; implicit-def: $vgpr14_vgpr15
	s_mov_b32 s21, 0
	s_branch .LBB1_158
.LBB1_156:                              ;   in Loop: Header=BB1_143 Depth=1
	v_mov_b32_e32 v14, 0
	v_mov_b32_e32 v15, 0
.LBB1_157:                              ;   in Loop: Header=BB1_143 Depth=1
	s_mov_b64 s[16:17], s[4:5]
	s_mov_b32 s21, 0
	s_cbranch_execnz .LBB1_159
.LBB1_158:                              ;   in Loop: Header=BB1_143 Depth=1
	global_load_dwordx2 v[14:15], v3, s[4:5]
	s_add_i32 s21, s20, -8
.LBB1_159:                              ;   in Loop: Header=BB1_143 Depth=1
	s_add_u32 s4, s16, 8
	s_addc_u32 s5, s17, 0
	s_cmp_gt_u32 s21, 7
	s_cbranch_scc1 .LBB1_163
; %bb.160:                              ;   in Loop: Header=BB1_143 Depth=1
	s_cmp_eq_u32 s21, 0
	s_cbranch_scc1 .LBB1_164
; %bb.161:                              ;   in Loop: Header=BB1_143 Depth=1
	v_mov_b32_e32 v16, 0
	s_mov_b64 s[4:5], 0
	v_mov_b32_e32 v17, 0
	s_mov_b64 s[18:19], 0
.LBB1_162:                              ;   Parent Loop BB1_143 Depth=1
                                        ; =>  This Inner Loop Header: Depth=2
	s_add_u32 s22, s16, s18
	s_addc_u32 s23, s17, s19
	global_load_ubyte v2, v3, s[22:23]
	s_add_u32 s18, s18, 1
	s_addc_u32 s19, s19, 0
	s_waitcnt vmcnt(0)
	v_and_b32_e32 v2, 0xffff, v2
	v_lshlrev_b64 v[10:11], s4, v[2:3]
	s_add_u32 s4, s4, 8
	s_addc_u32 s5, s5, 0
	v_or_b32_e32 v16, v10, v16
	s_cmp_lg_u32 s21, s18
	v_or_b32_e32 v17, v11, v17
	s_cbranch_scc1 .LBB1_162
	s_branch .LBB1_165
.LBB1_163:                              ;   in Loop: Header=BB1_143 Depth=1
	s_mov_b32 s20, 0
	s_branch .LBB1_166
.LBB1_164:                              ;   in Loop: Header=BB1_143 Depth=1
	v_mov_b32_e32 v16, 0
	v_mov_b32_e32 v17, 0
.LBB1_165:                              ;   in Loop: Header=BB1_143 Depth=1
	s_mov_b64 s[4:5], s[16:17]
	s_mov_b32 s20, 0
	s_cbranch_execnz .LBB1_167
.LBB1_166:                              ;   in Loop: Header=BB1_143 Depth=1
	global_load_dwordx2 v[16:17], v3, s[16:17]
	s_add_i32 s20, s21, -8
.LBB1_167:                              ;   in Loop: Header=BB1_143 Depth=1
	s_add_u32 s16, s4, 8
	s_addc_u32 s17, s5, 0
	s_cmp_gt_u32 s20, 7
	s_cbranch_scc1 .LBB1_171
; %bb.168:                              ;   in Loop: Header=BB1_143 Depth=1
	s_cmp_eq_u32 s20, 0
	s_cbranch_scc1 .LBB1_172
; %bb.169:                              ;   in Loop: Header=BB1_143 Depth=1
	v_mov_b32_e32 v18, 0
	s_mov_b64 s[16:17], 0
	v_mov_b32_e32 v19, 0
	s_mov_b64 s[18:19], 0
.LBB1_170:                              ;   Parent Loop BB1_143 Depth=1
                                        ; =>  This Inner Loop Header: Depth=2
	s_add_u32 s22, s4, s18
	s_addc_u32 s23, s5, s19
	global_load_ubyte v2, v3, s[22:23]
	s_add_u32 s18, s18, 1
	s_addc_u32 s19, s19, 0
	s_waitcnt vmcnt(0)
	v_and_b32_e32 v2, 0xffff, v2
	v_lshlrev_b64 v[10:11], s16, v[2:3]
	s_add_u32 s16, s16, 8
	s_addc_u32 s17, s17, 0
	v_or_b32_e32 v18, v10, v18
	s_cmp_lg_u32 s20, s18
	v_or_b32_e32 v19, v11, v19
	s_cbranch_scc1 .LBB1_170
	s_branch .LBB1_173
.LBB1_171:                              ;   in Loop: Header=BB1_143 Depth=1
                                        ; implicit-def: $vgpr18_vgpr19
	s_mov_b32 s21, 0
	s_branch .LBB1_174
.LBB1_172:                              ;   in Loop: Header=BB1_143 Depth=1
	v_mov_b32_e32 v18, 0
	v_mov_b32_e32 v19, 0
.LBB1_173:                              ;   in Loop: Header=BB1_143 Depth=1
	s_mov_b64 s[16:17], s[4:5]
	s_mov_b32 s21, 0
	s_cbranch_execnz .LBB1_175
.LBB1_174:                              ;   in Loop: Header=BB1_143 Depth=1
	global_load_dwordx2 v[18:19], v3, s[4:5]
	s_add_i32 s21, s20, -8
.LBB1_175:                              ;   in Loop: Header=BB1_143 Depth=1
	s_add_u32 s4, s16, 8
	s_addc_u32 s5, s17, 0
	s_cmp_gt_u32 s21, 7
	s_cbranch_scc1 .LBB1_179
; %bb.176:                              ;   in Loop: Header=BB1_143 Depth=1
	s_cmp_eq_u32 s21, 0
	s_cbranch_scc1 .LBB1_180
; %bb.177:                              ;   in Loop: Header=BB1_143 Depth=1
	v_mov_b32_e32 v20, 0
	s_mov_b64 s[4:5], 0
	v_mov_b32_e32 v21, 0
	s_mov_b64 s[18:19], 0
.LBB1_178:                              ;   Parent Loop BB1_143 Depth=1
                                        ; =>  This Inner Loop Header: Depth=2
	s_add_u32 s22, s16, s18
	s_addc_u32 s23, s17, s19
	global_load_ubyte v2, v3, s[22:23]
	s_add_u32 s18, s18, 1
	s_addc_u32 s19, s19, 0
	s_waitcnt vmcnt(0)
	v_and_b32_e32 v2, 0xffff, v2
	v_lshlrev_b64 v[10:11], s4, v[2:3]
	s_add_u32 s4, s4, 8
	s_addc_u32 s5, s5, 0
	v_or_b32_e32 v20, v10, v20
	s_cmp_lg_u32 s21, s18
	v_or_b32_e32 v21, v11, v21
	s_cbranch_scc1 .LBB1_178
	s_branch .LBB1_181
.LBB1_179:                              ;   in Loop: Header=BB1_143 Depth=1
	s_mov_b32 s20, 0
	s_branch .LBB1_182
.LBB1_180:                              ;   in Loop: Header=BB1_143 Depth=1
	v_mov_b32_e32 v20, 0
	v_mov_b32_e32 v21, 0
.LBB1_181:                              ;   in Loop: Header=BB1_143 Depth=1
	s_mov_b64 s[4:5], s[16:17]
	s_mov_b32 s20, 0
	s_cbranch_execnz .LBB1_183
.LBB1_182:                              ;   in Loop: Header=BB1_143 Depth=1
	global_load_dwordx2 v[20:21], v3, s[16:17]
	s_add_i32 s20, s21, -8
.LBB1_183:                              ;   in Loop: Header=BB1_143 Depth=1
	s_add_u32 s16, s4, 8
	s_addc_u32 s17, s5, 0
	s_cmp_gt_u32 s20, 7
	s_cbranch_scc1 .LBB1_187
; %bb.184:                              ;   in Loop: Header=BB1_143 Depth=1
	s_cmp_eq_u32 s20, 0
	s_cbranch_scc1 .LBB1_188
; %bb.185:                              ;   in Loop: Header=BB1_143 Depth=1
	v_mov_b32_e32 v22, 0
	s_mov_b64 s[16:17], 0
	v_mov_b32_e32 v23, 0
	s_mov_b64 s[18:19], 0
.LBB1_186:                              ;   Parent Loop BB1_143 Depth=1
                                        ; =>  This Inner Loop Header: Depth=2
	s_add_u32 s22, s4, s18
	s_addc_u32 s23, s5, s19
	global_load_ubyte v2, v3, s[22:23]
	s_add_u32 s18, s18, 1
	s_addc_u32 s19, s19, 0
	s_waitcnt vmcnt(0)
	v_and_b32_e32 v2, 0xffff, v2
	v_lshlrev_b64 v[10:11], s16, v[2:3]
	s_add_u32 s16, s16, 8
	s_addc_u32 s17, s17, 0
	v_or_b32_e32 v22, v10, v22
	s_cmp_lg_u32 s20, s18
	v_or_b32_e32 v23, v11, v23
	s_cbranch_scc1 .LBB1_186
	s_branch .LBB1_189
.LBB1_187:                              ;   in Loop: Header=BB1_143 Depth=1
                                        ; implicit-def: $vgpr22_vgpr23
	s_mov_b32 s21, 0
	s_branch .LBB1_190
.LBB1_188:                              ;   in Loop: Header=BB1_143 Depth=1
	v_mov_b32_e32 v22, 0
	v_mov_b32_e32 v23, 0
.LBB1_189:                              ;   in Loop: Header=BB1_143 Depth=1
	s_mov_b64 s[16:17], s[4:5]
	s_mov_b32 s21, 0
	s_cbranch_execnz .LBB1_191
.LBB1_190:                              ;   in Loop: Header=BB1_143 Depth=1
	global_load_dwordx2 v[22:23], v3, s[4:5]
	s_add_i32 s21, s20, -8
.LBB1_191:                              ;   in Loop: Header=BB1_143 Depth=1
	s_cmp_gt_u32 s21, 7
	s_cbranch_scc1 .LBB1_195
; %bb.192:                              ;   in Loop: Header=BB1_143 Depth=1
	s_cmp_eq_u32 s21, 0
	s_cbranch_scc1 .LBB1_196
; %bb.193:                              ;   in Loop: Header=BB1_143 Depth=1
	v_mov_b32_e32 v24, 0
	s_mov_b64 s[4:5], 0
	v_mov_b32_e32 v25, 0
	s_mov_b64 s[18:19], s[16:17]
.LBB1_194:                              ;   Parent Loop BB1_143 Depth=1
                                        ; =>  This Inner Loop Header: Depth=2
	global_load_ubyte v2, v3, s[18:19]
	s_add_i32 s21, s21, -1
	s_waitcnt vmcnt(0)
	v_and_b32_e32 v2, 0xffff, v2
	v_lshlrev_b64 v[10:11], s4, v[2:3]
	s_add_u32 s4, s4, 8
	s_addc_u32 s5, s5, 0
	s_add_u32 s18, s18, 1
	s_addc_u32 s19, s19, 0
	v_or_b32_e32 v24, v10, v24
	s_cmp_lg_u32 s21, 0
	v_or_b32_e32 v25, v11, v25
	s_cbranch_scc1 .LBB1_194
	s_branch .LBB1_197
.LBB1_195:                              ;   in Loop: Header=BB1_143 Depth=1
	s_branch .LBB1_198
.LBB1_196:                              ;   in Loop: Header=BB1_143 Depth=1
	v_mov_b32_e32 v24, 0
	v_mov_b32_e32 v25, 0
.LBB1_197:                              ;   in Loop: Header=BB1_143 Depth=1
	s_cbranch_execnz .LBB1_199
.LBB1_198:                              ;   in Loop: Header=BB1_143 Depth=1
	global_load_dwordx2 v[24:25], v3, s[16:17]
.LBB1_199:                              ;   in Loop: Header=BB1_143 Depth=1
	v_readfirstlane_b32 s4, v34
	v_mov_b32_e32 v10, 0
	v_mov_b32_e32 v11, 0
	v_cmp_eq_u32_e64 s[4:5], s4, v34
	s_and_saveexec_b64 s[16:17], s[4:5]
	s_cbranch_execz .LBB1_205
; %bb.200:                              ;   in Loop: Header=BB1_143 Depth=1
	global_load_dwordx2 v[28:29], v3, s[10:11] offset:24 glc
	s_waitcnt vmcnt(0)
	buffer_wbinvl1_vol
	global_load_dwordx2 v[10:11], v3, s[10:11] offset:40
	global_load_dwordx2 v[26:27], v3, s[10:11]
	s_waitcnt vmcnt(1)
	v_and_b32_e32 v2, v10, v28
	v_and_b32_e32 v10, v11, v29
	v_mul_lo_u32 v10, v10, 24
	v_mul_hi_u32 v11, v2, 24
	v_mul_lo_u32 v2, v2, 24
	v_add_u32_e32 v11, v11, v10
	s_waitcnt vmcnt(0)
	v_add_co_u32_e32 v10, vcc, v26, v2
	v_addc_co_u32_e32 v11, vcc, v27, v11, vcc
	global_load_dwordx2 v[26:27], v[10:11], off glc
	s_waitcnt vmcnt(0)
	global_atomic_cmpswap_x2 v[10:11], v3, v[26:29], s[10:11] offset:24 glc
	s_waitcnt vmcnt(0)
	buffer_wbinvl1_vol
	v_cmp_ne_u64_e32 vcc, v[10:11], v[28:29]
	s_and_saveexec_b64 s[18:19], vcc
	s_cbranch_execz .LBB1_204
; %bb.201:                              ;   in Loop: Header=BB1_143 Depth=1
	s_mov_b64 s[20:21], 0
.LBB1_202:                              ;   Parent Loop BB1_143 Depth=1
                                        ; =>  This Inner Loop Header: Depth=2
	s_sleep 1
	global_load_dwordx2 v[26:27], v3, s[10:11] offset:40
	global_load_dwordx2 v[30:31], v3, s[10:11]
	v_mov_b32_e32 v29, v11
	v_mov_b32_e32 v28, v10
	s_waitcnt vmcnt(1)
	v_and_b32_e32 v2, v26, v28
	s_waitcnt vmcnt(0)
	v_mad_u64_u32 v[10:11], s[22:23], v2, 24, v[30:31]
	v_and_b32_e32 v26, v27, v29
	v_mov_b32_e32 v2, v11
	v_mad_u64_u32 v[26:27], s[22:23], v26, 24, v[2:3]
	v_mov_b32_e32 v11, v26
	global_load_dwordx2 v[26:27], v[10:11], off glc
	s_waitcnt vmcnt(0)
	global_atomic_cmpswap_x2 v[10:11], v3, v[26:29], s[10:11] offset:24 glc
	s_waitcnt vmcnt(0)
	buffer_wbinvl1_vol
	v_cmp_eq_u64_e32 vcc, v[10:11], v[28:29]
	s_or_b64 s[20:21], vcc, s[20:21]
	s_andn2_b64 exec, exec, s[20:21]
	s_cbranch_execnz .LBB1_202
; %bb.203:                              ;   in Loop: Header=BB1_143 Depth=1
	s_or_b64 exec, exec, s[20:21]
.LBB1_204:                              ;   in Loop: Header=BB1_143 Depth=1
	s_or_b64 exec, exec, s[18:19]
.LBB1_205:                              ;   in Loop: Header=BB1_143 Depth=1
	s_or_b64 exec, exec, s[16:17]
	global_load_dwordx2 v[30:31], v3, s[10:11] offset:40
	global_load_dwordx4 v[26:29], v3, s[10:11]
	v_readfirstlane_b32 s17, v11
	v_readfirstlane_b32 s16, v10
	s_mov_b64 s[18:19], exec
	s_waitcnt vmcnt(1)
	v_readfirstlane_b32 s20, v30
	v_readfirstlane_b32 s21, v31
	s_and_b64 s[20:21], s[20:21], s[16:17]
	s_mul_i32 s22, s21, 24
	s_mul_hi_u32 s23, s20, 24
	s_mul_i32 s24, s20, 24
	s_add_i32 s22, s23, s22
	v_mov_b32_e32 v2, s22
	s_waitcnt vmcnt(0)
	v_add_co_u32_e32 v30, vcc, s24, v26
	v_addc_co_u32_e32 v31, vcc, v27, v2, vcc
	s_and_saveexec_b64 s[22:23], s[4:5]
	s_cbranch_execz .LBB1_207
; %bb.206:                              ;   in Loop: Header=BB1_143 Depth=1
	v_mov_b32_e32 v10, s18
	v_mov_b32_e32 v11, s19
	global_store_dwordx4 v[30:31], v[10:13], off offset:8
.LBB1_207:                              ;   in Loop: Header=BB1_143 Depth=1
	s_or_b64 exec, exec, s[22:23]
	s_lshl_b64 s[18:19], s[20:21], 12
	v_mov_b32_e32 v2, s19
	v_add_co_u32_e32 v28, vcc, s18, v28
	v_addc_co_u32_e32 v29, vcc, v29, v2, vcc
	v_cmp_lt_u64_e64 vcc, s[12:13], 57
	s_lshl_b32 s18, s14, 2
	v_cndmask_b32_e32 v2, 0, v32, vcc
	s_add_i32 s18, s18, 28
	v_and_b32_e32 v6, 0xffffff1f, v6
	s_and_b32 s18, s18, 0x1e0
	v_or_b32_e32 v2, v6, v2
	v_or_b32_e32 v6, s18, v2
	v_readfirstlane_b32 s18, v28
	v_readfirstlane_b32 s19, v29
	s_nop 4
	global_store_dwordx4 v35, v[6:9], s[18:19]
	global_store_dwordx4 v35, v[14:17], s[18:19] offset:16
	global_store_dwordx4 v35, v[18:21], s[18:19] offset:32
	;; [unrolled: 1-line block ×3, first 2 shown]
	s_and_saveexec_b64 s[18:19], s[4:5]
	s_cbranch_execz .LBB1_215
; %bb.208:                              ;   in Loop: Header=BB1_143 Depth=1
	global_load_dwordx2 v[16:17], v3, s[10:11] offset:32 glc
	global_load_dwordx2 v[6:7], v3, s[10:11] offset:40
	v_mov_b32_e32 v14, s16
	v_mov_b32_e32 v15, s17
	s_waitcnt vmcnt(0)
	v_readfirstlane_b32 s20, v6
	v_readfirstlane_b32 s21, v7
	s_and_b64 s[20:21], s[20:21], s[16:17]
	s_mul_i32 s21, s21, 24
	s_mul_hi_u32 s22, s20, 24
	s_mul_i32 s20, s20, 24
	s_add_i32 s21, s22, s21
	v_mov_b32_e32 v2, s21
	v_add_co_u32_e32 v10, vcc, s20, v26
	v_addc_co_u32_e32 v11, vcc, v27, v2, vcc
	global_store_dwordx2 v[10:11], v[16:17], off
	s_waitcnt vmcnt(0)
	global_atomic_cmpswap_x2 v[8:9], v3, v[14:17], s[10:11] offset:32 glc
	s_waitcnt vmcnt(0)
	v_cmp_ne_u64_e32 vcc, v[8:9], v[16:17]
	s_and_saveexec_b64 s[20:21], vcc
	s_cbranch_execz .LBB1_211
; %bb.209:                              ;   in Loop: Header=BB1_143 Depth=1
	s_mov_b64 s[22:23], 0
.LBB1_210:                              ;   Parent Loop BB1_143 Depth=1
                                        ; =>  This Inner Loop Header: Depth=2
	s_sleep 1
	global_store_dwordx2 v[10:11], v[8:9], off
	v_mov_b32_e32 v6, s16
	v_mov_b32_e32 v7, s17
	s_waitcnt vmcnt(0)
	global_atomic_cmpswap_x2 v[6:7], v3, v[6:9], s[10:11] offset:32 glc
	s_waitcnt vmcnt(0)
	v_cmp_eq_u64_e32 vcc, v[6:7], v[8:9]
	v_mov_b32_e32 v9, v7
	s_or_b64 s[22:23], vcc, s[22:23]
	v_mov_b32_e32 v8, v6
	s_andn2_b64 exec, exec, s[22:23]
	s_cbranch_execnz .LBB1_210
.LBB1_211:                              ;   in Loop: Header=BB1_143 Depth=1
	s_or_b64 exec, exec, s[20:21]
	global_load_dwordx2 v[6:7], v3, s[10:11] offset:16
	s_mov_b64 s[22:23], exec
	v_mbcnt_lo_u32_b32 v2, s22, 0
	v_mbcnt_hi_u32_b32 v2, s23, v2
	v_cmp_eq_u32_e32 vcc, 0, v2
	s_and_saveexec_b64 s[20:21], vcc
	s_cbranch_execz .LBB1_213
; %bb.212:                              ;   in Loop: Header=BB1_143 Depth=1
	s_bcnt1_i32_b64 s22, s[22:23]
	v_mov_b32_e32 v2, s22
	s_waitcnt vmcnt(0)
	global_atomic_add_x2 v[6:7], v[2:3], off offset:8
.LBB1_213:                              ;   in Loop: Header=BB1_143 Depth=1
	s_or_b64 exec, exec, s[20:21]
	s_waitcnt vmcnt(0)
	global_load_dwordx2 v[8:9], v[6:7], off offset:16
	s_waitcnt vmcnt(0)
	v_cmp_eq_u64_e32 vcc, 0, v[8:9]
	s_cbranch_vccnz .LBB1_215
; %bb.214:                              ;   in Loop: Header=BB1_143 Depth=1
	global_load_dword v2, v[6:7], off offset:24
	s_waitcnt vmcnt(0)
	v_readfirstlane_b32 s20, v2
	s_and_b32 m0, s20, 0xffffff
	global_store_dwordx2 v[8:9], v[2:3], off
	s_sendmsg sendmsg(MSG_INTERRUPT)
.LBB1_215:                              ;   in Loop: Header=BB1_143 Depth=1
	s_or_b64 exec, exec, s[18:19]
	v_add_co_u32_e32 v6, vcc, v28, v35
	v_addc_co_u32_e32 v7, vcc, 0, v29, vcc
	s_branch .LBB1_219
.LBB1_216:                              ;   in Loop: Header=BB1_219 Depth=2
	s_or_b64 exec, exec, s[18:19]
	v_readfirstlane_b32 s18, v2
	s_cmp_eq_u32 s18, 0
	s_cbranch_scc1 .LBB1_218
; %bb.217:                              ;   in Loop: Header=BB1_219 Depth=2
	s_sleep 1
	s_cbranch_execnz .LBB1_219
	s_branch .LBB1_221
.LBB1_218:                              ;   in Loop: Header=BB1_143 Depth=1
	s_branch .LBB1_221
.LBB1_219:                              ;   Parent Loop BB1_143 Depth=1
                                        ; =>  This Inner Loop Header: Depth=2
	v_mov_b32_e32 v2, 1
	s_and_saveexec_b64 s[18:19], s[4:5]
	s_cbranch_execz .LBB1_216
; %bb.220:                              ;   in Loop: Header=BB1_219 Depth=2
	global_load_dword v2, v[30:31], off offset:20 glc
	s_waitcnt vmcnt(0)
	buffer_wbinvl1_vol
	v_and_b32_e32 v2, 1, v2
	s_branch .LBB1_216
.LBB1_221:                              ;   in Loop: Header=BB1_143 Depth=1
	global_load_dwordx2 v[6:7], v[6:7], off
	s_and_saveexec_b64 s[18:19], s[4:5]
	s_cbranch_execz .LBB1_142
; %bb.222:                              ;   in Loop: Header=BB1_143 Depth=1
	global_load_dwordx2 v[8:9], v3, s[10:11] offset:40
	global_load_dwordx2 v[18:19], v3, s[10:11] offset:24 glc
	global_load_dwordx2 v[10:11], v3, s[10:11]
	s_waitcnt vmcnt(2)
	v_readfirstlane_b32 s20, v8
	v_readfirstlane_b32 s21, v9
	s_add_u32 s22, s20, 1
	s_addc_u32 s23, s21, 0
	s_add_u32 s4, s22, s16
	s_addc_u32 s5, s23, s17
	s_cmp_eq_u64 s[4:5], 0
	s_cselect_b32 s5, s23, s5
	s_cselect_b32 s4, s22, s4
	s_and_b64 s[16:17], s[4:5], s[20:21]
	s_mul_i32 s17, s17, 24
	s_mul_hi_u32 s20, s16, 24
	s_mul_i32 s16, s16, 24
	s_add_i32 s17, s20, s17
	v_mov_b32_e32 v2, s17
	s_waitcnt vmcnt(0)
	v_add_co_u32_e32 v14, vcc, s16, v10
	v_addc_co_u32_e32 v15, vcc, v11, v2, vcc
	v_mov_b32_e32 v16, s4
	global_store_dwordx2 v[14:15], v[18:19], off
	v_mov_b32_e32 v17, s5
	s_waitcnt vmcnt(0)
	global_atomic_cmpswap_x2 v[10:11], v3, v[16:19], s[10:11] offset:24 glc
	s_waitcnt vmcnt(0)
	v_cmp_ne_u64_e32 vcc, v[10:11], v[18:19]
	s_and_b64 exec, exec, vcc
	s_cbranch_execz .LBB1_142
; %bb.223:                              ;   in Loop: Header=BB1_143 Depth=1
	s_mov_b64 s[16:17], 0
.LBB1_224:                              ;   Parent Loop BB1_143 Depth=1
                                        ; =>  This Inner Loop Header: Depth=2
	s_sleep 1
	global_store_dwordx2 v[14:15], v[10:11], off
	v_mov_b32_e32 v8, s4
	v_mov_b32_e32 v9, s5
	s_waitcnt vmcnt(0)
	global_atomic_cmpswap_x2 v[8:9], v3, v[8:11], s[10:11] offset:24 glc
	s_waitcnt vmcnt(0)
	v_cmp_eq_u64_e32 vcc, v[8:9], v[10:11]
	v_mov_b32_e32 v11, v9
	s_or_b64 s[16:17], vcc, s[16:17]
	v_mov_b32_e32 v10, v8
	s_andn2_b64 exec, exec, s[16:17]
	s_cbranch_execnz .LBB1_224
	s_branch .LBB1_142
.LBB1_225:
                                        ; implicit-def: $vgpr6_vgpr7
	s_cbranch_execnz .LBB1_227
	s_branch .LBB1_253
.LBB1_226:
	s_branch .LBB1_253
.LBB1_227:
	v_readfirstlane_b32 s4, v34
	v_mov_b32_e32 v10, 0
	v_mov_b32_e32 v11, 0
	v_cmp_eq_u32_e64 s[4:5], s4, v34
	s_and_saveexec_b64 s[6:7], s[4:5]
	s_cbranch_execz .LBB1_233
; %bb.228:
	v_mov_b32_e32 v2, 0
	global_load_dwordx2 v[8:9], v2, s[10:11] offset:24 glc
	s_waitcnt vmcnt(0)
	buffer_wbinvl1_vol
	global_load_dwordx2 v[6:7], v2, s[10:11] offset:40
	global_load_dwordx2 v[10:11], v2, s[10:11]
	s_waitcnt vmcnt(1)
	v_and_b32_e32 v3, v6, v8
	v_and_b32_e32 v6, v7, v9
	v_mul_lo_u32 v6, v6, 24
	v_mul_hi_u32 v7, v3, 24
	v_mul_lo_u32 v3, v3, 24
	v_add_u32_e32 v7, v7, v6
	s_waitcnt vmcnt(0)
	v_add_co_u32_e32 v6, vcc, v10, v3
	v_addc_co_u32_e32 v7, vcc, v11, v7, vcc
	global_load_dwordx2 v[6:7], v[6:7], off glc
	s_waitcnt vmcnt(0)
	global_atomic_cmpswap_x2 v[10:11], v2, v[6:9], s[10:11] offset:24 glc
	s_waitcnt vmcnt(0)
	buffer_wbinvl1_vol
	v_cmp_ne_u64_e32 vcc, v[10:11], v[8:9]
	s_and_saveexec_b64 s[12:13], vcc
	s_cbranch_execz .LBB1_232
; %bb.229:
	s_mov_b64 s[14:15], 0
.LBB1_230:                              ; =>This Inner Loop Header: Depth=1
	s_sleep 1
	global_load_dwordx2 v[6:7], v2, s[10:11] offset:40
	global_load_dwordx2 v[12:13], v2, s[10:11]
	v_mov_b32_e32 v8, v10
	v_mov_b32_e32 v9, v11
	s_waitcnt vmcnt(1)
	v_and_b32_e32 v3, v6, v8
	s_waitcnt vmcnt(0)
	v_mad_u64_u32 v[10:11], s[16:17], v3, 24, v[12:13]
	v_and_b32_e32 v6, v7, v9
	v_mov_b32_e32 v3, v11
	v_mad_u64_u32 v[6:7], s[16:17], v6, 24, v[3:4]
	v_mov_b32_e32 v11, v6
	global_load_dwordx2 v[6:7], v[10:11], off glc
	s_waitcnt vmcnt(0)
	global_atomic_cmpswap_x2 v[10:11], v2, v[6:9], s[10:11] offset:24 glc
	s_waitcnt vmcnt(0)
	buffer_wbinvl1_vol
	v_cmp_eq_u64_e32 vcc, v[10:11], v[8:9]
	s_or_b64 s[14:15], vcc, s[14:15]
	s_andn2_b64 exec, exec, s[14:15]
	s_cbranch_execnz .LBB1_230
; %bb.231:
	s_or_b64 exec, exec, s[14:15]
.LBB1_232:
	s_or_b64 exec, exec, s[12:13]
.LBB1_233:
	s_or_b64 exec, exec, s[6:7]
	v_mov_b32_e32 v2, 0
	global_load_dwordx2 v[12:13], v2, s[10:11] offset:40
	global_load_dwordx4 v[6:9], v2, s[10:11]
	v_readfirstlane_b32 s7, v11
	v_readfirstlane_b32 s6, v10
	s_mov_b64 s[12:13], exec
	s_waitcnt vmcnt(1)
	v_readfirstlane_b32 s14, v12
	v_readfirstlane_b32 s15, v13
	s_and_b64 s[14:15], s[14:15], s[6:7]
	s_mul_i32 s16, s15, 24
	s_mul_hi_u32 s17, s14, 24
	s_mul_i32 s18, s14, 24
	s_add_i32 s16, s17, s16
	v_mov_b32_e32 v3, s16
	s_waitcnt vmcnt(0)
	v_add_co_u32_e32 v10, vcc, s18, v6
	v_addc_co_u32_e32 v11, vcc, v7, v3, vcc
	s_and_saveexec_b64 s[16:17], s[4:5]
	s_cbranch_execz .LBB1_235
; %bb.234:
	v_mov_b32_e32 v12, s12
	v_mov_b32_e32 v13, s13
	v_mov_b32_e32 v14, 2
	v_mov_b32_e32 v15, 1
	global_store_dwordx4 v[10:11], v[12:15], off offset:8
.LBB1_235:
	s_or_b64 exec, exec, s[16:17]
	s_lshl_b64 s[12:13], s[14:15], 12
	v_mov_b32_e32 v3, s13
	v_add_co_u32_e32 v12, vcc, s12, v8
	v_addc_co_u32_e32 v13, vcc, v9, v3, vcc
	s_movk_i32 s12, 0xff1f
	v_and_or_b32 v0, v0, s12, 32
	s_mov_b32 s12, 0
	v_mov_b32_e32 v3, v2
	v_readfirstlane_b32 s16, v12
	v_readfirstlane_b32 s17, v13
	v_add_co_u32_e32 v8, vcc, v12, v35
	s_mov_b32 s13, s12
	s_mov_b32 s14, s12
	;; [unrolled: 1-line block ×3, first 2 shown]
	s_nop 0
	global_store_dwordx4 v35, v[0:3], s[16:17]
	v_addc_co_u32_e32 v9, vcc, 0, v13, vcc
	v_mov_b32_e32 v0, s12
	v_mov_b32_e32 v1, s13
	;; [unrolled: 1-line block ×4, first 2 shown]
	global_store_dwordx4 v35, v[0:3], s[16:17] offset:16
	global_store_dwordx4 v35, v[0:3], s[16:17] offset:32
	;; [unrolled: 1-line block ×3, first 2 shown]
	s_and_saveexec_b64 s[12:13], s[4:5]
	s_cbranch_execz .LBB1_243
; %bb.236:
	v_mov_b32_e32 v12, 0
	global_load_dwordx2 v[15:16], v12, s[10:11] offset:32 glc
	global_load_dwordx2 v[0:1], v12, s[10:11] offset:40
	v_mov_b32_e32 v13, s6
	v_mov_b32_e32 v14, s7
	s_waitcnt vmcnt(0)
	v_readfirstlane_b32 s14, v0
	v_readfirstlane_b32 s15, v1
	s_and_b64 s[14:15], s[14:15], s[6:7]
	s_mul_i32 s15, s15, 24
	s_mul_hi_u32 s16, s14, 24
	s_mul_i32 s14, s14, 24
	s_add_i32 s15, s16, s15
	v_mov_b32_e32 v0, s15
	v_add_co_u32_e32 v6, vcc, s14, v6
	v_addc_co_u32_e32 v7, vcc, v7, v0, vcc
	global_store_dwordx2 v[6:7], v[15:16], off
	s_waitcnt vmcnt(0)
	global_atomic_cmpswap_x2 v[2:3], v12, v[13:16], s[10:11] offset:32 glc
	s_waitcnt vmcnt(0)
	v_cmp_ne_u64_e32 vcc, v[2:3], v[15:16]
	s_and_saveexec_b64 s[14:15], vcc
	s_cbranch_execz .LBB1_239
; %bb.237:
	s_mov_b64 s[16:17], 0
.LBB1_238:                              ; =>This Inner Loop Header: Depth=1
	s_sleep 1
	global_store_dwordx2 v[6:7], v[2:3], off
	v_mov_b32_e32 v0, s6
	v_mov_b32_e32 v1, s7
	s_waitcnt vmcnt(0)
	global_atomic_cmpswap_x2 v[0:1], v12, v[0:3], s[10:11] offset:32 glc
	s_waitcnt vmcnt(0)
	v_cmp_eq_u64_e32 vcc, v[0:1], v[2:3]
	v_mov_b32_e32 v3, v1
	s_or_b64 s[16:17], vcc, s[16:17]
	v_mov_b32_e32 v2, v0
	s_andn2_b64 exec, exec, s[16:17]
	s_cbranch_execnz .LBB1_238
.LBB1_239:
	s_or_b64 exec, exec, s[14:15]
	v_mov_b32_e32 v3, 0
	global_load_dwordx2 v[0:1], v3, s[10:11] offset:16
	s_mov_b64 s[14:15], exec
	v_mbcnt_lo_u32_b32 v2, s14, 0
	v_mbcnt_hi_u32_b32 v2, s15, v2
	v_cmp_eq_u32_e32 vcc, 0, v2
	s_and_saveexec_b64 s[16:17], vcc
	s_cbranch_execz .LBB1_241
; %bb.240:
	s_bcnt1_i32_b64 s14, s[14:15]
	v_mov_b32_e32 v2, s14
	s_waitcnt vmcnt(0)
	global_atomic_add_x2 v[0:1], v[2:3], off offset:8
.LBB1_241:
	s_or_b64 exec, exec, s[16:17]
	s_waitcnt vmcnt(0)
	global_load_dwordx2 v[2:3], v[0:1], off offset:16
	s_waitcnt vmcnt(0)
	v_cmp_eq_u64_e32 vcc, 0, v[2:3]
	s_cbranch_vccnz .LBB1_243
; %bb.242:
	global_load_dword v0, v[0:1], off offset:24
	v_mov_b32_e32 v1, 0
	s_waitcnt vmcnt(0)
	v_readfirstlane_b32 s14, v0
	s_and_b32 m0, s14, 0xffffff
	global_store_dwordx2 v[2:3], v[0:1], off
	s_sendmsg sendmsg(MSG_INTERRUPT)
.LBB1_243:
	s_or_b64 exec, exec, s[12:13]
	s_branch .LBB1_247
.LBB1_244:                              ;   in Loop: Header=BB1_247 Depth=1
	s_or_b64 exec, exec, s[12:13]
	v_readfirstlane_b32 s12, v0
	s_cmp_eq_u32 s12, 0
	s_cbranch_scc1 .LBB1_246
; %bb.245:                              ;   in Loop: Header=BB1_247 Depth=1
	s_sleep 1
	s_cbranch_execnz .LBB1_247
	s_branch .LBB1_249
.LBB1_246:
	s_branch .LBB1_249
.LBB1_247:                              ; =>This Inner Loop Header: Depth=1
	v_mov_b32_e32 v0, 1
	s_and_saveexec_b64 s[12:13], s[4:5]
	s_cbranch_execz .LBB1_244
; %bb.248:                              ;   in Loop: Header=BB1_247 Depth=1
	global_load_dword v0, v[10:11], off offset:20 glc
	s_waitcnt vmcnt(0)
	buffer_wbinvl1_vol
	v_and_b32_e32 v0, 1, v0
	s_branch .LBB1_244
.LBB1_249:
	global_load_dwordx2 v[6:7], v[8:9], off
	s_and_saveexec_b64 s[12:13], s[4:5]
	s_cbranch_execz .LBB1_252
; %bb.250:
	v_mov_b32_e32 v10, 0
	global_load_dwordx2 v[0:1], v10, s[10:11] offset:40
	global_load_dwordx2 v[13:14], v10, s[10:11] offset:24 glc
	global_load_dwordx2 v[2:3], v10, s[10:11]
	s_waitcnt vmcnt(2)
	v_readfirstlane_b32 s14, v0
	v_readfirstlane_b32 s15, v1
	s_add_u32 s16, s14, 1
	s_addc_u32 s17, s15, 0
	s_add_u32 s4, s16, s6
	s_addc_u32 s5, s17, s7
	s_cmp_eq_u64 s[4:5], 0
	s_cselect_b32 s5, s17, s5
	s_cselect_b32 s4, s16, s4
	s_and_b64 s[6:7], s[4:5], s[14:15]
	s_mul_i32 s7, s7, 24
	s_mul_hi_u32 s14, s6, 24
	s_mul_i32 s6, s6, 24
	s_add_i32 s7, s14, s7
	v_mov_b32_e32 v0, s7
	s_waitcnt vmcnt(0)
	v_add_co_u32_e32 v8, vcc, s6, v2
	v_addc_co_u32_e32 v9, vcc, v3, v0, vcc
	v_mov_b32_e32 v11, s4
	global_store_dwordx2 v[8:9], v[13:14], off
	v_mov_b32_e32 v12, s5
	s_waitcnt vmcnt(0)
	global_atomic_cmpswap_x2 v[2:3], v10, v[11:14], s[10:11] offset:24 glc
	s_mov_b64 s[6:7], 0
	s_waitcnt vmcnt(0)
	v_cmp_ne_u64_e32 vcc, v[2:3], v[13:14]
	s_and_b64 exec, exec, vcc
	s_cbranch_execz .LBB1_252
.LBB1_251:                              ; =>This Inner Loop Header: Depth=1
	s_sleep 1
	global_store_dwordx2 v[8:9], v[2:3], off
	v_mov_b32_e32 v0, s4
	v_mov_b32_e32 v1, s5
	s_waitcnt vmcnt(0)
	global_atomic_cmpswap_x2 v[0:1], v10, v[0:3], s[10:11] offset:24 glc
	s_waitcnt vmcnt(0)
	v_cmp_eq_u64_e32 vcc, v[0:1], v[2:3]
	v_mov_b32_e32 v3, v1
	s_or_b64 s[6:7], vcc, s[6:7]
	v_mov_b32_e32 v2, v0
	s_andn2_b64 exec, exec, s[6:7]
	s_cbranch_execnz .LBB1_251
.LBB1_252:
	s_or_b64 exec, exec, s[12:13]
.LBB1_253:
	v_readfirstlane_b32 s4, v34
	v_mov_b32_e32 v10, 0
	v_mov_b32_e32 v11, 0
	v_cmp_eq_u32_e64 s[4:5], s4, v34
	s_and_saveexec_b64 s[6:7], s[4:5]
	s_cbranch_execz .LBB1_259
; %bb.254:
	s_waitcnt vmcnt(0)
	v_mov_b32_e32 v0, 0
	global_load_dwordx2 v[12:13], v0, s[10:11] offset:24 glc
	s_waitcnt vmcnt(0)
	buffer_wbinvl1_vol
	global_load_dwordx2 v[1:2], v0, s[10:11] offset:40
	global_load_dwordx2 v[8:9], v0, s[10:11]
	s_waitcnt vmcnt(1)
	v_and_b32_e32 v1, v1, v12
	v_and_b32_e32 v2, v2, v13
	v_mul_lo_u32 v2, v2, 24
	v_mul_hi_u32 v3, v1, 24
	v_mul_lo_u32 v1, v1, 24
	v_add_u32_e32 v2, v3, v2
	s_waitcnt vmcnt(0)
	v_add_co_u32_e32 v1, vcc, v8, v1
	v_addc_co_u32_e32 v2, vcc, v9, v2, vcc
	global_load_dwordx2 v[10:11], v[1:2], off glc
	s_waitcnt vmcnt(0)
	global_atomic_cmpswap_x2 v[10:11], v0, v[10:13], s[10:11] offset:24 glc
	s_waitcnt vmcnt(0)
	buffer_wbinvl1_vol
	v_cmp_ne_u64_e32 vcc, v[10:11], v[12:13]
	s_and_saveexec_b64 s[12:13], vcc
	s_cbranch_execz .LBB1_258
; %bb.255:
	s_mov_b64 s[14:15], 0
.LBB1_256:                              ; =>This Inner Loop Header: Depth=1
	s_sleep 1
	global_load_dwordx2 v[1:2], v0, s[10:11] offset:40
	global_load_dwordx2 v[8:9], v0, s[10:11]
	v_mov_b32_e32 v13, v11
	v_mov_b32_e32 v12, v10
	s_waitcnt vmcnt(1)
	v_and_b32_e32 v1, v1, v12
	s_waitcnt vmcnt(0)
	v_mad_u64_u32 v[8:9], s[16:17], v1, 24, v[8:9]
	v_and_b32_e32 v2, v2, v13
	v_mov_b32_e32 v1, v9
	v_mad_u64_u32 v[1:2], s[16:17], v2, 24, v[1:2]
	v_mov_b32_e32 v9, v1
	global_load_dwordx2 v[10:11], v[8:9], off glc
	s_waitcnt vmcnt(0)
	global_atomic_cmpswap_x2 v[10:11], v0, v[10:13], s[10:11] offset:24 glc
	s_waitcnt vmcnt(0)
	buffer_wbinvl1_vol
	v_cmp_eq_u64_e32 vcc, v[10:11], v[12:13]
	s_or_b64 s[14:15], vcc, s[14:15]
	s_andn2_b64 exec, exec, s[14:15]
	s_cbranch_execnz .LBB1_256
; %bb.257:
	s_or_b64 exec, exec, s[14:15]
.LBB1_258:
	s_or_b64 exec, exec, s[12:13]
.LBB1_259:
	s_or_b64 exec, exec, s[6:7]
	v_mov_b32_e32 v9, 0
	global_load_dwordx2 v[12:13], v9, s[10:11] offset:40
	global_load_dwordx4 v[0:3], v9, s[10:11]
	v_readfirstlane_b32 s7, v11
	v_readfirstlane_b32 s6, v10
	s_mov_b64 s[12:13], exec
	s_waitcnt vmcnt(1)
	v_readfirstlane_b32 s14, v12
	v_readfirstlane_b32 s15, v13
	s_and_b64 s[14:15], s[14:15], s[6:7]
	s_mul_i32 s16, s15, 24
	s_mul_hi_u32 s17, s14, 24
	s_mul_i32 s18, s14, 24
	s_add_i32 s16, s17, s16
	v_mov_b32_e32 v8, s16
	s_waitcnt vmcnt(0)
	v_add_co_u32_e32 v10, vcc, s18, v0
	v_addc_co_u32_e32 v11, vcc, v1, v8, vcc
	s_and_saveexec_b64 s[16:17], s[4:5]
	s_cbranch_execz .LBB1_261
; %bb.260:
	v_mov_b32_e32 v12, s12
	v_mov_b32_e32 v13, s13
	v_mov_b32_e32 v14, 2
	v_mov_b32_e32 v15, 1
	global_store_dwordx4 v[10:11], v[12:15], off offset:8
.LBB1_261:
	s_or_b64 exec, exec, s[16:17]
	s_lshl_b64 s[12:13], s[14:15], 12
	v_mov_b32_e32 v8, s13
	v_add_co_u32_e32 v2, vcc, s12, v2
	v_addc_co_u32_e32 v3, vcc, v3, v8, vcc
	s_movk_i32 s12, 0xff1f
	v_and_or_b32 v6, v6, s12, 32
	s_mov_b32 s12, 0
	v_mov_b32_e32 v8, 0x331
	v_readfirstlane_b32 s16, v2
	v_readfirstlane_b32 s17, v3
	v_add_co_u32_e32 v12, vcc, v2, v35
	s_mov_b32 s13, s12
	s_mov_b32 s14, s12
	;; [unrolled: 1-line block ×3, first 2 shown]
	s_nop 0
	global_store_dwordx4 v35, v[6:9], s[16:17]
	v_addc_co_u32_e32 v13, vcc, 0, v3, vcc
	v_mov_b32_e32 v6, s12
	v_mov_b32_e32 v7, s13
	;; [unrolled: 1-line block ×4, first 2 shown]
	global_store_dwordx4 v35, v[6:9], s[16:17] offset:16
	global_store_dwordx4 v35, v[6:9], s[16:17] offset:32
	;; [unrolled: 1-line block ×3, first 2 shown]
	s_and_saveexec_b64 s[12:13], s[4:5]
	s_cbranch_execz .LBB1_269
; %bb.262:
	v_mov_b32_e32 v8, 0
	global_load_dwordx2 v[16:17], v8, s[10:11] offset:32 glc
	global_load_dwordx2 v[2:3], v8, s[10:11] offset:40
	v_mov_b32_e32 v14, s6
	v_mov_b32_e32 v15, s7
	s_waitcnt vmcnt(0)
	v_readfirstlane_b32 s14, v2
	v_readfirstlane_b32 s15, v3
	s_and_b64 s[14:15], s[14:15], s[6:7]
	s_mul_i32 s15, s15, 24
	s_mul_hi_u32 s16, s14, 24
	s_mul_i32 s14, s14, 24
	s_add_i32 s15, s16, s15
	v_mov_b32_e32 v2, s15
	v_add_co_u32_e32 v6, vcc, s14, v0
	v_addc_co_u32_e32 v7, vcc, v1, v2, vcc
	global_store_dwordx2 v[6:7], v[16:17], off
	s_waitcnt vmcnt(0)
	global_atomic_cmpswap_x2 v[2:3], v8, v[14:17], s[10:11] offset:32 glc
	s_waitcnt vmcnt(0)
	v_cmp_ne_u64_e32 vcc, v[2:3], v[16:17]
	s_and_saveexec_b64 s[14:15], vcc
	s_cbranch_execz .LBB1_265
; %bb.263:
	s_mov_b64 s[16:17], 0
.LBB1_264:                              ; =>This Inner Loop Header: Depth=1
	s_sleep 1
	global_store_dwordx2 v[6:7], v[2:3], off
	v_mov_b32_e32 v0, s6
	v_mov_b32_e32 v1, s7
	s_waitcnt vmcnt(0)
	global_atomic_cmpswap_x2 v[0:1], v8, v[0:3], s[10:11] offset:32 glc
	s_waitcnt vmcnt(0)
	v_cmp_eq_u64_e32 vcc, v[0:1], v[2:3]
	v_mov_b32_e32 v3, v1
	s_or_b64 s[16:17], vcc, s[16:17]
	v_mov_b32_e32 v2, v0
	s_andn2_b64 exec, exec, s[16:17]
	s_cbranch_execnz .LBB1_264
.LBB1_265:
	s_or_b64 exec, exec, s[14:15]
	v_mov_b32_e32 v3, 0
	global_load_dwordx2 v[0:1], v3, s[10:11] offset:16
	s_mov_b64 s[14:15], exec
	v_mbcnt_lo_u32_b32 v2, s14, 0
	v_mbcnt_hi_u32_b32 v2, s15, v2
	v_cmp_eq_u32_e32 vcc, 0, v2
	s_and_saveexec_b64 s[16:17], vcc
	s_cbranch_execz .LBB1_267
; %bb.266:
	s_bcnt1_i32_b64 s14, s[14:15]
	v_mov_b32_e32 v2, s14
	s_waitcnt vmcnt(0)
	global_atomic_add_x2 v[0:1], v[2:3], off offset:8
.LBB1_267:
	s_or_b64 exec, exec, s[16:17]
	s_waitcnt vmcnt(0)
	global_load_dwordx2 v[2:3], v[0:1], off offset:16
	s_waitcnt vmcnt(0)
	v_cmp_eq_u64_e32 vcc, 0, v[2:3]
	s_cbranch_vccnz .LBB1_269
; %bb.268:
	global_load_dword v0, v[0:1], off offset:24
	v_mov_b32_e32 v1, 0
	s_waitcnt vmcnt(0)
	v_readfirstlane_b32 s14, v0
	s_and_b32 m0, s14, 0xffffff
	global_store_dwordx2 v[2:3], v[0:1], off
	s_sendmsg sendmsg(MSG_INTERRUPT)
.LBB1_269:
	s_or_b64 exec, exec, s[12:13]
	s_branch .LBB1_273
.LBB1_270:                              ;   in Loop: Header=BB1_273 Depth=1
	s_or_b64 exec, exec, s[12:13]
	v_readfirstlane_b32 s12, v0
	s_cmp_eq_u32 s12, 0
	s_cbranch_scc1 .LBB1_272
; %bb.271:                              ;   in Loop: Header=BB1_273 Depth=1
	s_sleep 1
	s_cbranch_execnz .LBB1_273
	s_branch .LBB1_275
.LBB1_272:
	s_branch .LBB1_275
.LBB1_273:                              ; =>This Inner Loop Header: Depth=1
	v_mov_b32_e32 v0, 1
	s_and_saveexec_b64 s[12:13], s[4:5]
	s_cbranch_execz .LBB1_270
; %bb.274:                              ;   in Loop: Header=BB1_273 Depth=1
	global_load_dword v0, v[10:11], off offset:20 glc
	s_waitcnt vmcnt(0)
	buffer_wbinvl1_vol
	v_and_b32_e32 v0, 1, v0
	s_branch .LBB1_270
.LBB1_275:
	global_load_dwordx2 v[0:1], v[12:13], off
	s_and_saveexec_b64 s[12:13], s[4:5]
	s_cbranch_execz .LBB1_278
; %bb.276:
	v_mov_b32_e32 v10, 0
	global_load_dwordx2 v[2:3], v10, s[10:11] offset:40
	global_load_dwordx2 v[13:14], v10, s[10:11] offset:24 glc
	global_load_dwordx2 v[6:7], v10, s[10:11]
	s_waitcnt vmcnt(2)
	v_readfirstlane_b32 s14, v2
	v_readfirstlane_b32 s15, v3
	s_add_u32 s16, s14, 1
	s_addc_u32 s17, s15, 0
	s_add_u32 s4, s16, s6
	s_addc_u32 s5, s17, s7
	s_cmp_eq_u64 s[4:5], 0
	s_cselect_b32 s5, s17, s5
	s_cselect_b32 s4, s16, s4
	s_and_b64 s[6:7], s[4:5], s[14:15]
	s_mul_i32 s7, s7, 24
	s_mul_hi_u32 s14, s6, 24
	s_mul_i32 s6, s6, 24
	s_add_i32 s7, s14, s7
	v_mov_b32_e32 v3, s7
	s_waitcnt vmcnt(0)
	v_add_co_u32_e32 v2, vcc, s6, v6
	v_addc_co_u32_e32 v3, vcc, v7, v3, vcc
	v_mov_b32_e32 v11, s4
	global_store_dwordx2 v[2:3], v[13:14], off
	v_mov_b32_e32 v12, s5
	s_waitcnt vmcnt(0)
	global_atomic_cmpswap_x2 v[8:9], v10, v[11:14], s[10:11] offset:24 glc
	s_mov_b64 s[6:7], 0
	s_waitcnt vmcnt(0)
	v_cmp_ne_u64_e32 vcc, v[8:9], v[13:14]
	s_and_b64 exec, exec, vcc
	s_cbranch_execz .LBB1_278
.LBB1_277:                              ; =>This Inner Loop Header: Depth=1
	s_sleep 1
	global_store_dwordx2 v[2:3], v[8:9], off
	v_mov_b32_e32 v6, s4
	v_mov_b32_e32 v7, s5
	s_waitcnt vmcnt(0)
	global_atomic_cmpswap_x2 v[6:7], v10, v[6:9], s[10:11] offset:24 glc
	s_waitcnt vmcnt(0)
	v_cmp_eq_u64_e32 vcc, v[6:7], v[8:9]
	v_mov_b32_e32 v9, v7
	s_or_b64 s[6:7], vcc, s[6:7]
	v_mov_b32_e32 v8, v6
	s_andn2_b64 exec, exec, s[6:7]
	s_cbranch_execnz .LBB1_277
.LBB1_278:
	s_or_b64 exec, exec, s[12:13]
	v_mov_b32_e32 v7, v5
	s_mov_b64 s[4:5], 0
	v_mov_b32_e32 v6, v4
.LBB1_279:                              ; =>This Inner Loop Header: Depth=1
	global_load_ubyte v8, v[6:7], off
	v_add_co_u32_e32 v2, vcc, 1, v6
	v_addc_co_u32_e32 v3, vcc, 0, v7, vcc
	v_mov_b32_e32 v7, v3
	v_mov_b32_e32 v6, v2
	s_waitcnt vmcnt(0)
	v_cmp_eq_u16_e32 vcc, 0, v8
	s_or_b64 s[4:5], vcc, s[4:5]
	s_andn2_b64 exec, exec, s[4:5]
	s_cbranch_execnz .LBB1_279
; %bb.280:
	s_or_b64 exec, exec, s[4:5]
	v_cmp_ne_u64_e32 vcc, 0, v[4:5]
	s_mov_b64 s[12:13], 0
	s_and_saveexec_b64 s[4:5], vcc
	s_xor_b64 s[6:7], exec, s[4:5]
	s_cbranch_execz .LBB1_366
; %bb.281:
	v_sub_u32_e32 v26, v2, v4
	v_ashrrev_i32_e32 v27, 31, v26
	v_and_b32_e32 v36, 2, v0
	v_mov_b32_e32 v29, 0
	v_and_b32_e32 v0, -3, v0
	s_mov_b32 s22, 0
	s_movk_i32 s23, 0x1e0
	v_mov_b32_e32 v8, 2
	v_mov_b32_e32 v9, 1
	s_branch .LBB1_283
.LBB1_282:                              ;   in Loop: Header=BB1_283 Depth=1
	s_or_b64 exec, exec, s[16:17]
	v_sub_co_u32_e32 v26, vcc, v26, v30
	v_subb_co_u32_e32 v27, vcc, v27, v31, vcc
	v_cmp_eq_u64_e32 vcc, 0, v[26:27]
	s_or_b64 s[12:13], vcc, s[12:13]
	v_add_co_u32_e32 v4, vcc, v4, v30
	v_addc_co_u32_e32 v5, vcc, v5, v31, vcc
	s_andn2_b64 exec, exec, s[12:13]
	s_cbranch_execz .LBB1_365
.LBB1_283:                              ; =>This Loop Header: Depth=1
                                        ;     Child Loop BB1_286 Depth 2
                                        ;     Child Loop BB1_294 Depth 2
	;; [unrolled: 1-line block ×11, first 2 shown]
	v_cmp_gt_u64_e32 vcc, 56, v[26:27]
	v_add_co_u32_e64 v12, s[4:5], 8, v4
	v_cndmask_b32_e32 v31, 0, v27, vcc
	v_cndmask_b32_e32 v30, 56, v26, vcc
	v_cmp_gt_u64_e32 vcc, 8, v[26:27]
	v_addc_co_u32_e64 v13, s[4:5], 0, v5, s[4:5]
	s_and_saveexec_b64 s[4:5], vcc
	s_xor_b64 s[4:5], exec, s[4:5]
	s_cbranch_execz .LBB1_289
; %bb.284:                              ;   in Loop: Header=BB1_283 Depth=1
	v_mov_b32_e32 v2, 0
	v_cmp_ne_u64_e32 vcc, 0, v[26:27]
	v_mov_b32_e32 v3, 0
	s_and_saveexec_b64 s[14:15], vcc
	s_cbranch_execz .LBB1_288
; %bb.285:                              ;   in Loop: Header=BB1_283 Depth=1
	v_lshlrev_b64 v[6:7], 3, v[30:31]
	v_mov_b32_e32 v2, 0
	v_mov_b32_e32 v11, v5
	s_mov_b64 s[16:17], 0
	v_mov_b32_e32 v3, 0
	v_mov_b32_e32 v10, v4
	s_mov_b64 s[18:19], 0
.LBB1_286:                              ;   Parent Loop BB1_283 Depth=1
                                        ; =>  This Inner Loop Header: Depth=2
	global_load_ubyte v7, v[10:11], off
	v_mov_b32_e32 v13, s22
	v_add_co_u32_e32 v10, vcc, 1, v10
	v_addc_co_u32_e32 v11, vcc, 0, v11, vcc
	s_waitcnt vmcnt(0)
	v_and_b32_e32 v12, 0xffff, v7
	v_lshlrev_b64 v[12:13], s18, v[12:13]
	s_add_u32 s18, s18, 8
	s_addc_u32 s19, s19, 0
	v_cmp_eq_u32_e32 vcc, s18, v6
	v_or_b32_e32 v3, v13, v3
	s_or_b64 s[16:17], vcc, s[16:17]
	v_or_b32_e32 v2, v12, v2
	s_andn2_b64 exec, exec, s[16:17]
	s_cbranch_execnz .LBB1_286
; %bb.287:                              ;   in Loop: Header=BB1_283 Depth=1
	s_or_b64 exec, exec, s[16:17]
.LBB1_288:                              ;   in Loop: Header=BB1_283 Depth=1
	s_or_b64 exec, exec, s[14:15]
	v_mov_b32_e32 v13, v5
	v_mov_b32_e32 v12, v4
.LBB1_289:                              ;   in Loop: Header=BB1_283 Depth=1
	s_or_saveexec_b64 s[4:5], s[4:5]
	v_mov_b32_e32 v14, 0
	s_xor_b64 exec, exec, s[4:5]
	s_cbranch_execz .LBB1_291
; %bb.290:                              ;   in Loop: Header=BB1_283 Depth=1
	global_load_dwordx2 v[2:3], v[4:5], off
	v_add_u32_e32 v14, -8, v30
.LBB1_291:                              ;   in Loop: Header=BB1_283 Depth=1
	s_or_b64 exec, exec, s[4:5]
	v_add_co_u32_e64 v6, s[4:5], 8, v12
	v_cmp_gt_u32_e32 vcc, 8, v14
	v_addc_co_u32_e64 v7, s[4:5], 0, v13, s[4:5]
                                        ; implicit-def: $vgpr10_vgpr11
	s_and_saveexec_b64 s[4:5], vcc
	s_xor_b64 s[4:5], exec, s[4:5]
	s_cbranch_execz .LBB1_297
; %bb.292:                              ;   in Loop: Header=BB1_283 Depth=1
	v_mov_b32_e32 v10, 0
	v_mov_b32_e32 v11, 0
	v_cmp_ne_u32_e32 vcc, 0, v14
	s_and_saveexec_b64 s[14:15], vcc
	s_cbranch_execz .LBB1_296
; %bb.293:                              ;   in Loop: Header=BB1_283 Depth=1
	v_mov_b32_e32 v10, 0
	s_mov_b64 s[16:17], 0
	v_mov_b32_e32 v11, 0
	s_mov_b64 s[18:19], 0
	s_mov_b64 s[20:21], 0
.LBB1_294:                              ;   Parent Loop BB1_283 Depth=1
                                        ; =>  This Inner Loop Header: Depth=2
	v_mov_b32_e32 v7, s21
	v_add_co_u32_e32 v6, vcc, s20, v12
	v_addc_co_u32_e32 v7, vcc, v13, v7, vcc
	global_load_ubyte v6, v[6:7], off
	s_add_u32 s20, s20, 1
	v_mov_b32_e32 v7, s22
	s_addc_u32 s21, s21, 0
	v_cmp_eq_u32_e32 vcc, s20, v14
	s_waitcnt vmcnt(0)
	v_and_b32_e32 v6, 0xffff, v6
	v_lshlrev_b64 v[6:7], s18, v[6:7]
	s_add_u32 s18, s18, 8
	s_addc_u32 s19, s19, 0
	v_or_b32_e32 v11, v7, v11
	s_or_b64 s[16:17], vcc, s[16:17]
	v_or_b32_e32 v10, v6, v10
	s_andn2_b64 exec, exec, s[16:17]
	s_cbranch_execnz .LBB1_294
; %bb.295:                              ;   in Loop: Header=BB1_283 Depth=1
	s_or_b64 exec, exec, s[16:17]
.LBB1_296:                              ;   in Loop: Header=BB1_283 Depth=1
	s_or_b64 exec, exec, s[14:15]
	v_mov_b32_e32 v6, v12
	v_mov_b32_e32 v7, v13
                                        ; implicit-def: $vgpr14
.LBB1_297:                              ;   in Loop: Header=BB1_283 Depth=1
	s_or_saveexec_b64 s[4:5], s[4:5]
	v_mov_b32_e32 v15, 0
	s_xor_b64 exec, exec, s[4:5]
	s_cbranch_execz .LBB1_299
; %bb.298:                              ;   in Loop: Header=BB1_283 Depth=1
	global_load_dwordx2 v[10:11], v[12:13], off
	v_add_u32_e32 v15, -8, v14
.LBB1_299:                              ;   in Loop: Header=BB1_283 Depth=1
	s_or_b64 exec, exec, s[4:5]
	v_add_co_u32_e64 v16, s[4:5], 8, v6
	v_cmp_gt_u32_e32 vcc, 8, v15
	v_addc_co_u32_e64 v17, s[4:5], 0, v7, s[4:5]
	s_and_saveexec_b64 s[4:5], vcc
	s_xor_b64 s[4:5], exec, s[4:5]
	s_cbranch_execz .LBB1_305
; %bb.300:                              ;   in Loop: Header=BB1_283 Depth=1
	v_mov_b32_e32 v12, 0
	v_mov_b32_e32 v13, 0
	v_cmp_ne_u32_e32 vcc, 0, v15
	s_and_saveexec_b64 s[14:15], vcc
	s_cbranch_execz .LBB1_304
; %bb.301:                              ;   in Loop: Header=BB1_283 Depth=1
	v_mov_b32_e32 v12, 0
	s_mov_b64 s[16:17], 0
	v_mov_b32_e32 v13, 0
	s_mov_b64 s[18:19], 0
	s_mov_b64 s[20:21], 0
.LBB1_302:                              ;   Parent Loop BB1_283 Depth=1
                                        ; =>  This Inner Loop Header: Depth=2
	v_mov_b32_e32 v14, s21
	v_add_co_u32_e32 v16, vcc, s20, v6
	v_addc_co_u32_e32 v17, vcc, v7, v14, vcc
	global_load_ubyte v14, v[16:17], off
	s_add_u32 s20, s20, 1
	v_mov_b32_e32 v17, s22
	s_addc_u32 s21, s21, 0
	v_cmp_eq_u32_e32 vcc, s20, v15
	s_waitcnt vmcnt(0)
	v_and_b32_e32 v16, 0xffff, v14
	v_lshlrev_b64 v[16:17], s18, v[16:17]
	s_add_u32 s18, s18, 8
	s_addc_u32 s19, s19, 0
	v_or_b32_e32 v13, v17, v13
	s_or_b64 s[16:17], vcc, s[16:17]
	v_or_b32_e32 v12, v16, v12
	s_andn2_b64 exec, exec, s[16:17]
	s_cbranch_execnz .LBB1_302
; %bb.303:                              ;   in Loop: Header=BB1_283 Depth=1
	s_or_b64 exec, exec, s[16:17]
.LBB1_304:                              ;   in Loop: Header=BB1_283 Depth=1
	s_or_b64 exec, exec, s[14:15]
	v_mov_b32_e32 v17, v7
	v_mov_b32_e32 v16, v6
                                        ; implicit-def: $vgpr15
.LBB1_305:                              ;   in Loop: Header=BB1_283 Depth=1
	s_or_saveexec_b64 s[4:5], s[4:5]
	v_mov_b32_e32 v18, 0
	s_xor_b64 exec, exec, s[4:5]
	s_cbranch_execz .LBB1_307
; %bb.306:                              ;   in Loop: Header=BB1_283 Depth=1
	global_load_dwordx2 v[12:13], v[6:7], off
	v_add_u32_e32 v18, -8, v15
.LBB1_307:                              ;   in Loop: Header=BB1_283 Depth=1
	s_or_b64 exec, exec, s[4:5]
	v_add_co_u32_e64 v6, s[4:5], 8, v16
	v_cmp_gt_u32_e32 vcc, 8, v18
	v_addc_co_u32_e64 v7, s[4:5], 0, v17, s[4:5]
                                        ; implicit-def: $vgpr14_vgpr15
	s_and_saveexec_b64 s[4:5], vcc
	s_xor_b64 s[4:5], exec, s[4:5]
	s_cbranch_execz .LBB1_313
; %bb.308:                              ;   in Loop: Header=BB1_283 Depth=1
	v_mov_b32_e32 v14, 0
	v_mov_b32_e32 v15, 0
	v_cmp_ne_u32_e32 vcc, 0, v18
	s_and_saveexec_b64 s[14:15], vcc
	s_cbranch_execz .LBB1_312
; %bb.309:                              ;   in Loop: Header=BB1_283 Depth=1
	v_mov_b32_e32 v14, 0
	s_mov_b64 s[16:17], 0
	v_mov_b32_e32 v15, 0
	s_mov_b64 s[18:19], 0
	s_mov_b64 s[20:21], 0
.LBB1_310:                              ;   Parent Loop BB1_283 Depth=1
                                        ; =>  This Inner Loop Header: Depth=2
	v_mov_b32_e32 v7, s21
	v_add_co_u32_e32 v6, vcc, s20, v16
	v_addc_co_u32_e32 v7, vcc, v17, v7, vcc
	global_load_ubyte v6, v[6:7], off
	s_add_u32 s20, s20, 1
	v_mov_b32_e32 v7, s22
	s_addc_u32 s21, s21, 0
	v_cmp_eq_u32_e32 vcc, s20, v18
	s_waitcnt vmcnt(0)
	v_and_b32_e32 v6, 0xffff, v6
	v_lshlrev_b64 v[6:7], s18, v[6:7]
	s_add_u32 s18, s18, 8
	s_addc_u32 s19, s19, 0
	v_or_b32_e32 v15, v7, v15
	s_or_b64 s[16:17], vcc, s[16:17]
	v_or_b32_e32 v14, v6, v14
	s_andn2_b64 exec, exec, s[16:17]
	s_cbranch_execnz .LBB1_310
; %bb.311:                              ;   in Loop: Header=BB1_283 Depth=1
	s_or_b64 exec, exec, s[16:17]
.LBB1_312:                              ;   in Loop: Header=BB1_283 Depth=1
	s_or_b64 exec, exec, s[14:15]
	v_mov_b32_e32 v6, v16
	v_mov_b32_e32 v7, v17
                                        ; implicit-def: $vgpr18
.LBB1_313:                              ;   in Loop: Header=BB1_283 Depth=1
	s_or_saveexec_b64 s[4:5], s[4:5]
	v_mov_b32_e32 v19, 0
	s_xor_b64 exec, exec, s[4:5]
	s_cbranch_execz .LBB1_315
; %bb.314:                              ;   in Loop: Header=BB1_283 Depth=1
	global_load_dwordx2 v[14:15], v[16:17], off
	v_add_u32_e32 v19, -8, v18
.LBB1_315:                              ;   in Loop: Header=BB1_283 Depth=1
	s_or_b64 exec, exec, s[4:5]
	v_add_co_u32_e64 v20, s[4:5], 8, v6
	v_cmp_gt_u32_e32 vcc, 8, v19
	v_addc_co_u32_e64 v21, s[4:5], 0, v7, s[4:5]
	s_and_saveexec_b64 s[4:5], vcc
	s_xor_b64 s[4:5], exec, s[4:5]
	s_cbranch_execz .LBB1_321
; %bb.316:                              ;   in Loop: Header=BB1_283 Depth=1
	v_mov_b32_e32 v16, 0
	v_mov_b32_e32 v17, 0
	v_cmp_ne_u32_e32 vcc, 0, v19
	s_and_saveexec_b64 s[14:15], vcc
	s_cbranch_execz .LBB1_320
; %bb.317:                              ;   in Loop: Header=BB1_283 Depth=1
	v_mov_b32_e32 v16, 0
	s_mov_b64 s[16:17], 0
	v_mov_b32_e32 v17, 0
	s_mov_b64 s[18:19], 0
	s_mov_b64 s[20:21], 0
.LBB1_318:                              ;   Parent Loop BB1_283 Depth=1
                                        ; =>  This Inner Loop Header: Depth=2
	v_mov_b32_e32 v18, s21
	v_add_co_u32_e32 v20, vcc, s20, v6
	v_addc_co_u32_e32 v21, vcc, v7, v18, vcc
	global_load_ubyte v18, v[20:21], off
	s_add_u32 s20, s20, 1
	v_mov_b32_e32 v21, s22
	s_addc_u32 s21, s21, 0
	v_cmp_eq_u32_e32 vcc, s20, v19
	s_waitcnt vmcnt(0)
	v_and_b32_e32 v20, 0xffff, v18
	v_lshlrev_b64 v[20:21], s18, v[20:21]
	s_add_u32 s18, s18, 8
	s_addc_u32 s19, s19, 0
	v_or_b32_e32 v17, v21, v17
	s_or_b64 s[16:17], vcc, s[16:17]
	v_or_b32_e32 v16, v20, v16
	s_andn2_b64 exec, exec, s[16:17]
	s_cbranch_execnz .LBB1_318
; %bb.319:                              ;   in Loop: Header=BB1_283 Depth=1
	s_or_b64 exec, exec, s[16:17]
.LBB1_320:                              ;   in Loop: Header=BB1_283 Depth=1
	s_or_b64 exec, exec, s[14:15]
	v_mov_b32_e32 v21, v7
	v_mov_b32_e32 v20, v6
                                        ; implicit-def: $vgpr19
.LBB1_321:                              ;   in Loop: Header=BB1_283 Depth=1
	s_or_saveexec_b64 s[4:5], s[4:5]
	v_mov_b32_e32 v22, 0
	s_xor_b64 exec, exec, s[4:5]
	s_cbranch_execz .LBB1_323
; %bb.322:                              ;   in Loop: Header=BB1_283 Depth=1
	global_load_dwordx2 v[16:17], v[6:7], off
	v_add_u32_e32 v22, -8, v19
.LBB1_323:                              ;   in Loop: Header=BB1_283 Depth=1
	s_or_b64 exec, exec, s[4:5]
	v_add_co_u32_e64 v6, s[4:5], 8, v20
	v_cmp_gt_u32_e32 vcc, 8, v22
	v_addc_co_u32_e64 v7, s[4:5], 0, v21, s[4:5]
                                        ; implicit-def: $vgpr18_vgpr19
	s_and_saveexec_b64 s[4:5], vcc
	s_xor_b64 s[4:5], exec, s[4:5]
	s_cbranch_execz .LBB1_329
; %bb.324:                              ;   in Loop: Header=BB1_283 Depth=1
	v_mov_b32_e32 v18, 0
	v_mov_b32_e32 v19, 0
	v_cmp_ne_u32_e32 vcc, 0, v22
	s_and_saveexec_b64 s[14:15], vcc
	s_cbranch_execz .LBB1_328
; %bb.325:                              ;   in Loop: Header=BB1_283 Depth=1
	v_mov_b32_e32 v18, 0
	s_mov_b64 s[16:17], 0
	v_mov_b32_e32 v19, 0
	s_mov_b64 s[18:19], 0
	s_mov_b64 s[20:21], 0
.LBB1_326:                              ;   Parent Loop BB1_283 Depth=1
                                        ; =>  This Inner Loop Header: Depth=2
	v_mov_b32_e32 v7, s21
	v_add_co_u32_e32 v6, vcc, s20, v20
	v_addc_co_u32_e32 v7, vcc, v21, v7, vcc
	global_load_ubyte v6, v[6:7], off
	s_add_u32 s20, s20, 1
	v_mov_b32_e32 v7, s22
	s_addc_u32 s21, s21, 0
	v_cmp_eq_u32_e32 vcc, s20, v22
	s_waitcnt vmcnt(0)
	v_and_b32_e32 v6, 0xffff, v6
	v_lshlrev_b64 v[6:7], s18, v[6:7]
	s_add_u32 s18, s18, 8
	s_addc_u32 s19, s19, 0
	v_or_b32_e32 v19, v7, v19
	s_or_b64 s[16:17], vcc, s[16:17]
	v_or_b32_e32 v18, v6, v18
	s_andn2_b64 exec, exec, s[16:17]
	s_cbranch_execnz .LBB1_326
; %bb.327:                              ;   in Loop: Header=BB1_283 Depth=1
	s_or_b64 exec, exec, s[16:17]
.LBB1_328:                              ;   in Loop: Header=BB1_283 Depth=1
	s_or_b64 exec, exec, s[14:15]
	v_mov_b32_e32 v6, v20
	v_mov_b32_e32 v7, v21
                                        ; implicit-def: $vgpr22
.LBB1_329:                              ;   in Loop: Header=BB1_283 Depth=1
	s_or_saveexec_b64 s[4:5], s[4:5]
	v_mov_b32_e32 v23, 0
	s_xor_b64 exec, exec, s[4:5]
	s_cbranch_execz .LBB1_331
; %bb.330:                              ;   in Loop: Header=BB1_283 Depth=1
	global_load_dwordx2 v[18:19], v[20:21], off
	v_add_u32_e32 v23, -8, v22
.LBB1_331:                              ;   in Loop: Header=BB1_283 Depth=1
	s_or_b64 exec, exec, s[4:5]
	v_cmp_gt_u32_e32 vcc, 8, v23
	s_and_saveexec_b64 s[4:5], vcc
	s_xor_b64 s[4:5], exec, s[4:5]
	s_cbranch_execz .LBB1_337
; %bb.332:                              ;   in Loop: Header=BB1_283 Depth=1
	v_mov_b32_e32 v20, 0
	v_mov_b32_e32 v21, 0
	v_cmp_ne_u32_e32 vcc, 0, v23
	s_and_saveexec_b64 s[14:15], vcc
	s_cbranch_execz .LBB1_336
; %bb.333:                              ;   in Loop: Header=BB1_283 Depth=1
	v_mov_b32_e32 v20, 0
	s_mov_b64 s[16:17], 0
	v_mov_b32_e32 v21, 0
	s_mov_b64 s[18:19], 0
.LBB1_334:                              ;   Parent Loop BB1_283 Depth=1
                                        ; =>  This Inner Loop Header: Depth=2
	global_load_ubyte v22, v[6:7], off
	v_mov_b32_e32 v25, s22
	v_add_co_u32_e32 v6, vcc, 1, v6
	v_add_u32_e32 v23, -1, v23
	v_addc_co_u32_e32 v7, vcc, 0, v7, vcc
	v_cmp_eq_u32_e32 vcc, 0, v23
	s_waitcnt vmcnt(0)
	v_and_b32_e32 v24, 0xffff, v22
	v_lshlrev_b64 v[24:25], s18, v[24:25]
	s_add_u32 s18, s18, 8
	s_addc_u32 s19, s19, 0
	v_or_b32_e32 v21, v25, v21
	s_or_b64 s[16:17], vcc, s[16:17]
	v_or_b32_e32 v20, v24, v20
	s_andn2_b64 exec, exec, s[16:17]
	s_cbranch_execnz .LBB1_334
; %bb.335:                              ;   in Loop: Header=BB1_283 Depth=1
	s_or_b64 exec, exec, s[16:17]
.LBB1_336:                              ;   in Loop: Header=BB1_283 Depth=1
	s_or_b64 exec, exec, s[14:15]
                                        ; implicit-def: $vgpr6_vgpr7
.LBB1_337:                              ;   in Loop: Header=BB1_283 Depth=1
	s_andn2_saveexec_b64 s[4:5], s[4:5]
	s_cbranch_execz .LBB1_339
; %bb.338:                              ;   in Loop: Header=BB1_283 Depth=1
	global_load_dwordx2 v[20:21], v[6:7], off
.LBB1_339:                              ;   in Loop: Header=BB1_283 Depth=1
	s_or_b64 exec, exec, s[4:5]
	v_readfirstlane_b32 s4, v34
	v_mov_b32_e32 v6, 0
	v_mov_b32_e32 v7, 0
	v_cmp_eq_u32_e64 s[4:5], s4, v34
	s_and_saveexec_b64 s[14:15], s[4:5]
	s_cbranch_execz .LBB1_345
; %bb.340:                              ;   in Loop: Header=BB1_283 Depth=1
	global_load_dwordx2 v[24:25], v29, s[10:11] offset:24 glc
	s_waitcnt vmcnt(0)
	buffer_wbinvl1_vol
	global_load_dwordx2 v[6:7], v29, s[10:11] offset:40
	global_load_dwordx2 v[22:23], v29, s[10:11]
	s_waitcnt vmcnt(1)
	v_and_b32_e32 v6, v6, v24
	v_and_b32_e32 v7, v7, v25
	v_mul_lo_u32 v7, v7, 24
	v_mul_hi_u32 v28, v6, 24
	v_mul_lo_u32 v6, v6, 24
	v_add_u32_e32 v7, v28, v7
	s_waitcnt vmcnt(0)
	v_add_co_u32_e32 v6, vcc, v22, v6
	v_addc_co_u32_e32 v7, vcc, v23, v7, vcc
	global_load_dwordx2 v[22:23], v[6:7], off glc
	s_waitcnt vmcnt(0)
	global_atomic_cmpswap_x2 v[6:7], v29, v[22:25], s[10:11] offset:24 glc
	s_waitcnt vmcnt(0)
	buffer_wbinvl1_vol
	v_cmp_ne_u64_e32 vcc, v[6:7], v[24:25]
	s_and_saveexec_b64 s[16:17], vcc
	s_cbranch_execz .LBB1_344
; %bb.341:                              ;   in Loop: Header=BB1_283 Depth=1
	s_mov_b64 s[18:19], 0
.LBB1_342:                              ;   Parent Loop BB1_283 Depth=1
                                        ; =>  This Inner Loop Header: Depth=2
	s_sleep 1
	global_load_dwordx2 v[22:23], v29, s[10:11] offset:40
	global_load_dwordx2 v[32:33], v29, s[10:11]
	v_mov_b32_e32 v25, v7
	v_mov_b32_e32 v24, v6
	s_waitcnt vmcnt(1)
	v_and_b32_e32 v6, v22, v24
	s_waitcnt vmcnt(0)
	v_mad_u64_u32 v[6:7], s[20:21], v6, 24, v[32:33]
	v_and_b32_e32 v22, v23, v25
	v_mad_u64_u32 v[22:23], s[20:21], v22, 24, v[7:8]
	v_mov_b32_e32 v7, v22
	global_load_dwordx2 v[22:23], v[6:7], off glc
	s_waitcnt vmcnt(0)
	global_atomic_cmpswap_x2 v[6:7], v29, v[22:25], s[10:11] offset:24 glc
	s_waitcnt vmcnt(0)
	buffer_wbinvl1_vol
	v_cmp_eq_u64_e32 vcc, v[6:7], v[24:25]
	s_or_b64 s[18:19], vcc, s[18:19]
	s_andn2_b64 exec, exec, s[18:19]
	s_cbranch_execnz .LBB1_342
; %bb.343:                              ;   in Loop: Header=BB1_283 Depth=1
	s_or_b64 exec, exec, s[18:19]
.LBB1_344:                              ;   in Loop: Header=BB1_283 Depth=1
	s_or_b64 exec, exec, s[16:17]
.LBB1_345:                              ;   in Loop: Header=BB1_283 Depth=1
	s_or_b64 exec, exec, s[14:15]
	global_load_dwordx2 v[32:33], v29, s[10:11] offset:40
	global_load_dwordx4 v[22:25], v29, s[10:11]
	v_readfirstlane_b32 s15, v7
	v_readfirstlane_b32 s14, v6
	s_mov_b64 s[16:17], exec
	s_waitcnt vmcnt(1)
	v_readfirstlane_b32 s18, v32
	v_readfirstlane_b32 s19, v33
	s_and_b64 s[18:19], s[18:19], s[14:15]
	s_mul_i32 s20, s19, 24
	s_mul_hi_u32 s21, s18, 24
	s_mul_i32 s24, s18, 24
	s_add_i32 s20, s21, s20
	v_mov_b32_e32 v6, s20
	s_waitcnt vmcnt(0)
	v_add_co_u32_e32 v32, vcc, s24, v22
	v_addc_co_u32_e32 v33, vcc, v23, v6, vcc
	s_and_saveexec_b64 s[20:21], s[4:5]
	s_cbranch_execz .LBB1_347
; %bb.346:                              ;   in Loop: Header=BB1_283 Depth=1
	v_mov_b32_e32 v6, s16
	v_mov_b32_e32 v7, s17
	global_store_dwordx4 v[32:33], v[6:9], off offset:8
.LBB1_347:                              ;   in Loop: Header=BB1_283 Depth=1
	s_or_b64 exec, exec, s[20:21]
	s_lshl_b64 s[16:17], s[18:19], 12
	v_mov_b32_e32 v6, s17
	v_add_co_u32_e32 v24, vcc, s16, v24
	v_addc_co_u32_e32 v25, vcc, v25, v6, vcc
	v_cmp_gt_u64_e32 vcc, 57, v[26:27]
	v_and_b32_e32 v0, 0xffffff1f, v0
	v_cndmask_b32_e32 v6, 0, v36, vcc
	v_lshl_add_u32 v7, v30, 2, 28
	v_or_b32_e32 v0, v0, v6
	v_and_or_b32 v0, v7, s23, v0
	v_readfirstlane_b32 s16, v24
	v_readfirstlane_b32 s17, v25
	s_nop 4
	global_store_dwordx4 v35, v[0:3], s[16:17]
	global_store_dwordx4 v35, v[10:13], s[16:17] offset:16
	global_store_dwordx4 v35, v[14:17], s[16:17] offset:32
	;; [unrolled: 1-line block ×3, first 2 shown]
	s_and_saveexec_b64 s[16:17], s[4:5]
	s_cbranch_execz .LBB1_355
; %bb.348:                              ;   in Loop: Header=BB1_283 Depth=1
	global_load_dwordx2 v[12:13], v29, s[10:11] offset:32 glc
	global_load_dwordx2 v[0:1], v29, s[10:11] offset:40
	v_mov_b32_e32 v10, s14
	v_mov_b32_e32 v11, s15
	s_waitcnt vmcnt(0)
	v_readfirstlane_b32 s18, v0
	v_readfirstlane_b32 s19, v1
	s_and_b64 s[18:19], s[18:19], s[14:15]
	s_mul_i32 s19, s19, 24
	s_mul_hi_u32 s20, s18, 24
	s_mul_i32 s18, s18, 24
	s_add_i32 s19, s20, s19
	v_mov_b32_e32 v0, s19
	v_add_co_u32_e32 v6, vcc, s18, v22
	v_addc_co_u32_e32 v7, vcc, v23, v0, vcc
	global_store_dwordx2 v[6:7], v[12:13], off
	s_waitcnt vmcnt(0)
	global_atomic_cmpswap_x2 v[2:3], v29, v[10:13], s[10:11] offset:32 glc
	s_waitcnt vmcnt(0)
	v_cmp_ne_u64_e32 vcc, v[2:3], v[12:13]
	s_and_saveexec_b64 s[18:19], vcc
	s_cbranch_execz .LBB1_351
; %bb.349:                              ;   in Loop: Header=BB1_283 Depth=1
	s_mov_b64 s[20:21], 0
.LBB1_350:                              ;   Parent Loop BB1_283 Depth=1
                                        ; =>  This Inner Loop Header: Depth=2
	s_sleep 1
	global_store_dwordx2 v[6:7], v[2:3], off
	v_mov_b32_e32 v0, s14
	v_mov_b32_e32 v1, s15
	s_waitcnt vmcnt(0)
	global_atomic_cmpswap_x2 v[0:1], v29, v[0:3], s[10:11] offset:32 glc
	s_waitcnt vmcnt(0)
	v_cmp_eq_u64_e32 vcc, v[0:1], v[2:3]
	v_mov_b32_e32 v3, v1
	s_or_b64 s[20:21], vcc, s[20:21]
	v_mov_b32_e32 v2, v0
	s_andn2_b64 exec, exec, s[20:21]
	s_cbranch_execnz .LBB1_350
.LBB1_351:                              ;   in Loop: Header=BB1_283 Depth=1
	s_or_b64 exec, exec, s[18:19]
	global_load_dwordx2 v[0:1], v29, s[10:11] offset:16
	s_mov_b64 s[20:21], exec
	v_mbcnt_lo_u32_b32 v2, s20, 0
	v_mbcnt_hi_u32_b32 v2, s21, v2
	v_cmp_eq_u32_e32 vcc, 0, v2
	s_and_saveexec_b64 s[18:19], vcc
	s_cbranch_execz .LBB1_353
; %bb.352:                              ;   in Loop: Header=BB1_283 Depth=1
	s_bcnt1_i32_b64 s20, s[20:21]
	v_mov_b32_e32 v28, s20
	s_waitcnt vmcnt(0)
	global_atomic_add_x2 v[0:1], v[28:29], off offset:8
.LBB1_353:                              ;   in Loop: Header=BB1_283 Depth=1
	s_or_b64 exec, exec, s[18:19]
	s_waitcnt vmcnt(0)
	global_load_dwordx2 v[2:3], v[0:1], off offset:16
	s_waitcnt vmcnt(0)
	v_cmp_eq_u64_e32 vcc, 0, v[2:3]
	s_cbranch_vccnz .LBB1_355
; %bb.354:                              ;   in Loop: Header=BB1_283 Depth=1
	global_load_dword v28, v[0:1], off offset:24
	s_waitcnt vmcnt(0)
	v_readfirstlane_b32 s18, v28
	s_and_b32 m0, s18, 0xffffff
	global_store_dwordx2 v[2:3], v[28:29], off
	s_sendmsg sendmsg(MSG_INTERRUPT)
.LBB1_355:                              ;   in Loop: Header=BB1_283 Depth=1
	s_or_b64 exec, exec, s[16:17]
	v_add_co_u32_e32 v0, vcc, v24, v35
	v_addc_co_u32_e32 v1, vcc, 0, v25, vcc
	s_branch .LBB1_359
.LBB1_356:                              ;   in Loop: Header=BB1_359 Depth=2
	s_or_b64 exec, exec, s[16:17]
	v_readfirstlane_b32 s16, v2
	s_cmp_eq_u32 s16, 0
	s_cbranch_scc1 .LBB1_358
; %bb.357:                              ;   in Loop: Header=BB1_359 Depth=2
	s_sleep 1
	s_cbranch_execnz .LBB1_359
	s_branch .LBB1_361
.LBB1_358:                              ;   in Loop: Header=BB1_283 Depth=1
	s_branch .LBB1_361
.LBB1_359:                              ;   Parent Loop BB1_283 Depth=1
                                        ; =>  This Inner Loop Header: Depth=2
	v_mov_b32_e32 v2, 1
	s_and_saveexec_b64 s[16:17], s[4:5]
	s_cbranch_execz .LBB1_356
; %bb.360:                              ;   in Loop: Header=BB1_359 Depth=2
	global_load_dword v2, v[32:33], off offset:20 glc
	s_waitcnt vmcnt(0)
	buffer_wbinvl1_vol
	v_and_b32_e32 v2, 1, v2
	s_branch .LBB1_356
.LBB1_361:                              ;   in Loop: Header=BB1_283 Depth=1
	global_load_dwordx2 v[0:1], v[0:1], off
	s_and_saveexec_b64 s[16:17], s[4:5]
	s_cbranch_execz .LBB1_282
; %bb.362:                              ;   in Loop: Header=BB1_283 Depth=1
	global_load_dwordx2 v[2:3], v29, s[10:11] offset:40
	global_load_dwordx2 v[14:15], v29, s[10:11] offset:24 glc
	global_load_dwordx2 v[6:7], v29, s[10:11]
	s_waitcnt vmcnt(2)
	v_readfirstlane_b32 s18, v2
	v_readfirstlane_b32 s19, v3
	s_add_u32 s20, s18, 1
	s_addc_u32 s21, s19, 0
	s_add_u32 s4, s20, s14
	s_addc_u32 s5, s21, s15
	s_cmp_eq_u64 s[4:5], 0
	s_cselect_b32 s5, s21, s5
	s_cselect_b32 s4, s20, s4
	s_and_b64 s[14:15], s[4:5], s[18:19]
	s_mul_i32 s15, s15, 24
	s_mul_hi_u32 s18, s14, 24
	s_mul_i32 s14, s14, 24
	s_add_i32 s15, s18, s15
	v_mov_b32_e32 v3, s15
	s_waitcnt vmcnt(0)
	v_add_co_u32_e32 v2, vcc, s14, v6
	v_addc_co_u32_e32 v3, vcc, v7, v3, vcc
	v_mov_b32_e32 v12, s4
	global_store_dwordx2 v[2:3], v[14:15], off
	v_mov_b32_e32 v13, s5
	s_waitcnt vmcnt(0)
	global_atomic_cmpswap_x2 v[12:13], v29, v[12:15], s[10:11] offset:24 glc
	s_waitcnt vmcnt(0)
	v_cmp_ne_u64_e32 vcc, v[12:13], v[14:15]
	s_and_b64 exec, exec, vcc
	s_cbranch_execz .LBB1_282
; %bb.363:                              ;   in Loop: Header=BB1_283 Depth=1
	s_mov_b64 s[14:15], 0
.LBB1_364:                              ;   Parent Loop BB1_283 Depth=1
                                        ; =>  This Inner Loop Header: Depth=2
	s_sleep 1
	global_store_dwordx2 v[2:3], v[12:13], off
	v_mov_b32_e32 v10, s4
	v_mov_b32_e32 v11, s5
	s_waitcnt vmcnt(0)
	global_atomic_cmpswap_x2 v[6:7], v29, v[10:13], s[10:11] offset:24 glc
	s_waitcnt vmcnt(0)
	v_cmp_eq_u64_e32 vcc, v[6:7], v[12:13]
	v_mov_b32_e32 v13, v7
	s_or_b64 s[14:15], vcc, s[14:15]
	v_mov_b32_e32 v12, v6
	s_andn2_b64 exec, exec, s[14:15]
	s_cbranch_execnz .LBB1_364
	s_branch .LBB1_282
.LBB1_365:
	s_or_b64 exec, exec, s[12:13]
                                        ; implicit-def: $vgpr35
                                        ; implicit-def: $vgpr34
.LBB1_366:
	s_andn2_saveexec_b64 s[6:7], s[6:7]
	s_cbranch_execz .LBB1_393
; %bb.367:
	v_readfirstlane_b32 s4, v34
	v_mov_b32_e32 v8, 0
	v_mov_b32_e32 v9, 0
	v_cmp_eq_u32_e64 s[4:5], s4, v34
	s_and_saveexec_b64 s[12:13], s[4:5]
	s_cbranch_execz .LBB1_373
; %bb.368:
	v_mov_b32_e32 v2, 0
	global_load_dwordx2 v[5:6], v2, s[10:11] offset:24 glc
	s_waitcnt vmcnt(0)
	buffer_wbinvl1_vol
	global_load_dwordx2 v[3:4], v2, s[10:11] offset:40
	global_load_dwordx2 v[7:8], v2, s[10:11]
	s_waitcnt vmcnt(1)
	v_and_b32_e32 v3, v3, v5
	v_and_b32_e32 v4, v4, v6
	v_mul_lo_u32 v4, v4, 24
	v_mul_hi_u32 v9, v3, 24
	v_mul_lo_u32 v3, v3, 24
	v_add_u32_e32 v4, v9, v4
	s_waitcnt vmcnt(0)
	v_add_co_u32_e32 v3, vcc, v7, v3
	v_addc_co_u32_e32 v4, vcc, v8, v4, vcc
	global_load_dwordx2 v[3:4], v[3:4], off glc
	s_waitcnt vmcnt(0)
	global_atomic_cmpswap_x2 v[8:9], v2, v[3:6], s[10:11] offset:24 glc
	s_waitcnt vmcnt(0)
	buffer_wbinvl1_vol
	v_cmp_ne_u64_e32 vcc, v[8:9], v[5:6]
	s_and_saveexec_b64 s[14:15], vcc
	s_cbranch_execz .LBB1_372
; %bb.369:
	s_mov_b64 s[16:17], 0
.LBB1_370:                              ; =>This Inner Loop Header: Depth=1
	s_sleep 1
	global_load_dwordx2 v[3:4], v2, s[10:11] offset:40
	global_load_dwordx2 v[10:11], v2, s[10:11]
	v_mov_b32_e32 v5, v8
	v_mov_b32_e32 v6, v9
	s_waitcnt vmcnt(1)
	v_and_b32_e32 v3, v3, v5
	s_waitcnt vmcnt(0)
	v_mad_u64_u32 v[7:8], s[18:19], v3, 24, v[10:11]
	v_and_b32_e32 v4, v4, v6
	v_mov_b32_e32 v3, v8
	v_mad_u64_u32 v[3:4], s[18:19], v4, 24, v[3:4]
	v_mov_b32_e32 v8, v3
	global_load_dwordx2 v[3:4], v[7:8], off glc
	s_waitcnt vmcnt(0)
	global_atomic_cmpswap_x2 v[8:9], v2, v[3:6], s[10:11] offset:24 glc
	s_waitcnt vmcnt(0)
	buffer_wbinvl1_vol
	v_cmp_eq_u64_e32 vcc, v[8:9], v[5:6]
	s_or_b64 s[16:17], vcc, s[16:17]
	s_andn2_b64 exec, exec, s[16:17]
	s_cbranch_execnz .LBB1_370
; %bb.371:
	s_or_b64 exec, exec, s[16:17]
.LBB1_372:
	s_or_b64 exec, exec, s[14:15]
.LBB1_373:
	s_or_b64 exec, exec, s[12:13]
	v_mov_b32_e32 v2, 0
	global_load_dwordx2 v[10:11], v2, s[10:11] offset:40
	global_load_dwordx4 v[4:7], v2, s[10:11]
	v_readfirstlane_b32 s13, v9
	v_readfirstlane_b32 s12, v8
	s_mov_b64 s[14:15], exec
	s_waitcnt vmcnt(1)
	v_readfirstlane_b32 s16, v10
	v_readfirstlane_b32 s17, v11
	s_and_b64 s[16:17], s[16:17], s[12:13]
	s_mul_i32 s18, s17, 24
	s_mul_hi_u32 s19, s16, 24
	s_mul_i32 s20, s16, 24
	s_add_i32 s18, s19, s18
	v_mov_b32_e32 v3, s18
	s_waitcnt vmcnt(0)
	v_add_co_u32_e32 v8, vcc, s20, v4
	v_addc_co_u32_e32 v9, vcc, v5, v3, vcc
	s_and_saveexec_b64 s[18:19], s[4:5]
	s_cbranch_execz .LBB1_375
; %bb.374:
	v_mov_b32_e32 v10, s14
	v_mov_b32_e32 v11, s15
	;; [unrolled: 1-line block ×4, first 2 shown]
	global_store_dwordx4 v[8:9], v[10:13], off offset:8
.LBB1_375:
	s_or_b64 exec, exec, s[18:19]
	s_lshl_b64 s[14:15], s[16:17], 12
	v_mov_b32_e32 v3, s15
	v_add_co_u32_e32 v10, vcc, s14, v6
	v_addc_co_u32_e32 v11, vcc, v7, v3, vcc
	s_movk_i32 s14, 0xff1f
	v_and_or_b32 v0, v0, s14, 32
	s_mov_b32 s16, 0
	v_mov_b32_e32 v3, v2
	v_readfirstlane_b32 s14, v10
	v_readfirstlane_b32 s15, v11
	v_add_co_u32_e32 v6, vcc, v10, v35
	s_mov_b32 s17, s16
	s_mov_b32 s18, s16
	s_mov_b32 s19, s16
	s_nop 0
	global_store_dwordx4 v35, v[0:3], s[14:15]
	v_addc_co_u32_e32 v7, vcc, 0, v11, vcc
	v_mov_b32_e32 v0, s16
	v_mov_b32_e32 v1, s17
	;; [unrolled: 1-line block ×4, first 2 shown]
	global_store_dwordx4 v35, v[0:3], s[14:15] offset:16
	global_store_dwordx4 v35, v[0:3], s[14:15] offset:32
	;; [unrolled: 1-line block ×3, first 2 shown]
	s_and_saveexec_b64 s[14:15], s[4:5]
	s_cbranch_execz .LBB1_383
; %bb.376:
	v_mov_b32_e32 v10, 0
	global_load_dwordx2 v[13:14], v10, s[10:11] offset:32 glc
	global_load_dwordx2 v[0:1], v10, s[10:11] offset:40
	v_mov_b32_e32 v11, s12
	v_mov_b32_e32 v12, s13
	s_waitcnt vmcnt(0)
	v_readfirstlane_b32 s16, v0
	v_readfirstlane_b32 s17, v1
	s_and_b64 s[16:17], s[16:17], s[12:13]
	s_mul_i32 s17, s17, 24
	s_mul_hi_u32 s18, s16, 24
	s_mul_i32 s16, s16, 24
	s_add_i32 s17, s18, s17
	v_mov_b32_e32 v0, s17
	v_add_co_u32_e32 v4, vcc, s16, v4
	v_addc_co_u32_e32 v5, vcc, v5, v0, vcc
	global_store_dwordx2 v[4:5], v[13:14], off
	s_waitcnt vmcnt(0)
	global_atomic_cmpswap_x2 v[2:3], v10, v[11:14], s[10:11] offset:32 glc
	s_waitcnt vmcnt(0)
	v_cmp_ne_u64_e32 vcc, v[2:3], v[13:14]
	s_and_saveexec_b64 s[16:17], vcc
	s_cbranch_execz .LBB1_379
; %bb.377:
	s_mov_b64 s[18:19], 0
.LBB1_378:                              ; =>This Inner Loop Header: Depth=1
	s_sleep 1
	global_store_dwordx2 v[4:5], v[2:3], off
	v_mov_b32_e32 v0, s12
	v_mov_b32_e32 v1, s13
	s_waitcnt vmcnt(0)
	global_atomic_cmpswap_x2 v[0:1], v10, v[0:3], s[10:11] offset:32 glc
	s_waitcnt vmcnt(0)
	v_cmp_eq_u64_e32 vcc, v[0:1], v[2:3]
	v_mov_b32_e32 v3, v1
	s_or_b64 s[18:19], vcc, s[18:19]
	v_mov_b32_e32 v2, v0
	s_andn2_b64 exec, exec, s[18:19]
	s_cbranch_execnz .LBB1_378
.LBB1_379:
	s_or_b64 exec, exec, s[16:17]
	v_mov_b32_e32 v3, 0
	global_load_dwordx2 v[0:1], v3, s[10:11] offset:16
	s_mov_b64 s[16:17], exec
	v_mbcnt_lo_u32_b32 v2, s16, 0
	v_mbcnt_hi_u32_b32 v2, s17, v2
	v_cmp_eq_u32_e32 vcc, 0, v2
	s_and_saveexec_b64 s[18:19], vcc
	s_cbranch_execz .LBB1_381
; %bb.380:
	s_bcnt1_i32_b64 s16, s[16:17]
	v_mov_b32_e32 v2, s16
	s_waitcnt vmcnt(0)
	global_atomic_add_x2 v[0:1], v[2:3], off offset:8
.LBB1_381:
	s_or_b64 exec, exec, s[18:19]
	s_waitcnt vmcnt(0)
	global_load_dwordx2 v[2:3], v[0:1], off offset:16
	s_waitcnt vmcnt(0)
	v_cmp_eq_u64_e32 vcc, 0, v[2:3]
	s_cbranch_vccnz .LBB1_383
; %bb.382:
	global_load_dword v0, v[0:1], off offset:24
	v_mov_b32_e32 v1, 0
	s_waitcnt vmcnt(0)
	v_readfirstlane_b32 s16, v0
	s_and_b32 m0, s16, 0xffffff
	global_store_dwordx2 v[2:3], v[0:1], off
	s_sendmsg sendmsg(MSG_INTERRUPT)
.LBB1_383:
	s_or_b64 exec, exec, s[14:15]
	s_branch .LBB1_387
.LBB1_384:                              ;   in Loop: Header=BB1_387 Depth=1
	s_or_b64 exec, exec, s[14:15]
	v_readfirstlane_b32 s14, v0
	s_cmp_eq_u32 s14, 0
	s_cbranch_scc1 .LBB1_386
; %bb.385:                              ;   in Loop: Header=BB1_387 Depth=1
	s_sleep 1
	s_cbranch_execnz .LBB1_387
	s_branch .LBB1_389
.LBB1_386:
	s_branch .LBB1_389
.LBB1_387:                              ; =>This Inner Loop Header: Depth=1
	v_mov_b32_e32 v0, 1
	s_and_saveexec_b64 s[14:15], s[4:5]
	s_cbranch_execz .LBB1_384
; %bb.388:                              ;   in Loop: Header=BB1_387 Depth=1
	global_load_dword v0, v[8:9], off offset:20 glc
	s_waitcnt vmcnt(0)
	buffer_wbinvl1_vol
	v_and_b32_e32 v0, 1, v0
	s_branch .LBB1_384
.LBB1_389:
	global_load_dwordx2 v[0:1], v[6:7], off
	s_and_saveexec_b64 s[14:15], s[4:5]
	s_cbranch_execz .LBB1_392
; %bb.390:
	v_mov_b32_e32 v8, 0
	global_load_dwordx2 v[2:3], v8, s[10:11] offset:40
	global_load_dwordx2 v[11:12], v8, s[10:11] offset:24 glc
	global_load_dwordx2 v[4:5], v8, s[10:11]
	s_waitcnt vmcnt(2)
	v_readfirstlane_b32 s16, v2
	v_readfirstlane_b32 s17, v3
	s_add_u32 s18, s16, 1
	s_addc_u32 s19, s17, 0
	s_add_u32 s4, s18, s12
	s_addc_u32 s5, s19, s13
	s_cmp_eq_u64 s[4:5], 0
	s_cselect_b32 s5, s19, s5
	s_cselect_b32 s4, s18, s4
	s_and_b64 s[12:13], s[4:5], s[16:17]
	s_mul_i32 s13, s13, 24
	s_mul_hi_u32 s16, s12, 24
	s_mul_i32 s12, s12, 24
	s_add_i32 s13, s16, s13
	v_mov_b32_e32 v2, s13
	s_waitcnt vmcnt(0)
	v_add_co_u32_e32 v6, vcc, s12, v4
	v_addc_co_u32_e32 v7, vcc, v5, v2, vcc
	v_mov_b32_e32 v9, s4
	global_store_dwordx2 v[6:7], v[11:12], off
	v_mov_b32_e32 v10, s5
	s_waitcnt vmcnt(0)
	global_atomic_cmpswap_x2 v[4:5], v8, v[9:12], s[10:11] offset:24 glc
	s_mov_b64 s[12:13], 0
	s_waitcnt vmcnt(0)
	v_cmp_ne_u64_e32 vcc, v[4:5], v[11:12]
	s_and_b64 exec, exec, vcc
	s_cbranch_execz .LBB1_392
.LBB1_391:                              ; =>This Inner Loop Header: Depth=1
	s_sleep 1
	global_store_dwordx2 v[6:7], v[4:5], off
	v_mov_b32_e32 v2, s4
	v_mov_b32_e32 v3, s5
	s_waitcnt vmcnt(0)
	global_atomic_cmpswap_x2 v[2:3], v8, v[2:5], s[10:11] offset:24 glc
	s_waitcnt vmcnt(0)
	v_cmp_eq_u64_e32 vcc, v[2:3], v[4:5]
	v_mov_b32_e32 v5, v3
	s_or_b64 s[12:13], vcc, s[12:13]
	v_mov_b32_e32 v4, v2
	s_andn2_b64 exec, exec, s[12:13]
	s_cbranch_execnz .LBB1_391
.LBB1_392:
	s_or_b64 exec, exec, s[14:15]
.LBB1_393:
	s_or_b64 exec, exec, s[6:7]
	s_getpc_b64 s[4:5]
	s_add_u32 s4, s4, .str.3@rel32@lo+4
	s_addc_u32 s5, s5, .str.3@rel32@hi+12
	s_getpc_b64 s[6:7]
	s_add_u32 s6, s6, .str.3@rel32@lo+32
	s_addc_u32 s7, s7, .str.3@rel32@hi+40
	s_sub_i32 s10, s6, s4
	s_ashr_i32 s11, s10, 31
	s_getpc_b64 s[6:7]
	s_add_u32 s6, s6, __ockl_fprintf_append_string_n@rel32@lo+4
	s_addc_u32 s7, s7, __ockl_fprintf_append_string_n@rel32@hi+12
	v_mov_b32_e32 v2, s4
	v_mov_b32_e32 v3, s5
	;; [unrolled: 1-line block ×5, first 2 shown]
	s_swappc_b64 s[30:31], s[6:7]
	s_trap 2
.Lfunc_end1:
	.size	__assert_fail, .Lfunc_end1-__assert_fail
                                        ; -- End function
	.set .L__assert_fail.num_vgpr, max(41, .L__ockl_fprintf_append_string_n.num_vgpr)
	.set .L__assert_fail.num_agpr, max(0, .L__ockl_fprintf_append_string_n.num_agpr)
	.set .L__assert_fail.numbered_sgpr, max(34, .L__ockl_fprintf_append_string_n.numbered_sgpr)
	.set .L__assert_fail.num_named_barrier, max(0, .L__ockl_fprintf_append_string_n.num_named_barrier)
	.set .L__assert_fail.private_seg_size, 64+max(.L__ockl_fprintf_append_string_n.private_seg_size)
	.set .L__assert_fail.uses_vcc, or(1, .L__ockl_fprintf_append_string_n.uses_vcc)
	.set .L__assert_fail.uses_flat_scratch, or(0, .L__ockl_fprintf_append_string_n.uses_flat_scratch)
	.set .L__assert_fail.has_dyn_sized_stack, or(0, .L__ockl_fprintf_append_string_n.has_dyn_sized_stack)
	.set .L__assert_fail.has_recursion, or(0, .L__ockl_fprintf_append_string_n.has_recursion)
	.set .L__assert_fail.has_indirect_call, or(0, .L__ockl_fprintf_append_string_n.has_indirect_call)
	.section	.AMDGPU.csdata,"",@progbits
; Function info:
; codeLenInByte = 13844
; TotalNumSgprs: 38
; NumVgprs: 41
; ScratchSize: 64
; MemoryBound: 0
	.text
	.p2align	2                               ; -- Begin function _ZN12_GLOBAL__N_17runRingI14__hip_fp8_e5m213FuncPreMulSumIS1_E11ProtoSimpleILi2ELi2ELi0ELi1ELi0ELi0EELi0ELi0ELi1ELi0EEEviiP15ncclDevWorkColl
	.type	_ZN12_GLOBAL__N_17runRingI14__hip_fp8_e5m213FuncPreMulSumIS1_E11ProtoSimpleILi2ELi2ELi0ELi1ELi0ELi0EELi0ELi0ELi1ELi0EEEviiP15ncclDevWorkColl,@function
_ZN12_GLOBAL__N_17runRingI14__hip_fp8_e5m213FuncPreMulSumIS1_E11ProtoSimpleILi2ELi2ELi0ELi1ELi0ELi0EELi0ELi0ELi1ELi0EEEviiP15ncclDevWorkColl: ; @_ZN12_GLOBAL__N_17runRingI14__hip_fp8_e5m213FuncPreMulSumIS1_E11ProtoSimpleILi2ELi2ELi0ELi1ELi0ELi0EELi0ELi0ELi1ELi0EEEviiP15ncclDevWorkColl
; %bb.0:
	s_waitcnt vmcnt(0) expcnt(0) lgkmcnt(0)
	s_mov_b32 s4, s33
	s_mov_b32 s33, s32
	s_or_saveexec_b64 s[6:7], -1
	buffer_store_dword v63, off, s[0:3], s33 offset:344 ; 4-byte Folded Spill
	buffer_store_dword v62, off, s[0:3], s33 offset:348 ; 4-byte Folded Spill
	s_mov_b64 exec, s[6:7]
	v_writelane_b32 v63, s4, 34
	s_addk_i32 s32, 0x5c00
	buffer_store_dword v40, off, s[0:3], s33 offset:52 ; 4-byte Folded Spill
	buffer_store_dword v41, off, s[0:3], s33 offset:48 ; 4-byte Folded Spill
	;; [unrolled: 1-line block ×13, first 2 shown]
	buffer_store_dword v61, off, s[0:3], s33 ; 4-byte Folded Spill
	v_writelane_b32 v63, s34, 0
	v_writelane_b32 v63, s35, 1
	;; [unrolled: 1-line block ×34, first 2 shown]
	v_mov_b32_e32 v18, v1
	buffer_store_dword v0, off, s[0:3], s33 offset:140 ; 4-byte Folded Spill
	s_trap 2
	flat_load_dword v1, v[2:3]
	ds_read_b32 v6, v0
	s_mov_b64 s[28:29], s[8:9]
                                        ; implicit-def: $vgpr7_vgpr8
                                        ; implicit-def: $vgpr4_vgpr5
                                        ; kill: killed $vgpr7_vgpr8
                                        ; implicit-def: $vgpr8_vgpr9
	s_waitcnt lgkmcnt(0)
	v_readfirstlane_b32 s66, v6
	s_waitcnt vmcnt(0)
	v_cmp_ne_u32_sdwa s[4:5], v6, v1 src0_sel:DWORD src1_sel:BYTE_0
	s_and_saveexec_b64 s[6:7], s[4:5]
	s_xor_b64 s[4:5], exec, s[6:7]
	s_cbranch_execz .LBB2_6
; %bb.1:
	v_not_b32_sdwa v0, v1 dst_sel:DWORD dst_unused:UNUSED_PAD src0_sel:BYTE_0
	v_cmp_ne_u32_sdwa s[6:7], v6, v1 src0_sel:DWORD src1_sel:BYTE_1
                                        ; implicit-def: $vgpr7_vgpr8
                                        ; implicit-def: $vgpr4_vgpr5
                                        ; kill: killed $vgpr7_vgpr8
                                        ; implicit-def: $vgpr8_vgpr9
	s_and_saveexec_b64 s[8:9], s[6:7]
	s_xor_b64 s[6:7], exec, s[8:9]
	s_cbranch_execz .LBB2_3
; %bb.2:
	flat_load_dwordx4 v[7:10], v[2:3] offset:72
	flat_load_dwordx2 v[4:5], v[2:3] offset:96
	v_add_u32_e32 v0, v6, v0
	v_ashrrev_i32_e32 v1, 31, v0
	s_waitcnt vmcnt(0) lgkmcnt(0)
	v_mul_lo_u32 v1, v9, v1
	v_mad_u64_u32 v[6:7], s[8:9], v9, v0, v[7:8]
	v_mul_lo_u32 v0, v10, v0
	v_mov_b32_e32 v8, v9
	v_lshrrev_b64 v[4:5], 12, v[4:5]
	v_mov_b32_e32 v9, v10
	v_add3_u32 v7, v0, v7, v1
	buffer_store_dword v6, off, s[0:3], s33 offset:284 ; 4-byte Folded Spill
	s_nop 0
	buffer_store_dword v7, off, s[0:3], s33 offset:288 ; 4-byte Folded Spill
                                        ; implicit-def: $vgpr1
                                        ; implicit-def: $vgpr0
.LBB2_3:
	s_andn2_saveexec_b64 s[6:7], s[6:7]
	s_cbranch_execz .LBB2_5
; %bb.4:
	flat_load_dwordx4 v[4:7], v[2:3] offset:72
	flat_load_dwordx4 v[8:11], v[2:3] offset:88
	v_add_u32_sdwa v0, v1, v0 dst_sel:DWORD dst_unused:UNUSED_PAD src0_sel:BYTE_1 src1_sel:DWORD
	v_ashrrev_i32_e32 v1, 31, v0
	s_waitcnt vmcnt(0) lgkmcnt(0)
	v_mul_lo_u32 v1, v6, v1
	v_mad_u64_u32 v[4:5], s[8:9], v6, v0, v[4:5]
	v_mul_lo_u32 v0, v7, v0
	v_add3_u32 v5, v0, v5, v1
	buffer_store_dword v4, off, s[0:3], s33 offset:284 ; 4-byte Folded Spill
	s_nop 0
	buffer_store_dword v5, off, s[0:3], s33 offset:288 ; 4-byte Folded Spill
	v_lshrrev_b32_e32 v4, 1, v11
.LBB2_5:
	s_or_b64 exec, exec, s[6:7]
.LBB2_6:
	s_andn2_saveexec_b64 s[4:5], s[4:5]
	s_cbranch_execz .LBB2_8
; %bb.7:
	flat_load_dwordx2 v[0:1], v[2:3] offset:96
	flat_load_dwordx2 v[8:9], v[2:3] offset:72
	s_waitcnt vmcnt(0) lgkmcnt(0)
	v_lshlrev_b64 v[4:5], 9, v[0:1]
	v_mov_b32_e32 v0, 0
	v_mov_b32_e32 v1, 0
	buffer_store_dword v0, off, s[0:3], s33 offset:284 ; 4-byte Folded Spill
	s_nop 0
	buffer_store_dword v1, off, s[0:3], s33 offset:288 ; 4-byte Folded Spill
.LBB2_8:
	s_or_b64 exec, exec, s[4:5]
	s_trap 2
	ds_read_b64 v[0:1], v0
	s_waitcnt lgkmcnt(0)
	v_cmp_ne_u32_e32 vcc, -1, v0
	v_cndmask_b32_e64 v0, 0, 1, vcc
	v_cmp_ne_u32_e32 vcc, -1, v1
	v_addc_co_u32_e64 v1, s[4:5], 0, v0, vcc
	v_lshlrev_b32_e32 v5, 1, v1
	v_cmp_le_u32_e64 s[4:5], v5, v18
	s_and_saveexec_b64 s[6:7], s[4:5]
	s_xor_b64 s[6:7], exec, s[6:7]
                                        ; implicit-def: $vgpr62 : SGPR spill to VGPR lane
	v_writelane_b32 v62, s6, 0
	v_writelane_b32 v62, s7, 1
	s_cbranch_execnz .LBB2_9
; %bb.10893:
	s_getpc_b64 s[98:99]
.Lpost_getpc2:
	s_add_u32 s98, s98, (.LBB2_10886-.Lpost_getpc2)&4294967295
	s_addc_u32 s99, s99, (.LBB2_10886-.Lpost_getpc2)>>32
	s_setpc_b64 s[98:99]
.LBB2_9:
	buffer_store_dword v8, off, s[0:3], s33 offset:292 ; 4-byte Folded Spill
	s_nop 0
	buffer_store_dword v9, off, s[0:3], s33 offset:296 ; 4-byte Folded Spill
	buffer_store_dword v10, off, s[0:3], s33 offset:300 ; 4-byte Folded Spill
	;; [unrolled: 1-line block ×3, first 2 shown]
	flat_load_dwordx4 v[10:13], v[2:3] offset:16
	s_nop 0
	flat_load_dwordx2 v[14:15], v[2:3] offset:104
	flat_load_ushort v6, v[2:3] offset:8
	flat_load_dword v5, v[2:3] offset:4
	s_trap 2
	s_load_dword s4, s[28:29], 0x0
	v_mov_b32_e32 v7, 0
	v_mov_b32_e32 v34, 4
	s_waitcnt lgkmcnt(0)
	s_cmp_lt_u32 s12, s4
	s_cselect_b32 s4, 12, 18
	s_add_u32 s4, s28, s4
	s_addc_u32 s5, s29, 0
	global_load_ushort v19, v7, s[4:5]
	ds_read_b32 v7, v0
	s_waitcnt lgkmcnt(0)
	v_readfirstlane_b32 s8, v7
	buffer_load_dword v7, off, s[0:3], s33 offset:140 ; 4-byte Folded Reload
	s_waitcnt vmcnt(0)
	v_cmp_ge_u32_e64 s[4:5], v7, v0
	s_and_saveexec_b64 s[6:7], s[4:5]
	s_cbranch_execz .LBB2_19
; %bb.10:
	buffer_load_dword v7, off, s[0:3], s33 offset:140 ; 4-byte Folded Reload
                                        ; implicit-def: $vgpr34
	s_waitcnt vmcnt(0)
	v_cmp_ge_u32_e64 s[4:5], v7, v1
	s_and_saveexec_b64 s[10:11], s[4:5]
	s_xor_b64 s[4:5], exec, s[10:11]
	s_cbranch_execz .LBB2_16
; %bb.11:
	buffer_load_dword v8, off, s[0:3], s33 offset:140 ; 4-byte Folded Reload
	v_cndmask_b32_e64 v7, 0, 1, vcc
	v_sub_u32_e32 v7, v18, v7
	s_waitcnt vmcnt(0)
	v_cmp_ge_u32_e32 vcc, v8, v7
	s_and_saveexec_b64 s[10:11], vcc
	s_xor_b64 s[10:11], exec, s[10:11]
; %bb.12:
                                        ; implicit-def: $vgpr1
; %bb.13:
	s_or_saveexec_b64 s[10:11], s[10:11]
	v_mov_b32_e32 v34, 16
	s_xor_b64 exec, exec, s[10:11]
	s_cbranch_execz .LBB2_15
; %bb.14:
	buffer_load_dword v7, off, s[0:3], s33 offset:140 ; 4-byte Folded Reload
	v_sub_u32_e32 v1, v18, v1
	s_waitcnt vmcnt(0)
	v_cmp_lt_i32_e32 vcc, v7, v1
	v_cndmask_b32_e64 v34, 32, 0, vcc
.LBB2_15:
	s_or_b64 exec, exec, s[10:11]
.LBB2_16:
	s_andn2_saveexec_b64 s[4:5], s[4:5]
; %bb.17:
	v_mov_b32_e32 v34, 8
; %bb.18:
	s_or_b64 exec, exec, s[4:5]
.LBB2_19:
	s_or_b64 exec, exec, s[6:7]
	v_and_b32_e32 v1, 36, v34
	v_cmp_ne_u32_e32 vcc, 0, v1
	v_mov_b32_e32 v8, -1
	s_and_saveexec_b64 s[4:5], vcc
	s_cbranch_execz .LBB2_21
; %bb.20:
	s_trap 2
	ds_read_b32 v8, v0
.LBB2_21:
	s_or_b64 exec, exec, s[4:5]
	v_and_b32_e32 v1, 24, v34
	v_cmp_ne_u32_e64 s[4:5], 0, v1
	s_and_saveexec_b64 s[6:7], s[4:5]
	s_cbranch_execz .LBB2_23
; %bb.22:
	s_trap 2
	s_waitcnt lgkmcnt(0)
	ds_read_b32 v8, v0
.LBB2_23:
	s_or_b64 exec, exec, s[6:7]
	v_lshrrev_b64 v[5:6], 31, v[5:6]
	v_mov_b32_e32 v6, 0
	v_mov_b32_e32 v7, 0
	buffer_store_dword v6, off, s[0:3], s33 offset:316 ; 4-byte Folded Spill
	s_nop 0
	buffer_store_dword v7, off, s[0:3], s33 offset:320 ; 4-byte Folded Spill
	v_and_b32_e32 v1, 3, v5
	v_mov_b32_e32 v5, 0
	v_mov_b32_e32 v6, 0
                                        ; implicit-def: $vgpr24_vgpr25
                                        ; implicit-def: $vgpr26_vgpr27
                                        ; implicit-def: $vgpr20_vgpr21
	buffer_store_dword v5, off, s[0:3], s33 offset:92 ; 4-byte Folded Spill
	s_nop 0
	buffer_store_dword v6, off, s[0:3], s33 offset:96 ; 4-byte Folded Spill
	buffer_store_dword v7, off, s[0:3], s33 offset:100 ; 4-byte Folded Spill
	s_waitcnt lgkmcnt(0)
	buffer_store_dword v8, off, s[0:3], s33 offset:104 ; 4-byte Folded Spill
                                        ; implicit-def: $vgpr5_vgpr6
                                        ; kill: killed $vgpr5_vgpr6
                                        ; implicit-def: $vgpr5
                                        ; kill: killed $vgpr5
                                        ; implicit-def: $vgpr5_vgpr6
                                        ; kill: killed $vgpr5_vgpr6
	v_ashrrev_i32_e32 v9, 31, v8
	s_and_saveexec_b64 s[4:5], vcc
	s_cbranch_execz .LBB2_33
; %bb.24:
	s_trap 2
	ds_read_b64 v[5:6], v0
	v_lshlrev_b64 v[16:17], 3, v[8:9]
	v_and_b32_e32 v7, 0xffff, v1
	s_movk_i32 s6, 0xa8
	s_waitcnt lgkmcnt(0)
	v_add_co_u32_e32 v5, vcc, v5, v16
	v_addc_co_u32_e32 v6, vcc, v6, v17, vcc
	flat_load_dwordx2 v[5:6], v[5:6]
	s_waitcnt vmcnt(0) lgkmcnt(0)
	v_mad_u64_u32 v[16:17], s[6:7], v7, s6, v[5:6]
	flat_load_dword v5, v[16:17] offset:640
	s_waitcnt vmcnt(0) lgkmcnt(0)
	v_cmp_eq_u32_e32 vcc, 1, v5
                                        ; implicit-def: $vgpr5_vgpr6
                                        ; kill: killed $vgpr5_vgpr6
	s_and_saveexec_b64 s[6:7], vcc
	s_cbranch_execz .LBB2_26
; %bb.25:
	flat_load_dwordx2 v[20:21], v[16:17] offset:648
	v_or_b32_e32 v34, 0x2000, v34
	s_waitcnt vmcnt(0) lgkmcnt(0)
	flat_load_dwordx2 v[5:6], v[20:21]
	s_trap 2
	s_waitcnt vmcnt(0) lgkmcnt(0)
	ds_write_b64 v0, v[5:6]
	flat_load_dwordx2 v[5:6], v[20:21] offset:8
	s_waitcnt vmcnt(0) lgkmcnt(0)
	ds_write_b64 v0, v[5:6]
	buffer_store_dword v20, off, s[0:3], s33 offset:336 ; 4-byte Folded Spill
	s_nop 0
	buffer_store_dword v21, off, s[0:3], s33 offset:340 ; 4-byte Folded Spill
	flat_load_dwordx2 v[5:6], v[20:21] offset:16
	s_waitcnt vmcnt(0) lgkmcnt(0)
	ds_write_b64 v0, v[5:6]
.LBB2_26:
	s_or_b64 exec, exec, s[6:7]
	flat_load_dwordx2 v[5:6], v[16:17] offset:608
	v_and_b32_e32 v7, 32, v34
                                        ; implicit-def: $vgpr20_vgpr21
	s_waitcnt vmcnt(0) lgkmcnt(0)
	v_add_co_u32_e32 v5, vcc, 3, v5
	v_addc_co_u32_e32 v25, vcc, 0, v6, vcc
	v_and_b32_e32 v24, -4, v5
	v_cmp_ne_u32_e32 vcc, 0, v7
	s_and_saveexec_b64 s[6:7], vcc
	s_cbranch_execz .LBB2_28
; %bb.27:
	flat_load_dwordx2 v[20:21], v[16:17] offset:560
	s_waitcnt vmcnt(0) lgkmcnt(0)
	flat_store_dwordx2 v[20:21], v[24:25]
.LBB2_28:
	s_or_b64 exec, exec, s[6:7]
	v_add_co_u32_e32 v5, vcc, 0x1f8, v16
	v_addc_co_u32_e32 v6, vcc, 0, v17, vcc
	buffer_store_dword v5, off, s[0:3], s33 offset:316 ; 4-byte Folded Spill
	s_nop 0
	buffer_store_dword v6, off, s[0:3], s33 offset:320 ; 4-byte Folded Spill
	v_mov_b32_e32 v6, 0
	v_and_b32_e32 v5, 4, v34
	v_mov_b32_e32 v7, 0
	buffer_store_dword v6, off, s[0:3], s33 offset:92 ; 4-byte Folded Spill
	s_nop 0
	buffer_store_dword v7, off, s[0:3], s33 offset:96 ; 4-byte Folded Spill
	buffer_store_dword v8, off, s[0:3], s33 offset:100 ; 4-byte Folded Spill
	;; [unrolled: 1-line block ×3, first 2 shown]
	v_cmp_ne_u32_e32 vcc, 0, v5
                                        ; implicit-def: $vgpr5
                                        ; kill: killed $vgpr5
                                        ; implicit-def: $vgpr5_vgpr6
                                        ; kill: killed $vgpr5_vgpr6
                                        ; implicit-def: $vgpr26_vgpr27
	s_and_saveexec_b64 s[6:7], vcc
	s_cbranch_execz .LBB2_32
; %bb.29:
	v_and_b32_e32 v5, 0x800, v34
	v_cmp_eq_u32_e32 vcc, 0, v5
	s_and_saveexec_b64 s[10:11], vcc
	s_cbranch_execz .LBB2_31
; %bb.30:
	s_trap 2
	buffer_load_dword v5, off, s[0:3], s33 offset:316 ; 4-byte Folded Reload
	buffer_load_dword v6, off, s[0:3], s33 offset:320 ; 4-byte Folded Reload
	s_waitcnt vmcnt(0)
	ds_write_b64 v0, v[5:6]
.LBB2_31:
	s_or_b64 exec, exec, s[10:11]
	flat_load_dwordx2 v[20:21], v[16:17] offset:552
	s_waitcnt vmcnt(0) lgkmcnt(0)
	flat_load_dwordx2 v[26:27], v[20:21] glc
	flat_load_dwordx2 v[22:23], v[16:17] offset:600
	flat_load_dword v5, v[16:17] offset:576
	s_waitcnt vmcnt(0) lgkmcnt(0)
	v_cmp_eq_u64_e32 vcc, 0, v[22:23]
	buffer_store_dword v5, off, s[0:3], s33 offset:116 ; 4-byte Folded Spill
	flat_load_dwordx2 v[5:6], v[16:17] offset:520
	s_waitcnt vmcnt(0) lgkmcnt(0)
	buffer_store_dword v5, off, s[0:3], s33 offset:84 ; 4-byte Folded Spill
	s_nop 0
	buffer_store_dword v6, off, s[0:3], s33 offset:88 ; 4-byte Folded Spill
	v_or_b32_e32 v5, 0x100, v34
	v_mov_b32_e32 v6, v22
	v_mov_b32_e32 v7, v23
	v_cndmask_b32_e32 v34, v5, v34, vcc
	buffer_store_dword v6, off, s[0:3], s33 offset:92 ; 4-byte Folded Spill
	s_nop 0
	buffer_store_dword v7, off, s[0:3], s33 offset:96 ; 4-byte Folded Spill
	buffer_store_dword v8, off, s[0:3], s33 offset:100 ; 4-byte Folded Spill
	;; [unrolled: 1-line block ×3, first 2 shown]
.LBB2_32:
	s_or_b64 exec, exec, s[6:7]
.LBB2_33:
	s_or_b64 exec, exec, s[4:5]
	v_and_b32_e32 v5, 24, v34
	v_cmp_ne_u32_e32 vcc, 0, v5
                                        ; implicit-def: $vgpr5_vgpr6
                                        ; kill: killed $vgpr5_vgpr6
	s_and_saveexec_b64 s[4:5], vcc
	s_cbranch_execz .LBB2_41
; %bb.34:
	s_trap 2
	ds_read_b64 v[5:6], v0
	v_lshlrev_b64 v[7:8], 3, v[8:9]
	v_and_b32_e32 v1, 0xffff, v1
	s_movk_i32 s6, 0xa8
	s_waitcnt lgkmcnt(0)
	v_add_co_u32_e32 v5, vcc, v5, v7
	v_addc_co_u32_e32 v6, vcc, v6, v8, vcc
	flat_load_dwordx2 v[5:6], v[5:6]
	s_waitcnt vmcnt(0) lgkmcnt(0)
	v_mad_u64_u32 v[5:6], s[6:7], v1, s6, v[5:6]
	buffer_store_dword v5, off, s[0:3], s33 offset:316 ; 4-byte Folded Spill
	s_nop 0
	buffer_store_dword v6, off, s[0:3], s33 offset:320 ; 4-byte Folded Spill
	v_or_b32_e32 v1, 0x100, v34
	flat_load_dwordx4 v[5:8], v[5:6] offset:96
	s_waitcnt vmcnt(0) lgkmcnt(0)
	buffer_store_dword v5, off, s[0:3], s33 offset:92 ; 4-byte Folded Spill
	s_nop 0
	buffer_store_dword v6, off, s[0:3], s33 offset:96 ; 4-byte Folded Spill
	buffer_store_dword v7, off, s[0:3], s33 offset:100 ; 4-byte Folded Spill
	;; [unrolled: 1-line block ×3, first 2 shown]
	v_cmp_eq_u64_e32 vcc, 0, v[5:6]
                                        ; implicit-def: $vgpr5_vgpr6
                                        ; kill: killed $vgpr5_vgpr6
	v_cndmask_b32_e32 v34, v1, v34, vcc
	v_and_b32_e32 v1, 16, v34
	v_cmp_ne_u32_e32 vcc, 0, v1
	s_and_saveexec_b64 s[6:7], vcc
	s_cbranch_execz .LBB2_36
; %bb.35:
	buffer_load_dword v5, off, s[0:3], s33 offset:316 ; 4-byte Folded Reload
	buffer_load_dword v6, off, s[0:3], s33 offset:320 ; 4-byte Folded Reload
	s_waitcnt vmcnt(0)
	flat_load_dwordx2 v[20:21], v[5:6] offset:48
	flat_load_dwordx2 v[7:8], v[5:6] offset:120
	s_waitcnt vmcnt(0) lgkmcnt(0)
	buffer_store_dword v7, off, s[0:3], s33 offset:108 ; 4-byte Folded Spill
	s_nop 0
	buffer_store_dword v8, off, s[0:3], s33 offset:112 ; 4-byte Folded Spill
	flat_load_dwordx2 v[5:6], v[5:6] offset:16
	s_waitcnt vmcnt(0) lgkmcnt(0)
	buffer_store_dword v5, off, s[0:3], s33 offset:84 ; 4-byte Folded Spill
	s_nop 0
	buffer_store_dword v6, off, s[0:3], s33 offset:88 ; 4-byte Folded Spill
.LBB2_36:
	s_or_b64 exec, exec, s[6:7]
	buffer_load_dword v5, off, s[0:3], s33 offset:92 ; 4-byte Folded Reload
	buffer_load_dword v6, off, s[0:3], s33 offset:96 ; 4-byte Folded Reload
	;; [unrolled: 1-line block ×4, first 2 shown]
	s_waitcnt vmcnt(1)
	v_add_co_u32_e32 v1, vcc, 3, v7
	s_waitcnt vmcnt(0)
	v_addc_co_u32_e32 v25, vcc, 0, v8, vcc
	v_and_b32_e32 v24, -4, v1
	v_and_b32_e32 v1, 8, v34
	v_cmp_ne_u32_e32 vcc, 0, v1
	s_and_saveexec_b64 s[6:7], vcc
	s_cbranch_execz .LBB2_40
; %bb.37:
	v_and_b32_e32 v1, 0x800, v34
	v_cmp_eq_u32_e32 vcc, 0, v1
	s_and_saveexec_b64 s[10:11], vcc
	s_cbranch_execz .LBB2_39
; %bb.38:
	s_trap 2
	buffer_load_dword v5, off, s[0:3], s33 offset:316 ; 4-byte Folded Reload
	buffer_load_dword v6, off, s[0:3], s33 offset:320 ; 4-byte Folded Reload
	s_waitcnt vmcnt(0)
	ds_write_b64 v0, v[5:6]
.LBB2_39:
	s_or_b64 exec, exec, s[10:11]
	buffer_load_dword v5, off, s[0:3], s33 offset:316 ; 4-byte Folded Reload
	buffer_load_dword v6, off, s[0:3], s33 offset:320 ; 4-byte Folded Reload
	s_waitcnt vmcnt(0)
	flat_load_dwordx2 v[20:21], v[5:6] offset:56
	s_waitcnt vmcnt(0) lgkmcnt(0)
	flat_load_dwordx2 v[26:27], v[20:21] glc
	flat_load_dword v1, v[5:6] offset:72
	s_nop 0
	flat_load_dwordx2 v[5:6], v[5:6] offset:16
	s_waitcnt vmcnt(0) lgkmcnt(0)
	buffer_store_dword v1, off, s[0:3], s33 offset:116 ; 4-byte Folded Spill
	buffer_store_dword v5, off, s[0:3], s33 offset:84 ; 4-byte Folded Spill
	s_nop 0
	buffer_store_dword v6, off, s[0:3], s33 offset:88 ; 4-byte Folded Spill
.LBB2_40:
	s_or_b64 exec, exec, s[6:7]
.LBB2_41:
	s_or_b64 exec, exec, s[4:5]
	buffer_load_dword v1, off, s[0:3], s33 offset:140 ; 4-byte Folded Reload
	s_waitcnt vmcnt(0)
	v_cmp_eq_u32_e64 s[4:5], 0, v1
	s_and_saveexec_b64 s[6:7], s[4:5]
	s_cbranch_execz .LBB2_43
; %bb.42:
	flat_load_dwordx2 v[5:6], v[2:3] offset:32
	v_mov_b32_e32 v7, v12
	v_mov_b32_e32 v8, v13
	;; [unrolled: 1-line block ×4, first 2 shown]
	ds_write2_b64 v0, v[7:8], v[9:10] offset1:1
	s_trap 2
	s_waitcnt vmcnt(0) lgkmcnt(0)
	ds_write_b64 v0, v[5:6]
	ds_write_b64 v0, v[14:15]
.LBB2_43:
	s_or_b64 exec, exec, s[6:7]
	buffer_load_dword v8, off, s[0:3], s33 offset:292 ; 4-byte Folded Reload
	buffer_load_dword v9, off, s[0:3], s33 offset:296 ; 4-byte Folded Reload
	;; [unrolled: 1-line block ×4, first 2 shown]
	v_mov_b32_e32 v12, 0
	v_mov_b32_e32 v13, 0
	s_waitcnt vmcnt(0)
	v_cmp_lt_i64_e32 vcc, 0, v[8:9]
	s_mov_b64 s[6:7], exec
	v_writelane_b32 v62, s6, 2
	v_writelane_b32 v62, s7, 3
	s_and_b64 s[6:7], s[6:7], vcc
	s_mov_b64 exec, s[6:7]
	s_cbranch_execnz .LBB2_44
; %bb.10895:
	s_getpc_b64 s[98:99]
.Lpost_getpc3:
	s_add_u32 s98, s98, (.LBB2_10852-.Lpost_getpc3)&4294967295
	s_addc_u32 s99, s99, (.LBB2_10852-.Lpost_getpc3)>>32
	s_setpc_b64 s[98:99]
.LBB2_44:
	v_mov_b32_e32 v29, 0
	v_and_b32_e32 v4, 0x3ffffe00, v4
	v_mov_b32_e32 v5, v29
	buffer_store_dword v4, off, s[0:3], s33 offset:228 ; 4-byte Folded Spill
	s_nop 0
	buffer_store_dword v5, off, s[0:3], s33 offset:232 ; 4-byte Folded Spill
	v_writelane_b32 v62, s28, 4
	s_ashr_i32 s67, s66, 31
	v_writelane_b32 v62, s29, 5
	flat_load_dword v1, v[2:3] offset:4
	v_and_b32_e32 v2, 63, v31
	buffer_load_dword v3, off, s[0:3], s33 offset:140 ; 4-byte Folded Reload
	v_and_b32_e32 v11, 0x3fc0, v18
	buffer_store_dword v31, off, s[0:3], s33 offset:328 ; 4-byte Folded Spill
	s_mov_b32 s56, -1
	v_mov_b32_e32 v12, 0
	s_mov_b32 s57, 0xffffff
	v_cmp_eq_u32_e64 s[10:11], 64, v18
	v_cmp_ne_u32_e64 s[12:13], 64, v18
	v_cmp_ne_u32_sdwa s[58:59], v18, v19 src0_sel:DWORD src1_sel:WORD_0
	s_mov_b64 s[60:61], 0
	v_mov_b32_e32 v13, 0
	s_movk_i32 s85, 0x7c
	s_brev_b32 s86, 1
	s_movk_i32 s87, 0xff
	s_movk_i32 s96, 0x80
	;; [unrolled: 1-line block ×3, first 2 shown]
	s_mov_b64 s[76:77], 0x7f800000
	s_mov_b64 s[78:79], 0x47600001
	s_movk_i32 s46, 0x72
	s_mov_b64 s[88:89], 0xffffff
	s_movk_i32 s47, 0x7f
	s_mov_b32 s44, 0x7c0000
	s_brev_b32 s45, 62
	s_movk_i32 s68, 0xffc0
	v_mov_b32_e32 v35, 0x7f800001
	v_mov_b32_e32 v48, -1
	v_mov_b32_e32 v22, 0x7c
	v_mad_i64_i32 v[14:15], s[6:7], v4, s66, 0
	s_add_u32 s6, s66, -1
	v_writelane_b32 v62, s6, 6
	s_addc_u32 s6, s67, -1
	v_writelane_b32 v62, s6, 7
	s_add_i32 s70, s66, s66
	s_not_b32 s6, s66
	s_cmp_gt_i32 s66, 0
	s_cselect_b32 s6, s6, -1
	s_add_i32 s71, s6, s70
	s_ashr_i32 s6, s71, 31
	v_writelane_b32 v62, s6, 8
	s_ashr_i32 s6, s8, 31
	s_lshr_b32 s6, s6, 25
	s_add_i32 s8, s8, s6
	v_cmp_eq_u32_e64 s[6:7], 0, v2
	buffer_load_dword v2, off, s[0:3], s33 offset:116 ; 4-byte Folded Reload
	v_lshrrev_b32_e32 v4, 6, v18
	v_lshlrev_b32_e32 v5, 11, v4
	v_lshlrev_b32_e32 v10, 10, v4
	v_mov_b32_e32 v36, v4
	v_lshlrev_b32_e32 v4, 9, v4
	s_waitcnt vmcnt(0)
	v_and_b32_e32 v6, 63, v3
	v_cmp_lt_u32_e64 s[16:17], v6, v0
	v_cmp_le_u32_e64 s[24:25], v6, v0
	v_lshlrev_b32_e32 v0, 4, v3
	s_ashr_i32 s81, s8, 7
	s_waitcnt lgkmcnt(0)
	v_and_b32_e32 v1, 1, v1
	s_movk_i32 s8, 0x400
	v_cmp_eq_u32_e64 s[18:19], 1, v1
	s_cmp_gt_i32 s66, 2
	s_cselect_b64 s[62:63], -1, 0
	s_xor_b64 s[72:73], s[18:19], -1
	v_lshrrev_b32_e32 v7, 6, v3
	v_cmp_ge_u32_e32 vcc, v3, v18
	v_cmp_eq_u32_e64 s[14:15], 0, v6
	v_ashrrev_i32_e32 v2, 31, v2
	buffer_store_dword v2, off, s[0:3], s33 offset:136 ; 4-byte Folded Spill
	s_trap 2
	buffer_store_dword v19, off, s[0:3], s33 offset:332 ; 4-byte Folded Spill
	buffer_store_dword v5, off, s[0:3], s33 offset:212 ; 4-byte Folded Spill
	;; [unrolled: 1-line block ×4, first 2 shown]
	buffer_load_dword v4, off, s[0:3], s33 offset:108 ; 4-byte Folded Reload
	s_nop 0
	buffer_load_dword v5, off, s[0:3], s33 offset:112 ; 4-byte Folded Reload
	v_lshlrev_b32_e32 v2, 4, v6
	buffer_store_dword v0, off, s[0:3], s33 offset:168 ; 4-byte Folded Spill
	v_add_u32_e32 v0, 0xfffffc00, v10
	v_ashrrev_i32_e32 v1, 31, v0
	buffer_store_dword v0, off, s[0:3], s33 offset:68 ; 4-byte Folded Spill
	v_add_co_u32_e64 v0, s[26:27], s8, v0
	buffer_store_dword v6, off, s[0:3], s33 offset:216 ; 4-byte Folded Spill
	buffer_store_dword v10, off, s[0:3], s33 offset:56 ; 4-byte Folded Spill
	;; [unrolled: 1-line block ×4, first 2 shown]
	v_addc_co_u32_e64 v0, s[26:27], 0, v1, s[26:27]
	buffer_store_dword v0, off, s[0:3], s33 offset:80 ; 4-byte Folded Spill
	buffer_store_dword v11, off, s[0:3], s33 offset:64 ; 4-byte Folded Spill
	v_subrev_u32_e32 v0, 64, v11
	v_ashrrev_i32_e32 v1, 31, v0
	buffer_store_dword v0, off, s[0:3], s33 offset:120 ; 4-byte Folded Spill
	v_add_co_u32_e64 v0, s[26:27], 64, v0
	s_add_i32 s8, s66, 1
	buffer_store_dword v0, off, s[0:3], s33 offset:128 ; 4-byte Folded Spill
	buffer_store_dword v1, off, s[0:3], s33 offset:124 ; 4-byte Folded Spill
	v_addc_co_u32_e64 v0, s[26:27], 0, v1, s[26:27]
	s_cmp_ge_i32 s8, s66
	buffer_store_dword v0, off, s[0:3], s33 offset:132 ; 4-byte Folded Spill
	s_cselect_b32 s9, s66, 0
	v_lshl_or_b32 v0, v7, 11, v2
	v_mov_b32_e32 v1, v29
	s_sub_i32 s82, s8, s9
	buffer_store_dword v7, off, s[0:3], s33 offset:172 ; 4-byte Folded Spill
	buffer_store_dword v0, off, s[0:3], s33 offset:252 ; 4-byte Folded Spill
	s_nop 0
	buffer_store_dword v1, off, s[0:3], s33 offset:256 ; 4-byte Folded Spill
	v_mov_b32_e32 v2, 0
	s_ashr_i32 s83, s82, 31
	s_add_i32 s84, s66, -2
	v_mov_b32_e32 v3, 0
	s_xor_b64 s[74:75], vcc, -1
	s_movk_i32 s9, 0x108
	v_mov_b32_e32 v7, 0xff800000
	v_mov_b32_e32 v0, 0x7f800000
	;; [unrolled: 1-line block ×3, first 2 shown]
	v_bfrev_b32_e32 v6, 0.5
	buffer_store_dword v14, off, s[0:3], s33 offset:308 ; 4-byte Folded Spill
	s_nop 0
	buffer_store_dword v15, off, s[0:3], s33 offset:312 ; 4-byte Folded Spill
	s_waitcnt vmcnt(17)
	v_cmp_eq_u64_e64 s[20:21], 0, v[4:5]
	v_cmp_ne_u64_e64 s[22:23], 0, v[4:5]
	s_branch .LBB2_47
.LBB2_45:                               ;   in Loop: Header=BB2_47 Depth=1
	s_or_b64 exec, exec, s[40:41]
.LBB2_46:                               ;   in Loop: Header=BB2_47 Depth=1
	s_or_b64 exec, exec, s[28:29]
	buffer_load_dword v14, off, s[0:3], s33 offset:308 ; 4-byte Folded Reload
	buffer_load_dword v15, off, s[0:3], s33 offset:312 ; 4-byte Folded Reload
	;; [unrolled: 1-line block ×8, first 2 shown]
	s_waitcnt vmcnt(0)
	v_add_co_u32_e32 v2, vcc, v2, v14
	v_addc_co_u32_e32 v3, vcc, v3, v15, vcc
	v_cmp_ge_i64_e32 vcc, v[2:3], v[8:9]
	s_or_b64 s[60:61], vcc, s[60:61]
	s_andn2_b64 exec, exec, s[60:61]
	s_cbranch_execnz .LBB2_47
; %bb.10897:
	s_getpc_b64 s[98:99]
.Lpost_getpc4:
	s_add_u32 s98, s98, (.LBB2_10851-.Lpost_getpc4)&4294967295
	s_addc_u32 s99, s99, (.LBB2_10851-.Lpost_getpc4)>>32
	s_setpc_b64 s[98:99]
.LBB2_47:                               ; =>This Loop Header: Depth=1
                                        ;     Child Loop BB2_57 Depth 2
                                        ;       Child Loop BB2_65 Depth 3
                                        ;       Child Loop BB2_89 Depth 3
                                        ;       Child Loop BB2_108 Depth 3
                                        ;       Child Loop BB2_133 Depth 3
                                        ;       Child Loop BB2_1042 Depth 3
                                        ;       Child Loop BB2_1504 Depth 3
                                        ;       Child Loop BB2_1771 Depth 3
                                        ;       Child Loop BB2_1817 Depth 3
                                        ;       Child Loop BB2_1841 Depth 3
                                        ;     Child Loop BB2_1859 Depth 2
                                        ;       Child Loop BB2_1865 Depth 3
                                        ;       Child Loop BB2_1889 Depth 3
	;; [unrolled: 1-line block ×3, first 2 shown]
                                        ;     Child Loop BB2_1931 Depth 2
                                        ;       Child Loop BB2_1934 Depth 3
                                        ;         Child Loop BB2_1942 Depth 4
                                        ;         Child Loop BB2_1970 Depth 4
	;; [unrolled: 1-line block ×9, first 2 shown]
                                        ;       Child Loop BB2_4738 Depth 3
                                        ;         Child Loop BB2_4744 Depth 4
                                        ;         Child Loop BB2_4772 Depth 4
	;; [unrolled: 1-line block ×3, first 2 shown]
                                        ;     Child Loop BB2_4813 Depth 2
                                        ;       Child Loop BB2_4821 Depth 3
                                        ;       Child Loop BB2_4849 Depth 3
	;; [unrolled: 1-line block ×4, first 2 shown]
                                        ;         Child Loop BB2_5872 Depth 4
                                        ;       Child Loop BB2_5898 Depth 3
                                        ;         Child Loop BB2_6879 Depth 4
                                        ;       Child Loop BB2_6908 Depth 3
                                        ;       Child Loop BB2_7493 Depth 3
                                        ;         Child Loop BB2_7572 Depth 4
                                        ;       Child Loop BB2_7586 Depth 3
                                        ;       Child Loop BB2_8591 Depth 3
	;; [unrolled: 1-line block ×6, first 2 shown]
                                        ;     Child Loop BB2_10311 Depth 2
                                        ;       Child Loop BB2_10317 Depth 3
                                        ;       Child Loop BB2_10345 Depth 3
	;; [unrolled: 1-line block ×3, first 2 shown]
                                        ;     Child Loop BB2_10387 Depth 2
                                        ;       Child Loop BB2_10390 Depth 3
                                        ;         Child Loop BB2_10398 Depth 4
                                        ;         Child Loop BB2_10426 Depth 4
                                        ;         Child Loop BB2_10445 Depth 4
                                        ;         Child Loop BB2_10468 Depth 4
                                        ;           Child Loop BB2_10469 Depth 5
                                        ;         Child Loop BB2_10475 Depth 4
                                        ;           Child Loop BB2_10476 Depth 5
                                        ;         Child Loop BB2_10483 Depth 4
                                        ;         Child Loop BB2_10488 Depth 4
                                        ;           Child Loop BB2_10489 Depth 5
                                        ;         Child Loop BB2_10501 Depth 4
                                        ;         Child Loop BB2_10506 Depth 4
	;; [unrolled: 1-line block ×6, first 2 shown]
                                        ;       Child Loop BB2_10568 Depth 3
                                        ;         Child Loop BB2_10574 Depth 4
                                        ;         Child Loop BB2_10602 Depth 4
	;; [unrolled: 1-line block ×3, first 2 shown]
                                        ;     Child Loop BB2_10647 Depth 2
                                        ;       Child Loop BB2_10655 Depth 3
                                        ;       Child Loop BB2_10679 Depth 3
	;; [unrolled: 1-line block ×9, first 2 shown]
                                        ;     Child Loop BB2_10785 Depth 2
                                        ;       Child Loop BB2_10791 Depth 3
                                        ;       Child Loop BB2_10815 Depth 3
	;; [unrolled: 1-line block ×3, first 2 shown]
	v_sub_co_u32_e32 v4, vcc, v8, v2
	buffer_store_dword v2, off, s[0:3], s33 offset:272 ; 4-byte Folded Spill
	s_nop 0
	buffer_store_dword v3, off, s[0:3], s33 offset:276 ; 4-byte Folded Spill
	v_subb_co_u32_e32 v5, vcc, v9, v3, vcc
	buffer_store_dword v4, off, s[0:3], s33 offset:220 ; 4-byte Folded Spill
	s_nop 0
	buffer_store_dword v5, off, s[0:3], s33 offset:224 ; 4-byte Folded Spill
	v_cmp_lt_i64_e32 vcc, v[4:5], v[14:15]
	s_and_saveexec_b64 s[28:29], vcc
	s_cbranch_execz .LBB2_53
; %bb.48:                               ;   in Loop: Header=BB2_47 Depth=1
	buffer_load_dword v4, off, s[0:3], s33 offset:220 ; 4-byte Folded Reload
	buffer_load_dword v5, off, s[0:3], s33 offset:224 ; 4-byte Folded Reload
	v_readlane_b32 s8, v62, 7
	v_mov_b32_e32 v2, s8
	v_readlane_b32 s8, v62, 6
	s_waitcnt vmcnt(0)
	v_add_co_u32_e32 v4, vcc, s8, v4
	s_waitcnt vmcnt(0)
	v_addc_co_u32_e32 v5, vcc, v2, v5, vcc
	v_or_b32_e32 v3, s67, v5
	v_mov_b32_e32 v2, v29
	v_cmp_ne_u64_e32 vcc, 0, v[2:3]
                                        ; implicit-def: $vgpr2_vgpr3
	s_and_saveexec_b64 s[26:27], vcc
	s_xor_b64 s[40:41], exec, s[26:27]
	s_cbranch_execz .LBB2_50
; %bb.49:                               ;   in Loop: Header=BB2_47 Depth=1
	s_ashr_i32 s42, s67, 31
	s_add_u32 s26, s66, s42
	s_mov_b32 s43, s42
	s_addc_u32 s27, s67, s42
	s_xor_b64 s[90:91], s[26:27], s[42:43]
	v_cvt_f32_u32_e32 v2, s90
	v_cvt_f32_u32_e32 v3, s91
	s_sub_u32 s8, 0, s90
	s_subb_u32 s43, 0, s91
	v_ashrrev_i32_e32 v8, 31, v5
	v_mac_f32_e32 v2, 0x4f800000, v3
	v_rcp_f32_e32 v2, v2
	v_mul_f32_e32 v2, 0x5f7ffffc, v2
	v_mul_f32_e32 v3, 0x2f800000, v2
	v_trunc_f32_e32 v3, v3
	v_mac_f32_e32 v2, 0xcf800000, v3
	v_cvt_u32_f32_e32 v3, v3
	v_cvt_u32_f32_e32 v2, v2
	v_readfirstlane_b32 s92, v3
	v_readfirstlane_b32 s26, v2
	s_mul_i32 s27, s8, s92
	s_mul_hi_u32 s94, s8, s26
	s_mul_i32 s93, s43, s26
	s_add_i32 s27, s94, s27
	s_add_i32 s27, s27, s93
	s_mul_i32 s95, s8, s26
	s_mul_i32 s94, s26, s27
	s_mul_hi_u32 vcc_lo, s26, s95
	s_mul_hi_u32 s93, s26, s27
	s_add_u32 s94, vcc_lo, s94
	s_addc_u32 s93, 0, s93
	s_mul_hi_u32 vcc_hi, s92, s95
	s_mul_i32 s95, s92, s95
	s_add_u32 s94, s94, s95
	s_mul_hi_u32 vcc_lo, s92, s27
	s_addc_u32 s93, s93, vcc_hi
	s_addc_u32 s94, vcc_lo, 0
	s_mul_i32 s27, s92, s27
	s_add_u32 s27, s93, s27
	s_addc_u32 s93, 0, s94
	s_add_u32 s94, s26, s27
	s_cselect_b64 s[26:27], -1, 0
	s_cmp_lg_u64 s[26:27], 0
	s_addc_u32 s92, s92, s93
	s_mul_i32 s26, s8, s92
	s_mul_hi_u32 s27, s8, s94
	s_add_i32 s26, s27, s26
	s_mul_i32 s43, s43, s94
	s_add_i32 s26, s26, s43
	s_mul_i32 s8, s8, s94
	s_mul_hi_u32 s43, s92, s8
	s_mul_i32 s93, s92, s8
	s_mul_i32 vcc_lo, s94, s26
	s_mul_hi_u32 s8, s94, s8
	s_mul_hi_u32 s95, s94, s26
	s_add_u32 s8, s8, vcc_lo
	s_addc_u32 s95, 0, s95
	s_add_u32 s8, s8, s93
	s_mul_hi_u32 s27, s92, s26
	s_addc_u32 s8, s95, s43
	s_addc_u32 s27, s27, 0
	s_mul_i32 s26, s92, s26
	s_add_u32 s8, s8, s26
	s_addc_u32 s43, 0, s27
	s_add_u32 s8, s94, s8
	s_cselect_b64 s[26:27], -1, 0
	s_cmp_lg_u64 s[26:27], 0
	v_add_co_u32_e32 v2, vcc, v4, v8
	s_addc_u32 s43, s92, s43
	v_xor_b32_e32 v9, v2, v8
	v_addc_co_u32_e32 v4, vcc, v5, v8, vcc
	v_mad_u64_u32 v[2:3], s[26:27], v9, s43, 0
	v_mul_hi_u32 v5, v9, s8
	v_xor_b32_e32 v10, v4, v8
	v_add_co_u32_e32 v11, vcc, v5, v2
	v_addc_co_u32_e32 v14, vcc, 0, v3, vcc
	v_mad_u64_u32 v[2:3], s[26:27], v10, s8, 0
	v_mad_u64_u32 v[4:5], s[26:27], v10, s43, 0
	v_add_co_u32_e32 v2, vcc, v11, v2
	v_addc_co_u32_e32 v2, vcc, v14, v3, vcc
	v_addc_co_u32_e32 v3, vcc, 0, v5, vcc
	v_add_co_u32_e32 v4, vcc, v2, v4
	v_addc_co_u32_e32 v5, vcc, 0, v3, vcc
	v_mul_lo_u32 v11, s91, v4
	v_mul_lo_u32 v14, s90, v5
	v_mad_u64_u32 v[2:3], s[26:27], s90, v4, 0
	v_add3_u32 v3, v3, v14, v11
	v_sub_u32_e32 v11, v10, v3
	v_mov_b32_e32 v14, s91
	v_sub_co_u32_e32 v2, vcc, v9, v2
	v_subb_co_u32_e64 v9, s[26:27], v11, v14, vcc
	v_subrev_co_u32_e64 v11, s[26:27], s90, v2
	v_subbrev_co_u32_e64 v9, s[26:27], 0, v9, s[26:27]
	v_cmp_le_u32_e64 s[26:27], s91, v9
	v_cndmask_b32_e64 v14, 0, -1, s[26:27]
	v_cmp_le_u32_e64 s[26:27], s90, v11
	v_cndmask_b32_e64 v11, 0, -1, s[26:27]
	v_cmp_eq_u32_e64 s[26:27], s91, v9
	v_cndmask_b32_e64 v9, v14, v11, s[26:27]
	v_add_co_u32_e64 v11, s[26:27], 2, v4
	v_subb_co_u32_e32 v3, vcc, v10, v3, vcc
	v_addc_co_u32_e64 v14, s[26:27], 0, v5, s[26:27]
	v_cmp_le_u32_e32 vcc, s91, v3
	v_add_co_u32_e64 v15, s[26:27], 1, v4
	v_cndmask_b32_e64 v10, 0, -1, vcc
	v_cmp_le_u32_e32 vcc, s90, v2
	v_addc_co_u32_e64 v16, s[26:27], 0, v5, s[26:27]
	v_cndmask_b32_e64 v2, 0, -1, vcc
	v_cmp_eq_u32_e32 vcc, s91, v3
	v_cmp_ne_u32_e64 s[26:27], 0, v9
	v_cndmask_b32_e32 v2, v10, v2, vcc
	v_cndmask_b32_e64 v9, v16, v14, s[26:27]
	v_cmp_ne_u32_e32 vcc, 0, v2
	v_cndmask_b32_e64 v3, v15, v11, s[26:27]
	v_cndmask_b32_e32 v2, v5, v9, vcc
	v_cndmask_b32_e32 v3, v4, v3, vcc
	v_xor_b32_e32 v4, s42, v8
	v_xor_b32_e32 v5, v2, v4
	;; [unrolled: 1-line block ×3, first 2 shown]
	v_sub_co_u32_e32 v2, vcc, v2, v4
	v_subb_co_u32_e32 v3, vcc, v5, v4, vcc
                                        ; implicit-def: $vgpr4
.LBB2_50:                               ;   in Loop: Header=BB2_47 Depth=1
	s_andn2_saveexec_b64 s[40:41], s[40:41]
	s_cbranch_execz .LBB2_52
; %bb.51:                               ;   in Loop: Header=BB2_47 Depth=1
	v_cvt_f32_u32_e32 v2, s66
	s_sub_i32 s8, 0, s66
	v_rcp_iflag_f32_e32 v2, v2
	v_mul_f32_e32 v2, 0x4f7ffffe, v2
	v_cvt_u32_f32_e32 v2, v2
	v_mul_lo_u32 v3, s8, v2
	v_mul_hi_u32 v3, v2, v3
	v_add_u32_e32 v2, v2, v3
	v_mul_hi_u32 v2, v4, v2
	v_mul_lo_u32 v3, v2, s66
	v_sub_u32_e32 v3, v4, v3
	v_cmp_le_u32_e32 vcc, s66, v3
	v_subrev_u32_e32 v4, s66, v3
	v_cndmask_b32_e32 v3, v3, v4, vcc
	v_cmp_le_u32_e64 s[26:27], s66, v3
	v_add_u32_e32 v3, 1, v2
	v_cndmask_b32_e32 v2, v2, v3, vcc
	v_add_u32_e32 v3, 1, v2
	v_cndmask_b32_e64 v2, v2, v3, s[26:27]
	v_mov_b32_e32 v3, v29
.LBB2_52:                               ;   in Loop: Header=BB2_47 Depth=1
	s_or_b64 exec, exec, s[40:41]
	v_add_co_u32_e32 v2, vcc, 15, v2
	v_addc_co_u32_e32 v3, vcc, 0, v3, vcc
	v_and_b32_e32 v2, -16, v2
	buffer_store_dword v2, off, s[0:3], s33 offset:228 ; 4-byte Folded Spill
	s_nop 0
	buffer_store_dword v3, off, s[0:3], s33 offset:232 ; 4-byte Folded Spill
.LBB2_53:                               ;   in Loop: Header=BB2_47 Depth=1
	s_or_b64 exec, exec, s[28:29]
	buffer_load_dword v8, off, s[0:3], s33 offset:228 ; 4-byte Folded Reload
	buffer_load_dword v9, off, s[0:3], s33 offset:232 ; 4-byte Folded Reload
	v_readlane_b32 s8, v62, 8
	v_mov_b32_e32 v15, 0
	s_waitcnt vmcnt(0)
	v_mul_lo_u32 v3, v8, s8
	s_waitcnt vmcnt(0)
	v_mul_lo_u32 v2, v9, s71
	v_mad_u64_u32 v[10:11], s[26:27], v8, s71, 0
	v_add3_u32 v11, v11, v3, v2
	buffer_load_dword v2, off, s[0:3], s33 offset:284 ; 4-byte Folded Reload
	buffer_load_dword v3, off, s[0:3], s33 offset:288 ; 4-byte Folded Reload
	buffer_load_dword v4, off, s[0:3], s33 offset:272 ; 4-byte Folded Reload
	buffer_load_dword v5, off, s[0:3], s33 offset:276 ; 4-byte Folded Reload
	s_waitcnt vmcnt(0)
	v_add_co_u32_e32 v2, vcc, v4, v2
	buffer_store_dword v2, off, s[0:3], s33 offset:152 ; 4-byte Folded Spill
	s_waitcnt vmcnt(1)
	v_addc_co_u32_e32 v2, vcc, v5, v3, vcc
	buffer_store_dword v2, off, s[0:3], s33 offset:156 ; 4-byte Folded Spill
	buffer_load_dword v2, off, s[0:3], s33 offset:220 ; 4-byte Folded Reload
	s_nop 0
	buffer_load_dword v3, off, s[0:3], s33 offset:224 ; 4-byte Folded Reload
	s_waitcnt vmcnt(0)
	v_sub_co_u32_e32 v2, vcc, v2, v10
	buffer_store_dword v10, off, s[0:3], s33 offset:264 ; 4-byte Folded Spill
	s_nop 0
	buffer_store_dword v11, off, s[0:3], s33 offset:268 ; 4-byte Folded Spill
	s_waitcnt vmcnt(2)
	v_subb_co_u32_e32 v3, vcc, v3, v11, vcc
	v_cmp_lt_i64_e32 vcc, v[8:9], v[2:3]
	v_cndmask_b32_e32 v3, v2, v8, vcc
	v_max_i32_e32 v11, 0, v3
	v_add_u32_e32 v4, 31, v11
	v_lshrrev_b32_e32 v4, 1, v4
	v_and_b32_e32 v4, 0x3ffffff0, v4
	v_cmp_lt_i32_e32 vcc, 0, v3
	v_mov_b32_e32 v2, 0
	v_max_i32_e32 v23, s81, v4
	s_and_b64 s[26:27], s[74:75], vcc
	s_and_saveexec_b64 s[42:43], s[26:27]
	s_cbranch_execz .LBB2_1855
; %bb.54:                               ;   in Loop: Header=BB2_47 Depth=1
	s_mov_b32 s8, 1
	s_mov_b64 s[92:93], -1
	v_mov_b32_e32 v15, 0
	s_mov_b64 s[90:91], 0
	buffer_store_dword v11, off, s[0:3], s33 offset:260 ; 4-byte Folded Spill
	s_branch .LBB2_57
.LBB2_55:                               ;   in Loop: Header=BB2_57 Depth=2
	s_or_b64 exec, exec, s[28:29]
	v_add_co_u32_e32 v24, vcc, 2, v24
	v_addc_co_u32_e32 v25, vcc, 0, v25, vcc
	flat_store_dwordx2 v[20:21], v[24:25]
.LBB2_56:                               ;   in Loop: Header=BB2_57 Depth=2
	s_or_b64 exec, exec, s[26:27]
	v_add_u32_e32 v15, v23, v15
	v_cmp_ge_i32_e32 vcc, v15, v11
	s_xor_b64 s[26:27], s[92:93], -1
	s_or_b64 s[26:27], s[26:27], vcc
	s_and_b64 s[26:27], exec, s[26:27]
	s_or_b64 s[90:91], s[26:27], s[90:91]
	s_mov_b64 s[92:93], 0
	v_mov_b32_e32 v2, s8
	s_mov_b32 s8, 2
	s_andn2_b64 exec, exec, s[90:91]
	s_cbranch_execz .LBB2_1854
.LBB2_57:                               ;   Parent Loop BB2_47 Depth=1
                                        ; =>  This Loop Header: Depth=2
                                        ;       Child Loop BB2_65 Depth 3
                                        ;       Child Loop BB2_89 Depth 3
	;; [unrolled: 1-line block ×9, first 2 shown]
	s_and_saveexec_b64 s[26:27], s[4:5]
	s_cbranch_execz .LBB2_59
; %bb.58:                               ;   in Loop: Header=BB2_57 Depth=2
	s_trap 2
	buffer_load_dword v4, off, s[0:3], s33 offset:152 ; 4-byte Folded Reload
	ds_read_b64 v[2:3], v0
	s_waitcnt vmcnt(0) lgkmcnt(0)
	v_add_co_u32_e32 v2, vcc, v2, v4
	buffer_load_dword v4, off, s[0:3], s33 offset:156 ; 4-byte Folded Reload
	s_waitcnt vmcnt(0)
	v_addc_co_u32_e32 v3, vcc, v3, v4, vcc
	buffer_load_dword v4, off, s[0:3], s33 offset:264 ; 4-byte Folded Reload
	buffer_load_dword v5, off, s[0:3], s33 offset:268 ; 4-byte Folded Reload
	s_waitcnt vmcnt(1)
	v_add_co_u32_e32 v2, vcc, v2, v4
	s_waitcnt vmcnt(0)
	v_addc_co_u32_e32 v3, vcc, v3, v5, vcc
	v_ashrrev_i32_e32 v4, 31, v15
	v_add_co_u32_e32 v2, vcc, v2, v15
	v_addc_co_u32_e32 v3, vcc, v3, v4, vcc
	ds_write_b64 v0, v[2:3]
	v_mov_b32_e32 v2, v29
	v_mov_b32_e32 v3, v29
	ds_write_b64 v0, v[2:3]
.LBB2_59:                               ;   in Loop: Header=BB2_57 Depth=2
	s_or_b64 exec, exec, s[26:27]
	v_sub_u32_e32 v2, v11, v15
	v_min_i32_e32 v23, v23, v2
	v_and_b32_e32 v2, 8, v34
	v_cmp_ne_u32_e32 vcc, 0, v2
	s_and_saveexec_b64 s[28:29], vcc
	s_cbranch_execz .LBB2_81
; %bb.60:                               ;   in Loop: Header=BB2_57 Depth=2
	s_waitcnt lgkmcnt(0)
	v_add_co_u32_e32 v2, vcc, 8, v26
	v_addc_co_u32_e32 v3, vcc, 0, v27, vcc
	v_add_co_u32_e32 v4, vcc, 2, v24
	v_addc_co_u32_e32 v5, vcc, 0, v25, vcc
	v_cmp_lt_u64_e32 vcc, v[2:3], v[4:5]
	s_and_saveexec_b64 s[40:41], vcc
	s_cbranch_execz .LBB2_72
; %bb.61:                               ;   in Loop: Header=BB2_57 Depth=2
	v_and_b32_e32 v2, 64, v34
	s_mov_b32 s64, 0
	v_cmp_eq_u32_e32 vcc, 0, v2
	s_mov_b64 s[94:95], 0
                                        ; implicit-def: $sgpr30_sgpr31
                                        ; implicit-def: $sgpr34_sgpr35
                                        ; implicit-def: $sgpr36_sgpr37
	s_branch .LBB2_65
.LBB2_62:                               ;   in Loop: Header=BB2_65 Depth=3
	s_waitcnt vmcnt(0) lgkmcnt(0)
	v_add_co_u32_e64 v8, s[26:27], 8, v26
	v_addc_co_u32_e64 v9, s[26:27], 0, v27, s[26:27]
	v_cmp_ge_u64_e64 s[26:27], v[8:9], v[4:5]
	s_or_b64 s[50:51], s[50:51], exec
	s_orn2_b64 s[48:49], s[26:27], exec
.LBB2_63:                               ;   in Loop: Header=BB2_65 Depth=3
	s_or_b64 exec, exec, s[54:55]
	s_andn2_b64 s[26:27], s[36:37], exec
	s_and_b64 s[36:37], s[50:51], exec
	s_or_b64 s[36:37], s[26:27], s[36:37]
	s_andn2_b64 s[26:27], s[34:35], exec
	s_and_b64 s[34:35], s[48:49], exec
	s_or_b64 s[34:35], s[26:27], s[34:35]
.LBB2_64:                               ;   in Loop: Header=BB2_65 Depth=3
	s_or_b64 exec, exec, s[38:39]
	s_and_b64 s[26:27], exec, s[34:35]
	s_or_b64 s[94:95], s[26:27], s[94:95]
	s_andn2_b64 s[26:27], s[30:31], exec
	s_and_b64 s[30:31], s[36:37], exec
	s_or_b64 s[30:31], s[26:27], s[30:31]
	s_andn2_b64 exec, exec, s[94:95]
	s_cbranch_execz .LBB2_69
.LBB2_65:                               ;   Parent Loop BB2_47 Depth=1
                                        ;     Parent Loop BB2_57 Depth=2
                                        ; =>    This Inner Loop Header: Depth=3
	s_sleep 1
	s_waitcnt vmcnt(0) lgkmcnt(0)
	flat_load_dwordx2 v[26:27], v[20:21] glc
	s_or_b64 s[36:37], s[36:37], exec
	s_or_b64 s[34:35], s[34:35], exec
                                        ; implicit-def: $vgpr2
	s_and_saveexec_b64 s[38:39], vcc
	s_cbranch_execz .LBB2_64
; %bb.66:                               ;   in Loop: Header=BB2_65 Depth=3
	s_cmpk_lt_i32 s64, 0x270f
	s_cselect_b64 s[52:53], -1, 0
	s_cmpk_gt_i32 s64, 0x270e
	s_mov_b64 s[48:49], -1
	s_cbranch_scc0 .LBB2_68
; %bb.67:                               ;   in Loop: Header=BB2_65 Depth=3
	s_trap 2
	ds_read_b64 v[2:3], v0
	s_andn2_b64 s[52:53], s[52:53], exec
	s_mov_b32 s64, 0
	s_mov_b64 s[50:51], 0
	s_waitcnt vmcnt(0) lgkmcnt(0)
	flat_load_dword v2, v[2:3] glc
	s_waitcnt vmcnt(0) lgkmcnt(0)
	buffer_wbinvl1_vol
	v_cmp_eq_u32_e64 s[26:27], 0, v2
	s_and_b64 s[26:27], s[26:27], exec
	s_or_b64 s[52:53], s[52:53], s[26:27]
	s_and_saveexec_b64 s[54:55], s[52:53]
	s_cbranch_execz .LBB2_63
	s_branch .LBB2_62
.LBB2_68:                               ;   in Loop: Header=BB2_65 Depth=3
	s_add_i32 s64, s64, 1
	s_mov_b64 s[50:51], -1
                                        ; implicit-def: $vgpr2
	s_and_saveexec_b64 s[54:55], s[52:53]
	s_cbranch_execz .LBB2_63
	s_branch .LBB2_62
.LBB2_69:                               ;   in Loop: Header=BB2_57 Depth=2
	s_or_b64 exec, exec, s[94:95]
	s_xor_b64 s[26:27], s[30:31], -1
	s_and_saveexec_b64 s[94:95], s[26:27]
	s_xor_b64 s[26:27], exec, s[94:95]
	s_cbranch_execz .LBB2_71
; %bb.70:                               ;   in Loop: Header=BB2_57 Depth=2
	v_or_b32_e32 v34, 64, v34
	s_waitcnt lgkmcnt(0)
	ds_write_b32 v0, v2
	s_trap 2
.LBB2_71:                               ;   in Loop: Header=BB2_57 Depth=2
	s_or_b64 exec, exec, s[26:27]
.LBB2_72:                               ;   in Loop: Header=BB2_57 Depth=2
	s_or_b64 exec, exec, s[40:41]
	v_and_b32_e32 v2, 0x100, v34
	v_cmp_ne_u32_e32 vcc, 0, v2
	v_and_b32_e32 v10, 7, v24
	s_mov_b64 s[26:27], -1
	;;#ASMSTART
	s_wakeup
	;;#ASMEND
                                        ; implicit-def: $vgpr2_vgpr3
	s_and_saveexec_b64 s[40:41], vcc
	s_cbranch_execz .LBB2_76
; %bb.73:                               ;   in Loop: Header=BB2_57 Depth=2
	buffer_load_dword v16, off, s[0:3], s33 offset:92 ; 4-byte Folded Reload
	buffer_load_dword v17, off, s[0:3], s33 offset:96 ; 4-byte Folded Reload
	;; [unrolled: 1-line block ×4, first 2 shown]
	v_ashrrev_i32_e32 v24, 31, v23
	s_waitcnt vmcnt(0)
	v_mad_u64_u32 v[8:9], s[26:27], v10, 24, v[16:17]
	flat_load_dword v2, v[8:9]
	s_nop 0
	flat_store_dwordx2 v[8:9], v[23:24] offset:8
	s_waitcnt vmcnt(0) lgkmcnt(0)
	v_cmp_ne_u32_e32 vcc, 1, v2
	v_cmp_eq_u32_e64 s[26:27], 1, v2
                                        ; implicit-def: $vgpr2_vgpr3
	s_and_saveexec_b64 s[94:95], s[26:27]
	s_cbranch_execz .LBB2_75
; %bb.74:                               ;   in Loop: Header=BB2_57 Depth=2
	flat_load_dword v2, v[8:9] offset:4 glc
	s_waitcnt vmcnt(0) lgkmcnt(0)
	v_ashrrev_i32_e32 v3, 31, v2
.LBB2_75:                               ;   in Loop: Header=BB2_57 Depth=2
	s_or_b64 exec, exec, s[94:95]
	s_orn2_b64 s[26:27], vcc, exec
.LBB2_76:                               ;   in Loop: Header=BB2_57 Depth=2
	s_or_b64 exec, exec, s[40:41]
	s_and_saveexec_b64 s[40:41], s[26:27]
	s_cbranch_execz .LBB2_78
; %bb.77:                               ;   in Loop: Header=BB2_57 Depth=2
	buffer_load_dword v2, off, s[0:3], s33 offset:116 ; 4-byte Folded Reload
	s_waitcnt vmcnt(0)
	v_mad_i64_i32 v[2:3], s[26:27], v10, v2, 0
.LBB2_78:                               ;   in Loop: Header=BB2_57 Depth=2
	s_or_b64 exec, exec, s[40:41]
	buffer_load_dword v8, off, s[0:3], s33 offset:84 ; 4-byte Folded Reload
	buffer_load_dword v9, off, s[0:3], s33 offset:88 ; 4-byte Folded Reload
	s_waitcnt vmcnt(0)
	v_add_co_u32_e32 v2, vcc, v8, v2
	v_addc_co_u32_e32 v3, vcc, v9, v3, vcc
	ds_write_b64 v0, v[2:3] offset:784
	v_and_b32_e32 v2, 0x2000, v34
	v_cmp_ne_u32_e32 vcc, 0, v2
	s_and_saveexec_b64 s[26:27], vcc
	s_cbranch_execz .LBB2_80
; %bb.79:                               ;   in Loop: Header=BB2_57 Depth=2
	ds_read_b64 v[2:3], v0 offset:872
	s_waitcnt lgkmcnt(0)
	v_add_co_u32_e32 v2, vcc, 1, v2
	v_addc_co_u32_e32 v3, vcc, 0, v3, vcc
	ds_write_b64 v0, v[2:3] offset:872
.LBB2_80:                               ;   in Loop: Header=BB2_57 Depth=2
	s_or_b64 exec, exec, s[26:27]
	v_mov_b32_e32 v25, v5
	v_mov_b32_e32 v24, v4
.LBB2_81:                               ;   in Loop: Header=BB2_57 Depth=2
	s_or_b64 exec, exec, s[28:29]
	s_and_saveexec_b64 s[26:27], s[12:13]
	s_cbranch_execz .LBB2_100
; %bb.82:                               ;   in Loop: Header=BB2_57 Depth=2
	s_and_saveexec_b64 s[28:29], s[58:59]
	s_xor_b64 s[28:29], exec, s[28:29]
	s_cbranch_execz .LBB2_97
; %bb.83:                               ;   in Loop: Header=BB2_57 Depth=2
	s_and_saveexec_b64 s[40:41], s[6:7]
	s_cbranch_execz .LBB2_96
; %bb.84:                               ;   in Loop: Header=BB2_57 Depth=2
	s_mov_b64 s[30:31], exec
	v_mbcnt_lo_u32_b32 v2, s30, 0
	v_mbcnt_hi_u32_b32 v2, s31, v2
	v_cmp_eq_u32_e32 vcc, 0, v2
	s_waitcnt vmcnt(0) lgkmcnt(0)
	buffer_wbinvl1_vol
	s_and_saveexec_b64 s[94:95], vcc
	s_cbranch_execz .LBB2_86
; %bb.85:                               ;   in Loop: Header=BB2_57 Depth=2
	s_bcnt1_i32_b64 vcc_lo, s[30:31]
	v_mov_b32_e32 v2, vcc_lo
	v_mov_b32_e32 v3, v29
	ds_add_u64 v0, v[2:3]
	s_trap 2
.LBB2_86:                               ;   in Loop: Header=BB2_57 Depth=2
	s_or_b64 exec, exec, s[94:95]
	s_trap 2
	ds_read_b64 v[2:3], v0
	s_waitcnt lgkmcnt(0)
	v_add_co_u32_e32 v12, vcc, v12, v36
	v_addc_co_u32_e32 v13, vcc, 0, v13, vcc
	v_cmp_lt_u64_e32 vcc, v[2:3], v[12:13]
	s_and_saveexec_b64 s[94:95], vcc
	s_cbranch_execz .LBB2_95
; %bb.87:                               ;   in Loop: Header=BB2_57 Depth=2
	s_mov_b32 s50, 0
	s_mov_b64 s[30:31], 0
                                        ; implicit-def: $sgpr34_sgpr35
                                        ; implicit-def: $sgpr36_sgpr37
	s_branch .LBB2_89
.LBB2_88:                               ;   in Loop: Header=BB2_89 Depth=3
	s_or_b64 exec, exec, s[48:49]
	s_and_b64 vcc, exec, vcc
	s_or_b64 s[30:31], vcc, s[30:31]
	s_andn2_b64 vcc, s[34:35], exec
	s_and_b64 s[34:35], s[36:37], exec
	s_or_b64 s[34:35], vcc, s[34:35]
	s_andn2_b64 exec, exec, s[30:31]
	s_cbranch_execz .LBB2_93
.LBB2_89:                               ;   Parent Loop BB2_47 Depth=1
                                        ;     Parent Loop BB2_57 Depth=2
                                        ; =>    This Inner Loop Header: Depth=3
	s_add_i32 s50, s50, 1
	s_cmpk_lg_i32 s50, 0x2710
	s_cselect_b64 s[38:39], -1, 0
	s_and_b64 vcc, exec, s[38:39]
	s_cbranch_vccz .LBB2_91
; %bb.90:                               ;   in Loop: Header=BB2_89 Depth=3
	s_mov_b64 vcc, -1
	s_or_b64 s[36:37], s[36:37], exec
	s_and_saveexec_b64 s[48:49], s[38:39]
	s_cbranch_execz .LBB2_88
	s_branch .LBB2_92
.LBB2_91:                               ;   in Loop: Header=BB2_89 Depth=3
	s_trap 2
	ds_read_b64 v[2:3], v0
	s_andn2_b64 s[38:39], s[38:39], exec
	s_mov_b32 s50, 0
	s_waitcnt lgkmcnt(0)
	flat_load_dword v2, v[2:3] glc
	s_waitcnt vmcnt(0) lgkmcnt(0)
	buffer_wbinvl1_vol
	v_cmp_eq_u32_e32 vcc, 0, v2
	s_and_b64 vcc, vcc, exec
	s_or_b64 s[38:39], s[38:39], vcc
	s_mov_b64 vcc, -1
	s_or_b64 s[36:37], s[36:37], exec
	s_and_saveexec_b64 s[48:49], s[38:39]
	s_cbranch_execz .LBB2_88
.LBB2_92:                               ;   in Loop: Header=BB2_89 Depth=3
	s_sleep 1
	s_trap 2
	ds_read_b64 v[2:3], v0
	s_waitcnt lgkmcnt(0)
	s_andn2_b64 s[36:37], s[36:37], exec
	v_cmp_ge_u64_e32 vcc, v[2:3], v[12:13]
	s_orn2_b64 vcc, vcc, exec
	s_branch .LBB2_88
.LBB2_93:                               ;   in Loop: Header=BB2_57 Depth=2
	s_or_b64 exec, exec, s[30:31]
	s_and_saveexec_b64 vcc, s[34:35]
	s_xor_b64 vcc, exec, vcc
	s_cbranch_execz .LBB2_95
; %bb.94:                               ;   in Loop: Header=BB2_57 Depth=2
	v_mov_b32_e32 v2, 1
	ds_write_b32 v0, v2
	s_trap 2
.LBB2_95:                               ;   in Loop: Header=BB2_57 Depth=2
	s_or_b64 exec, exec, s[94:95]
	;;#ASMSTART
	s_wakeup
	;;#ASMEND
.LBB2_96:                               ;   in Loop: Header=BB2_57 Depth=2
	s_or_b64 exec, exec, s[40:41]
.LBB2_97:                               ;   in Loop: Header=BB2_57 Depth=2
	s_andn2_saveexec_b64 s[28:29], s[28:29]
	s_cbranch_execz .LBB2_99
; %bb.98:                               ;   in Loop: Header=BB2_57 Depth=2
	s_waitcnt vmcnt(0) lgkmcnt(0)
	buffer_wbinvl1_vol
	s_barrier
.LBB2_99:                               ;   in Loop: Header=BB2_57 Depth=2
	s_or_b64 exec, exec, s[28:29]
.LBB2_100:                              ;   in Loop: Header=BB2_57 Depth=2
	s_or_b64 exec, exec, s[26:27]
	s_trap 2
	ds_read_b32 v2, v0
	v_and_b32_e32 v3, 0x4000, v34
	v_cmp_ne_u32_e32 vcc, 0, v3
	s_xor_b64 s[26:27], s[10:11], -1
	s_and_b64 s[28:29], s[26:27], vcc
	s_and_saveexec_b64 s[26:27], s[28:29]
	s_cbranch_execz .LBB2_119
; %bb.101:                              ;   in Loop: Header=BB2_57 Depth=2
	s_and_saveexec_b64 s[28:29], s[58:59]
	s_xor_b64 s[28:29], exec, s[28:29]
	s_cbranch_execz .LBB2_116
; %bb.102:                              ;   in Loop: Header=BB2_57 Depth=2
	s_and_saveexec_b64 s[40:41], s[6:7]
	s_cbranch_execz .LBB2_115
; %bb.103:                              ;   in Loop: Header=BB2_57 Depth=2
	s_mov_b64 s[30:31], exec
	v_mbcnt_lo_u32_b32 v3, s30, 0
	v_mbcnt_hi_u32_b32 v3, s31, v3
	v_cmp_eq_u32_e32 vcc, 0, v3
	s_waitcnt vmcnt(0) lgkmcnt(0)
	buffer_wbinvl1_vol
	s_and_saveexec_b64 s[94:95], vcc
	s_cbranch_execz .LBB2_105
; %bb.104:                              ;   in Loop: Header=BB2_57 Depth=2
	s_bcnt1_i32_b64 vcc_lo, s[30:31]
	v_mov_b32_e32 v3, vcc_lo
	v_mov_b32_e32 v4, v29
	ds_add_u64 v0, v[3:4]
	s_trap 2
.LBB2_105:                              ;   in Loop: Header=BB2_57 Depth=2
	s_or_b64 exec, exec, s[94:95]
	s_trap 2
	ds_read_b64 v[3:4], v0
	s_waitcnt lgkmcnt(0)
	v_add_co_u32_e32 v12, vcc, v12, v36
	v_addc_co_u32_e32 v13, vcc, 0, v13, vcc
	v_cmp_lt_u64_e32 vcc, v[3:4], v[12:13]
	s_and_saveexec_b64 s[94:95], vcc
	s_cbranch_execz .LBB2_114
; %bb.106:                              ;   in Loop: Header=BB2_57 Depth=2
	s_mov_b32 s50, 0
	s_mov_b64 s[30:31], 0
                                        ; implicit-def: $sgpr34_sgpr35
                                        ; implicit-def: $sgpr36_sgpr37
	s_branch .LBB2_108
.LBB2_107:                              ;   in Loop: Header=BB2_108 Depth=3
	s_or_b64 exec, exec, s[48:49]
	s_and_b64 vcc, exec, vcc
	s_or_b64 s[30:31], vcc, s[30:31]
	s_andn2_b64 vcc, s[34:35], exec
	s_and_b64 s[34:35], s[36:37], exec
	s_or_b64 s[34:35], vcc, s[34:35]
	s_andn2_b64 exec, exec, s[30:31]
	s_cbranch_execz .LBB2_112
.LBB2_108:                              ;   Parent Loop BB2_47 Depth=1
                                        ;     Parent Loop BB2_57 Depth=2
                                        ; =>    This Inner Loop Header: Depth=3
	s_add_i32 s50, s50, 1
	s_cmpk_lg_i32 s50, 0x2710
	s_cselect_b64 s[38:39], -1, 0
	s_and_b64 vcc, exec, s[38:39]
	s_cbranch_vccz .LBB2_110
; %bb.109:                              ;   in Loop: Header=BB2_108 Depth=3
	s_mov_b64 vcc, -1
	s_or_b64 s[36:37], s[36:37], exec
	s_and_saveexec_b64 s[48:49], s[38:39]
	s_cbranch_execz .LBB2_107
	s_branch .LBB2_111
.LBB2_110:                              ;   in Loop: Header=BB2_108 Depth=3
	s_trap 2
	ds_read_b64 v[3:4], v0
	s_andn2_b64 s[38:39], s[38:39], exec
	s_mov_b32 s50, 0
	s_waitcnt lgkmcnt(0)
	flat_load_dword v3, v[3:4] glc
	s_waitcnt vmcnt(0) lgkmcnt(0)
	buffer_wbinvl1_vol
	v_cmp_eq_u32_e32 vcc, 0, v3
	s_and_b64 vcc, vcc, exec
	s_or_b64 s[38:39], s[38:39], vcc
	s_mov_b64 vcc, -1
	s_or_b64 s[36:37], s[36:37], exec
	s_and_saveexec_b64 s[48:49], s[38:39]
	s_cbranch_execz .LBB2_107
.LBB2_111:                              ;   in Loop: Header=BB2_108 Depth=3
	s_sleep 1
	s_trap 2
	ds_read_b64 v[3:4], v0
	s_waitcnt lgkmcnt(0)
	s_andn2_b64 s[36:37], s[36:37], exec
	v_cmp_ge_u64_e32 vcc, v[3:4], v[12:13]
	s_orn2_b64 vcc, vcc, exec
	s_branch .LBB2_107
.LBB2_112:                              ;   in Loop: Header=BB2_57 Depth=2
	s_or_b64 exec, exec, s[30:31]
	s_and_saveexec_b64 vcc, s[34:35]
	s_xor_b64 vcc, exec, vcc
	s_cbranch_execz .LBB2_114
; %bb.113:                              ;   in Loop: Header=BB2_57 Depth=2
	v_mov_b32_e32 v3, 1
	ds_write_b32 v0, v3
	s_trap 2
.LBB2_114:                              ;   in Loop: Header=BB2_57 Depth=2
	s_or_b64 exec, exec, s[94:95]
	;;#ASMSTART
	s_wakeup
	;;#ASMEND
.LBB2_115:                              ;   in Loop: Header=BB2_57 Depth=2
	s_or_b64 exec, exec, s[40:41]
.LBB2_116:                              ;   in Loop: Header=BB2_57 Depth=2
	s_andn2_saveexec_b64 s[28:29], s[28:29]
	s_cbranch_execz .LBB2_118
; %bb.117:                              ;   in Loop: Header=BB2_57 Depth=2
	s_waitcnt vmcnt(0) lgkmcnt(0)
	buffer_wbinvl1_vol
	s_barrier
.LBB2_118:                              ;   in Loop: Header=BB2_57 Depth=2
	s_or_b64 exec, exec, s[28:29]
.LBB2_119:                              ;   in Loop: Header=BB2_57 Depth=2
	s_or_b64 exec, exec, s[26:27]
	s_trap 2
	ds_read_b64 v[54:55], v0
	s_waitcnt lgkmcnt(0)
	v_cmp_eq_u64_e32 vcc, 0, v[54:55]
	s_cbranch_vccnz .LBB2_127
; %bb.120:                              ;   in Loop: Header=BB2_57 Depth=2
	buffer_store_dword v23, off, s[0:3], s33 offset:236 ; 4-byte Folded Spill
	s_nop 0
	buffer_store_dword v24, off, s[0:3], s33 offset:240 ; 4-byte Folded Spill
	s_trap 2
	ds_read_b64 v[40:41], v0
	s_waitcnt lgkmcnt(0)
	v_cmp_eq_u64_e32 vcc, 0, v[40:41]
	s_cbranch_vccnz .LBB2_128
; %bb.121:                              ;   in Loop: Header=BB2_57 Depth=2
	s_mov_b64 s[28:29], -1
	s_and_saveexec_b64 s[26:27], s[14:15]
	s_cbranch_execz .LBB2_123
; %bb.122:                              ;   in Loop: Header=BB2_57 Depth=2
	ds_read_b32 v3, v0 offset:720
	s_waitcnt lgkmcnt(0)
	v_and_b32_e32 v3, 15, v3
	v_cmp_eq_u32_e32 vcc, 0, v3
	s_orn2_b64 s[28:29], vcc, exec
.LBB2_123:                              ;   in Loop: Header=BB2_57 Depth=2
	s_or_b64 exec, exec, s[26:27]
	s_and_saveexec_b64 s[26:27], s[16:17]
	s_cbranch_execz .LBB2_125
; %bb.124:                              ;   in Loop: Header=BB2_57 Depth=2
	ds_read_b32 v3, v0 offset:784
	s_waitcnt lgkmcnt(0)
	v_and_b32_e32 v3, 15, v3
	v_cmp_eq_u32_e32 vcc, 0, v3
	s_and_b64 s[40:41], s[28:29], vcc
	s_andn2_b64 s[28:29], s[28:29], exec
	s_and_b64 s[40:41], s[40:41], exec
	s_or_b64 s[28:29], s[28:29], s[40:41]
.LBB2_125:                              ;   in Loop: Header=BB2_57 Depth=2
	s_or_b64 exec, exec, s[26:27]
	v_cmp_eq_u32_e32 vcc, 0, v2
	buffer_load_dword v2, off, s[0:3], s33 offset:236 ; 4-byte Folded Reload
	buffer_load_dword v3, off, s[0:3], s33 offset:240 ; 4-byte Folded Reload
	;; [unrolled: 1-line block ×3, first 2 shown]
	s_xor_b64 s[28:29], s[28:29], -1
	s_mov_b64 s[26:27], -1
	v_mov_b32_e32 v10, 0
	s_waitcnt vmcnt(0)
	v_cndmask_b32_e32 v11, 0, v2, vcc
	v_cndmask_b32_e64 v2, 0, 1, s[28:29]
	v_cmp_ne_u32_e32 vcc, 0, v2
	buffer_store_dword v11, off, s[0:3], s33 offset:248 ; 4-byte Folded Spill
	s_cbranch_vccz .LBB2_129
; %bb.126:                              ;   in Loop: Header=BB2_57 Depth=2
	s_and_saveexec_b64 s[28:29], s[26:27]
	s_cbranch_execnz .LBB2_1500
	s_branch .LBB2_1808
.LBB2_127:                              ;   in Loop: Header=BB2_57 Depth=2
	s_mov_b64 s[26:27], 0
	s_and_saveexec_b64 s[28:29], s[12:13]
	s_cbranch_execnz .LBB2_1810
	s_branch .LBB2_1828
.LBB2_128:                              ;   in Loop: Header=BB2_57 Depth=2
	s_mov_b64 s[26:27], 0
	s_branch .LBB2_1809
.LBB2_129:                              ;   in Loop: Header=BB2_57 Depth=2
	buffer_load_dword v3, off, s[0:3], s33 offset:248 ; 4-byte Folded Reload
	s_waitcnt vmcnt(0)
	v_ashrrev_i32_e32 v2, 31, v3
	v_lshrrev_b32_e32 v2, 21, v2
	v_add_u32_e32 v2, v3, v2
	v_ashrrev_i32_e32 v3, 11, v2
	buffer_load_dword v2, off, s[0:3], s33 offset:172 ; 4-byte Folded Reload
	s_waitcnt vmcnt(0)
	v_sub_u32_e32 v5, v3, v2
	v_cmp_lt_i32_e32 vcc, 0, v5
	s_and_saveexec_b64 s[40:41], vcc
	s_cbranch_execz .LBB2_1037
; %bb.130:                              ;   in Loop: Header=BB2_57 Depth=2
	buffer_store_dword v3, off, s[0:3], s33 offset:280 ; 4-byte Folded Spill
	s_trap 2
	ds_read_b64 v[2:3], v0
	s_waitcnt lgkmcnt(0)
	v_readfirstlane_b32 s28, v2
	s_bfe_i32 s94, s28, 0x80000
	s_and_b32 s29, s28, 3
	s_bfe_u32 s26, s28, 0x50002
	s_and_b32 s27, s28, 0x7c
	s_cmpk_eq_i32 s27, 0x7c
	s_flbit_i32_b32 s27, s29
	s_cselect_b64 vcc, -1, 0
	s_min_u32 s27, s27, 32
	s_sub_i32 s95, s27, 29
	v_lshlrev_b64 v[2:3], s95, v[2:3]
	s_sub_i32 s27, 30, s27
	s_cmp_eq_u32 s26, 0
	v_and_b32_e32 v2, 3, v2
	s_cselect_b32 s95, s27, s26
	v_mov_b32_e32 v3, s29
	s_cselect_b64 s[26:27], -1, 0
	v_cndmask_b32_e64 v2, v3, v2, s[26:27]
	s_lshl_b32 s26, s28, 24
	s_and_b32 s26, s26, 0x80000000
	s_lshl_b32 s27, s95, 23
	s_add_i32 s27, s27, s26
	v_lshlrev_b32_e32 v2, 21, v2
	s_cmp_eq_u32 s29, 0
	s_sext_i32_i8 s28, s28
	v_or_b32_e32 v2, s27, v2
	s_cselect_b64 s[26:27], -1, 0
	s_cmp_gt_i32 s28, -1
	s_cselect_b64 s[28:29], -1, 0
	v_cndmask_b32_e64 v3, v7, v0, s[28:29]
	v_add_u32_e32 v2, 0x38000000, v2
	v_cndmask_b32_e64 v3, v35, v3, s[26:27]
	v_cndmask_b32_e32 v2, v2, v3, vcc
	buffer_store_dword v2, off, s[0:3], s33 offset:244 ; 4-byte Folded Spill
	buffer_load_dword v42, off, s[0:3], s33 offset:252 ; 4-byte Folded Reload
	buffer_load_dword v43, off, s[0:3], s33 offset:256 ; 4-byte Folded Reload
	s_mov_b64 s[28:29], 0
	s_and_b32 s38, s94, 0xff
	s_branch .LBB2_133
.LBB2_131:                              ;   in Loop: Header=BB2_133 Depth=3
	s_or_b64 exec, exec, s[94:95]
.LBB2_132:                              ;   in Loop: Header=BB2_133 Depth=3
	s_or_b64 exec, exec, s[26:27]
	buffer_load_dword v3, off, s[0:3], s33 offset:160 ; 4-byte Folded Reload
	buffer_load_dword v4, off, s[0:3], s33 offset:176 ; 4-byte Folded Reload
	;; [unrolled: 1-line block ×3, first 2 shown]
	v_lshlrev_b32_e32 v11, 16, v14
	v_lshlrev_b32_e32 v8, 24, v8
	;; [unrolled: 1-line block ×3, first 2 shown]
	v_sub_u32_e32 v5, v5, v36
	s_waitcnt vmcnt(2)
	v_lshl_or_b32 v3, v3, 8, v47
	s_waitcnt vmcnt(1)
	v_lshlrev_b32_e32 v4, 16, v4
	s_waitcnt vmcnt(0)
	v_lshlrev_b32_e32 v10, 24, v10
	v_or3_b32 v57, v3, v4, v10
	buffer_load_dword v4, off, s[0:3], s33 offset:144 ; 4-byte Folded Reload
	buffer_load_dword v10, off, s[0:3], s33 offset:148 ; 4-byte Folded Reload
	v_lshl_or_b32 v3, v56, 8, v46
	s_waitcnt vmcnt(1)
	v_lshlrev_b32_e32 v4, 16, v4
	s_waitcnt vmcnt(0)
	v_lshlrev_b32_e32 v10, 24, v10
	v_or3_b32 v56, v3, v4, v10
	buffer_load_dword v3, off, s[0:3], s33 offset:188 ; 4-byte Folded Reload
	buffer_load_dword v4, off, s[0:3], s33 offset:196 ; 4-byte Folded Reload
	v_lshlrev_b32_e32 v10, 24, v60
	s_waitcnt vmcnt(0)
	v_lshl_or_b32 v3, v4, 8, v3
	buffer_load_dword v4, off, s[0:3], s33 offset:204 ; 4-byte Folded Reload
	s_waitcnt vmcnt(0)
	v_lshlrev_b32_e32 v4, 16, v4
	v_or3_b32 v58, v3, v4, v10
	v_lshlrev_b32_e32 v3, 24, v17
	v_lshlrev_b32_e32 v4, 16, v61
	v_lshl_or_b32 v10, v37, 8, v23
	v_or3_b32 v59, v10, v4, v3
	v_lshl_or_b32 v10, v18, 8, v16
	v_or3_b32 v17, v10, v11, v8
	v_lshl_or_b32 v8, v45, 8, v44
	v_lshlrev_b32_e32 v10, 16, v52
	v_lshlrev_b32_e32 v11, 24, v53
	v_add_co_u32_e32 v3, vcc, v40, v42
	v_or3_b32 v16, v8, v10, v11
	v_lshl_or_b32 v8, v50, 8, v9
	v_lshlrev_b32_e32 v9, 16, v19
	v_lshlrev_b32_e32 v10, 24, v31
	v_addc_co_u32_e32 v4, vcc, v41, v43, vcc
	v_or3_b32 v18, v8, v9, v10
	v_lshlrev_b32_e32 v8, 16, v49
	v_lshl_or_b32 v9, v33, 8, v32
	v_or3_b32 v19, v9, v8, v2
	global_store_dwordx4 v[3:4], v[56:59], off glc slc
	global_store_dwordx4 v[3:4], v[16:19], off offset:1024 glc slc
	buffer_load_dword v2, off, s[0:3], s33 offset:212 ; 4-byte Folded Reload
	v_cmp_gt_i32_e32 vcc, 1, v5
	s_or_b64 s[28:29], vcc, s[28:29]
	s_waitcnt vmcnt(0)
	v_add_co_u32_e32 v42, vcc, v42, v2
	v_addc_co_u32_e32 v43, vcc, 0, v43, vcc
	s_andn2_b64 exec, exec, s[28:29]
	s_cbranch_execz .LBB2_1036
.LBB2_133:                              ;   Parent Loop BB2_47 Depth=1
                                        ;     Parent Loop BB2_57 Depth=2
                                        ; =>    This Inner Loop Header: Depth=3
	s_cmpk_lt_i32 s38, 0x80
	s_cbranch_scc1 .LBB2_137
; %bb.134:                              ;   in Loop: Header=BB2_133 Depth=3
	s_and_b32 s94, 0xffff, s38
	s_mov_b64 s[26:27], -1
	s_cmpk_eq_i32 s94, 0x80
	s_cbranch_scc0 .LBB2_136
; %bb.135:                              ;   in Loop: Header=BB2_133 Depth=3
	s_mov_b64 s[26:27], 0
.LBB2_136:                              ;   in Loop: Header=BB2_133 Depth=3
	s_brev_b32 s30, 1
	s_branch .LBB2_139
.LBB2_137:                              ;   in Loop: Header=BB2_133 Depth=3
	s_mov_b64 s[26:27], 0
	s_brev_b32 s30, 1
	s_cbranch_execz .LBB2_139
; %bb.138:                              ;   in Loop: Header=BB2_133 Depth=3
	s_and_b32 s26, 0xffff, s38
	s_cmp_lg_u32 s26, 0
	s_mov_b32 s30, 0
	s_cselect_b64 s[26:27], -1, 0
.LBB2_139:                              ;   in Loop: Header=BB2_133 Depth=3
	s_andn2_b64 vcc, exec, s[26:27]
	v_mov_b32_e32 v30, s30
	s_cbranch_vccnz .LBB2_141
; %bb.140:                              ;   in Loop: Header=BB2_133 Depth=3
	buffer_load_dword v30, off, s[0:3], s33 offset:244 ; 4-byte Folded Reload
.LBB2_141:                              ;   in Loop: Header=BB2_133 Depth=3
	s_waitcnt vmcnt(1)
	v_add_co_u32_e32 v44, vcc, v54, v42
	s_waitcnt vmcnt(0)
	v_addc_co_u32_e32 v45, vcc, v55, v43, vcc
	global_load_dwordx4 v[8:11], v[44:45], off glc slc
	v_mov_b32_e32 v2, 0
	s_waitcnt vmcnt(0)
	v_cmp_ne_u16_sdwa s[94:95], v8, v29 src0_sel:BYTE_0 src1_sel:DWORD
	s_and_saveexec_b64 s[26:27], s[94:95]
	s_cbranch_execz .LBB2_149
; %bb.142:                              ;   in Loop: Header=BB2_133 Depth=3
	v_cmp_ne_u16_sdwa vcc, sext(v8), s97 src0_sel:BYTE_0 src1_sel:DWORD
	v_bfrev_b32_e32 v2, 1
	s_and_saveexec_b64 s[94:95], vcc
	s_cbranch_execz .LBB2_148
; %bb.143:                              ;   in Loop: Header=BB2_133 Depth=3
	v_and_b32_e32 v2, 0x7c, v8
	v_and_b32_e32 v3, 3, v8
	v_cmp_ne_u32_e32 vcc, s85, v2
                                        ; implicit-def: $vgpr2
	s_and_saveexec_b64 s[30:31], vcc
	s_xor_b64 s[30:31], exec, s[30:31]
	s_cbranch_execz .LBB2_145
; %bb.144:                              ;   in Loop: Header=BB2_133 Depth=3
	v_ffbh_u32_e32 v4, v3
	v_min_u32_e32 v4, 32, v4
	v_bfe_u32 v2, v8, 2, 5
	v_subrev_u32_e32 v14, 29, v4
	v_lshlrev_b64 v[16:17], v14, v[8:9]
	v_sub_u32_e32 v4, 30, v4
	v_cmp_eq_u32_e32 vcc, 0, v2
	v_cndmask_b32_e32 v2, v2, v4, vcc
	v_lshlrev_b32_e32 v4, 24, v8
	v_and_b32_e32 v14, 3, v16
	v_and_b32_e32 v4, 0x80000000, v4
	v_cndmask_b32_e32 v3, v3, v14, vcc
	v_lshl_add_u32 v2, v2, 23, v4
	v_lshl_or_b32 v2, v3, 21, v2
	v_add_u32_e32 v2, 0x38000000, v2
                                        ; implicit-def: $vgpr3
.LBB2_145:                              ;   in Loop: Header=BB2_133 Depth=3
	s_andn2_saveexec_b64 s[30:31], s[30:31]
; %bb.146:                              ;   in Loop: Header=BB2_133 Depth=3
	v_cmp_gt_i16_sdwa vcc, sext(v8), v48 src0_sel:BYTE_0 src1_sel:DWORD
	v_cndmask_b32_e32 v2, v7, v0, vcc
	v_cmp_eq_u32_e32 vcc, 0, v3
	v_cndmask_b32_e32 v2, v35, v2, vcc
; %bb.147:                              ;   in Loop: Header=BB2_133 Depth=3
	s_or_b64 exec, exec, s[30:31]
.LBB2_148:                              ;   in Loop: Header=BB2_133 Depth=3
	s_or_b64 exec, exec, s[94:95]
.LBB2_149:                              ;   in Loop: Header=BB2_133 Depth=3
	s_or_b64 exec, exec, s[26:27]
	v_mul_f32_e32 v2, v30, v2
	v_and_b32_e32 v3, 0x7f800000, v2
	v_mov_b32_e32 v4, v29
	v_cmp_ne_u64_e32 vcc, s[76:77], v[3:4]
	v_and_b32_e32 v28, 0x7fffff, v2
                                        ; implicit-def: $vgpr46
	s_and_saveexec_b64 s[26:27], vcc
	s_xor_b64 s[94:95], exec, s[26:27]
	s_cbranch_execz .LBB2_163
; %bb.150:                              ;   in Loop: Header=BB2_133 Depth=3
	v_and_b32_e32 v3, 0x7fffffff, v2
	v_mov_b32_e32 v4, v29
	v_cmp_gt_u64_e32 vcc, s[78:79], v[3:4]
	v_and_b32_sdwa v14, v2, s96 dst_sel:DWORD dst_unused:UNUSED_PAD src0_sel:BYTE_3 src1_sel:DWORD
                                        ; implicit-def: $vgpr46
	s_and_saveexec_b64 s[26:27], vcc
	s_xor_b64 s[30:31], exec, s[26:27]
	s_cbranch_execz .LBB2_160
; %bb.151:                              ;   in Loop: Header=BB2_133 Depth=3
	v_mov_b32_e32 v46, 0
	v_cmp_ne_u32_e32 vcc, 0, v2
	s_and_saveexec_b64 s[34:35], vcc
	s_cbranch_execz .LBB2_159
; %bb.152:                              ;   in Loop: Header=BB2_133 Depth=3
	v_bfe_u32 v16, v2, 23, 8
	v_cmp_gt_u32_e64 s[26:27], s46, v16
	v_sub_u32_e32 v2, 0x71, v16
	v_cmp_eq_u32_e32 vcc, 0, v16
	v_cndmask_b32_e64 v2, 0, v2, s[26:27]
	v_mov_b32_e32 v4, 0x70
	v_cndmask_b32_e32 v17, v2, v4, vcc
	v_add_u32_e32 v4, 21, v17
	v_or_b32_e32 v3, 0x800000, v28
	v_lshlrev_b64 v[18:19], v4, -1
	v_cndmask_b32_e32 v2, v3, v28, vcc
	v_mov_b32_e32 v3, v29
	v_add_u32_e32 v4, 20, v17
	v_bfi_b32 v18, v18, 0, v2
	v_lshlrev_b64 v[31:32], v4, 1
	v_lshrrev_b64 v[2:3], v17, v[2:3]
	v_bfi_b32 v19, v19, 0, 0
	v_cmp_eq_u64_e64 s[26:27], v[18:19], v[31:32]
	v_mov_b32_e32 v4, v3
	v_mov_b32_e32 v3, v2
	s_and_saveexec_b64 s[36:37], s[26:27]
; %bb.153:                              ;   in Loop: Header=BB2_133 Depth=3
	v_bfe_u32 v3, v2, 21, 1
	v_add_co_u32_e64 v3, s[26:27], v2, v3
	v_add_co_u32_e64 v3, s[26:27], -1, v3
; %bb.154:                              ;   in Loop: Header=BB2_133 Depth=3
	s_or_b64 exec, exec, s[36:37]
	v_add_u32_e32 v4, 0xffffff81, v16
	v_cndmask_b32_e32 v4, v4, v1, vcc
	v_lshrrev_b32_e32 v16, 23, v2
	v_add3_u32 v17, v17, v4, v16
	v_add_u32_e32 v16, 14, v17
	v_and_b32_e32 v3, 0x1fffff, v3
	v_add_u32_e32 v28, v3, v2
	v_cmp_ne_u32_e32 vcc, 0, v16
                                        ; implicit-def: $vgpr2_vgpr3
                                        ; implicit-def: $vgpr4
	s_and_saveexec_b64 s[26:27], vcc
	s_xor_b64 s[26:27], exec, s[26:27]
; %bb.155:                              ;   in Loop: Header=BB2_133 Depth=3
	v_cmp_lt_u64_e32 vcc, s[88:89], v[28:29]
	v_add_u32_e32 v2, 15, v17
	v_cndmask_b32_e32 v4, v16, v2, vcc
	v_cndmask_b32_e64 v2, 0, 1, vcc
	v_lshrrev_b64 v[2:3], v2, v[28:29]
; %bb.156:                              ;   in Loop: Header=BB2_133 Depth=3
	s_andn2_saveexec_b64 s[26:27], s[26:27]
; %bb.157:                              ;   in Loop: Header=BB2_133 Depth=3
	v_mov_b32_e32 v2, v28
	v_mov_b32_e32 v3, v29
	v_bfe_u32 v4, v28, 23, 1
; %bb.158:                              ;   in Loop: Header=BB2_133 Depth=3
	s_or_b64 exec, exec, s[26:27]
	v_lshrrev_b64 v[2:3], 21, v[2:3]
	v_cmp_gt_i32_e32 vcc, 32, v4
	v_cndmask_b32_e32 v3, 0, v3, vcc
	v_cndmask_b32_e32 v2, 3, v2, vcc
	v_cmp_eq_u64_e64 s[26:27], 0, v[2:3]
	v_min_i32_e32 v3, 31, v4
	v_lshlrev_b32_e32 v3, 2, v3
	v_cmp_eq_u32_e32 vcc, 0, v4
	v_and_b32_e32 v3, 0xfc, v3
	v_and_or_b32 v2, v2, 3, v3
	s_and_b64 s[26:27], vcc, s[26:27]
	v_cndmask_b32_e64 v2, v2, 0, s[26:27]
	v_or_b32_e32 v46, v2, v14
.LBB2_159:                              ;   in Loop: Header=BB2_133 Depth=3
	s_or_b64 exec, exec, s[34:35]
                                        ; implicit-def: $vgpr14
.LBB2_160:                              ;   in Loop: Header=BB2_133 Depth=3
	s_andn2_saveexec_b64 s[26:27], s[30:31]
; %bb.161:                              ;   in Loop: Header=BB2_133 Depth=3
	v_or_b32_e32 v46, 0x7b, v14
; %bb.162:                              ;   in Loop: Header=BB2_133 Depth=3
	s_or_b64 exec, exec, s[26:27]
                                        ; implicit-def: $vgpr2
.LBB2_163:                              ;   in Loop: Header=BB2_133 Depth=3
	s_andn2_saveexec_b64 s[26:27], s[94:95]
	s_cbranch_execz .LBB2_169
; %bb.164:                              ;   in Loop: Header=BB2_133 Depth=3
	v_cmp_ne_u64_e32 vcc, 0, v[28:29]
                                        ; implicit-def: $vgpr46
	s_and_saveexec_b64 s[94:95], vcc
	s_xor_b64 s[94:95], exec, s[94:95]
; %bb.165:                              ;   in Loop: Header=BB2_133 Depth=3
	v_or_b32_sdwa v46, v2, s47 dst_sel:DWORD dst_unused:UNUSED_PAD src0_sel:BYTE_3 src1_sel:DWORD
                                        ; implicit-def: $vgpr2
; %bb.166:                              ;   in Loop: Header=BB2_133 Depth=3
	s_andn2_saveexec_b64 s[94:95], s[94:95]
; %bb.167:                              ;   in Loop: Header=BB2_133 Depth=3
	v_cmp_lt_i32_e32 vcc, -1, v2
	v_cndmask_b32_e32 v46, v6, v22, vcc
; %bb.168:                              ;   in Loop: Header=BB2_133 Depth=3
	s_or_b64 exec, exec, s[94:95]
.LBB2_169:                              ;   in Loop: Header=BB2_133 Depth=3
	s_or_b64 exec, exec, s[26:27]
	v_lshrrev_b16_e32 v2, 8, v8
	v_cmp_ne_u16_e32 vcc, 0, v2
	v_mov_b32_e32 v3, 0
	s_and_saveexec_b64 s[26:27], vcc
	s_cbranch_execz .LBB2_177
; %bb.170:                              ;   in Loop: Header=BB2_133 Depth=3
	v_cmp_ne_u16_e32 vcc, s96, v2
	v_bfrev_b32_e32 v3, 1
	s_and_saveexec_b64 s[94:95], vcc
	s_cbranch_execz .LBB2_176
; %bb.171:                              ;   in Loop: Header=BB2_133 Depth=3
	v_and_b32_e32 v3, 0x7c, v2
	v_and_b32_e32 v4, 3, v2
	v_cmp_ne_u32_e32 vcc, s85, v3
                                        ; implicit-def: $vgpr3
	s_and_saveexec_b64 s[30:31], vcc
	s_xor_b64 s[30:31], exec, s[30:31]
	s_cbranch_execz .LBB2_173
; %bb.172:                              ;   in Loop: Header=BB2_133 Depth=3
	v_ffbh_u32_e32 v16, v4
	v_min_u32_e32 v16, 32, v16
	v_mov_b32_e32 v3, v29
	v_subrev_u32_e32 v17, 29, v16
	v_bfe_u32 v14, v2, 2, 5
	v_lshlrev_b64 v[2:3], v17, v[2:3]
	v_cmp_eq_u32_e32 vcc, 0, v14
	v_and_b32_e32 v2, 3, v2
	v_sub_u32_e32 v3, 30, v16
	v_cndmask_b32_e32 v2, v4, v2, vcc
	v_lshlrev_b32_e32 v4, 16, v8
	v_cndmask_b32_e32 v3, v14, v3, vcc
	v_and_b32_e32 v4, 0x80000000, v4
	v_lshl_add_u32 v3, v3, 23, v4
	v_lshl_or_b32 v2, v2, 21, v3
	v_add_u32_e32 v3, 0x38000000, v2
                                        ; implicit-def: $vgpr4
.LBB2_173:                              ;   in Loop: Header=BB2_133 Depth=3
	s_andn2_saveexec_b64 s[30:31], s[30:31]
; %bb.174:                              ;   in Loop: Header=BB2_133 Depth=3
	v_cmp_lt_i16_e32 vcc, -1, v8
	v_cndmask_b32_e32 v2, v7, v0, vcc
	v_cmp_eq_u32_e32 vcc, 0, v4
	v_cndmask_b32_e32 v3, v35, v2, vcc
; %bb.175:                              ;   in Loop: Header=BB2_133 Depth=3
	s_or_b64 exec, exec, s[30:31]
.LBB2_176:                              ;   in Loop: Header=BB2_133 Depth=3
	s_or_b64 exec, exec, s[94:95]
.LBB2_177:                              ;   in Loop: Header=BB2_133 Depth=3
	s_or_b64 exec, exec, s[26:27]
	v_mul_f32_e32 v2, v30, v3
	v_and_b32_e32 v3, 0x7f800000, v2
	v_mov_b32_e32 v4, v29
	v_cmp_ne_u64_e32 vcc, s[76:77], v[3:4]
	v_and_b32_e32 v28, 0x7fffff, v2
                                        ; implicit-def: $vgpr56
	s_and_saveexec_b64 s[26:27], vcc
	s_xor_b64 s[94:95], exec, s[26:27]
	s_cbranch_execz .LBB2_191
; %bb.178:                              ;   in Loop: Header=BB2_133 Depth=3
	v_and_b32_e32 v3, 0x7fffffff, v2
	v_mov_b32_e32 v4, v29
	v_cmp_gt_u64_e32 vcc, s[78:79], v[3:4]
	v_and_b32_sdwa v14, v2, s96 dst_sel:DWORD dst_unused:UNUSED_PAD src0_sel:BYTE_3 src1_sel:DWORD
                                        ; implicit-def: $vgpr56
	s_and_saveexec_b64 s[26:27], vcc
	s_xor_b64 s[30:31], exec, s[26:27]
	s_cbranch_execz .LBB2_188
; %bb.179:                              ;   in Loop: Header=BB2_133 Depth=3
	v_mov_b32_e32 v56, 0
	v_cmp_ne_u32_e32 vcc, 0, v2
	s_and_saveexec_b64 s[34:35], vcc
	s_cbranch_execz .LBB2_187
; %bb.180:                              ;   in Loop: Header=BB2_133 Depth=3
	v_bfe_u32 v16, v2, 23, 8
	v_cmp_gt_u32_e64 s[26:27], s46, v16
	v_sub_u32_e32 v2, 0x71, v16
	v_cmp_eq_u32_e32 vcc, 0, v16
	v_cndmask_b32_e64 v2, 0, v2, s[26:27]
	v_mov_b32_e32 v4, 0x70
	v_cndmask_b32_e32 v17, v2, v4, vcc
	v_add_u32_e32 v4, 21, v17
	v_or_b32_e32 v3, 0x800000, v28
	v_lshlrev_b64 v[18:19], v4, -1
	v_cndmask_b32_e32 v2, v3, v28, vcc
	v_mov_b32_e32 v3, v29
	v_add_u32_e32 v4, 20, v17
	v_bfi_b32 v18, v18, 0, v2
	v_lshlrev_b64 v[31:32], v4, 1
	v_lshrrev_b64 v[2:3], v17, v[2:3]
	v_bfi_b32 v19, v19, 0, 0
	v_cmp_eq_u64_e64 s[26:27], v[18:19], v[31:32]
	v_mov_b32_e32 v4, v3
	v_mov_b32_e32 v3, v2
	s_and_saveexec_b64 s[36:37], s[26:27]
; %bb.181:                              ;   in Loop: Header=BB2_133 Depth=3
	v_bfe_u32 v3, v2, 21, 1
	v_add_co_u32_e64 v3, s[26:27], v2, v3
	v_add_co_u32_e64 v3, s[26:27], -1, v3
; %bb.182:                              ;   in Loop: Header=BB2_133 Depth=3
	s_or_b64 exec, exec, s[36:37]
	v_add_u32_e32 v4, 0xffffff81, v16
	v_cndmask_b32_e32 v4, v4, v1, vcc
	v_lshrrev_b32_e32 v16, 23, v2
	v_add3_u32 v17, v17, v4, v16
	v_add_u32_e32 v16, 14, v17
	v_and_b32_e32 v3, 0x1fffff, v3
	v_add_u32_e32 v28, v3, v2
	v_cmp_ne_u32_e32 vcc, 0, v16
                                        ; implicit-def: $vgpr2_vgpr3
                                        ; implicit-def: $vgpr4
	s_and_saveexec_b64 s[26:27], vcc
	s_xor_b64 s[26:27], exec, s[26:27]
; %bb.183:                              ;   in Loop: Header=BB2_133 Depth=3
	v_cmp_lt_u64_e32 vcc, s[88:89], v[28:29]
	v_add_u32_e32 v2, 15, v17
	v_cndmask_b32_e32 v4, v16, v2, vcc
	v_cndmask_b32_e64 v2, 0, 1, vcc
	v_lshrrev_b64 v[2:3], v2, v[28:29]
; %bb.184:                              ;   in Loop: Header=BB2_133 Depth=3
	s_andn2_saveexec_b64 s[26:27], s[26:27]
; %bb.185:                              ;   in Loop: Header=BB2_133 Depth=3
	v_mov_b32_e32 v2, v28
	v_mov_b32_e32 v3, v29
	v_bfe_u32 v4, v28, 23, 1
; %bb.186:                              ;   in Loop: Header=BB2_133 Depth=3
	s_or_b64 exec, exec, s[26:27]
	v_lshrrev_b64 v[2:3], 21, v[2:3]
	v_cmp_gt_i32_e32 vcc, 32, v4
	v_cndmask_b32_e32 v3, 0, v3, vcc
	v_cndmask_b32_e32 v2, 3, v2, vcc
	v_cmp_eq_u64_e64 s[26:27], 0, v[2:3]
	v_min_i32_e32 v3, 31, v4
	v_lshlrev_b32_e32 v3, 2, v3
	v_cmp_eq_u32_e32 vcc, 0, v4
	v_and_b32_e32 v3, 0xfc, v3
	v_and_or_b32 v2, v2, 3, v3
	s_and_b64 s[26:27], vcc, s[26:27]
	v_cndmask_b32_e64 v2, v2, 0, s[26:27]
	v_or_b32_e32 v56, v2, v14
.LBB2_187:                              ;   in Loop: Header=BB2_133 Depth=3
	s_or_b64 exec, exec, s[34:35]
                                        ; implicit-def: $vgpr14
.LBB2_188:                              ;   in Loop: Header=BB2_133 Depth=3
	s_andn2_saveexec_b64 s[26:27], s[30:31]
; %bb.189:                              ;   in Loop: Header=BB2_133 Depth=3
	v_or_b32_e32 v56, 0x7b, v14
; %bb.190:                              ;   in Loop: Header=BB2_133 Depth=3
	s_or_b64 exec, exec, s[26:27]
                                        ; implicit-def: $vgpr2
.LBB2_191:                              ;   in Loop: Header=BB2_133 Depth=3
	s_andn2_saveexec_b64 s[26:27], s[94:95]
	s_cbranch_execz .LBB2_197
; %bb.192:                              ;   in Loop: Header=BB2_133 Depth=3
	v_cmp_ne_u64_e32 vcc, 0, v[28:29]
                                        ; implicit-def: $vgpr56
	s_and_saveexec_b64 s[94:95], vcc
	s_xor_b64 s[94:95], exec, s[94:95]
; %bb.193:                              ;   in Loop: Header=BB2_133 Depth=3
	v_or_b32_sdwa v56, v2, s47 dst_sel:DWORD dst_unused:UNUSED_PAD src0_sel:BYTE_3 src1_sel:DWORD
                                        ; implicit-def: $vgpr2
; %bb.194:                              ;   in Loop: Header=BB2_133 Depth=3
	s_andn2_saveexec_b64 s[94:95], s[94:95]
; %bb.195:                              ;   in Loop: Header=BB2_133 Depth=3
	v_cmp_lt_i32_e32 vcc, -1, v2
	v_cndmask_b32_e32 v56, v6, v22, vcc
; %bb.196:                              ;   in Loop: Header=BB2_133 Depth=3
	s_or_b64 exec, exec, s[94:95]
.LBB2_197:                              ;   in Loop: Header=BB2_133 Depth=3
	s_or_b64 exec, exec, s[26:27]
	v_lshrrev_b32_e32 v2, 16, v8
	v_cmp_ne_u16_sdwa s[94:95], v2, v29 src0_sel:BYTE_0 src1_sel:DWORD
	v_mov_b32_e32 v3, 0
	s_and_saveexec_b64 s[26:27], s[94:95]
	s_cbranch_execz .LBB2_205
; %bb.198:                              ;   in Loop: Header=BB2_133 Depth=3
	v_cmp_ne_u16_sdwa vcc, v2, s96 src0_sel:BYTE_0 src1_sel:DWORD
	v_bfrev_b32_e32 v3, 1
	s_and_saveexec_b64 s[94:95], vcc
	s_cbranch_execz .LBB2_204
; %bb.199:                              ;   in Loop: Header=BB2_133 Depth=3
	v_and_b32_e32 v3, 0x7c0000, v8
	v_bfe_u32 v4, v8, 16, 2
	v_cmp_ne_u32_e32 vcc, s44, v3
                                        ; implicit-def: $vgpr3
	s_and_saveexec_b64 s[30:31], vcc
	s_xor_b64 s[30:31], exec, s[30:31]
	s_cbranch_execz .LBB2_201
; %bb.200:                              ;   in Loop: Header=BB2_133 Depth=3
	v_ffbh_u32_e32 v3, v4
	v_min_u32_e32 v16, 32, v3
	v_subrev_u32_e32 v3, 29, v16
	v_lshlrev_b64 v[2:3], v3, v[2:3]
	v_bfe_u32 v14, v8, 18, 5
	v_and_b32_e32 v2, 3, v2
	v_cmp_eq_u32_e32 vcc, 0, v14
	v_sub_u32_e32 v3, 30, v16
	v_cndmask_b32_e32 v2, v4, v2, vcc
	v_lshlrev_b32_e32 v4, 8, v8
	v_cndmask_b32_e32 v3, v14, v3, vcc
	v_and_b32_e32 v4, 0x80000000, v4
	v_lshl_add_u32 v3, v3, 23, v4
	v_lshl_or_b32 v2, v2, 21, v3
	v_add_u32_e32 v3, 0x38000000, v2
                                        ; implicit-def: $vgpr4
                                        ; implicit-def: $vgpr2
.LBB2_201:                              ;   in Loop: Header=BB2_133 Depth=3
	s_andn2_saveexec_b64 s[30:31], s[30:31]
; %bb.202:                              ;   in Loop: Header=BB2_133 Depth=3
	v_cmp_gt_i16_sdwa vcc, sext(v2), v48 src0_sel:BYTE_0 src1_sel:DWORD
	v_cndmask_b32_e32 v2, v7, v0, vcc
	v_cmp_eq_u32_e32 vcc, 0, v4
	v_cndmask_b32_e32 v3, v35, v2, vcc
; %bb.203:                              ;   in Loop: Header=BB2_133 Depth=3
	s_or_b64 exec, exec, s[30:31]
.LBB2_204:                              ;   in Loop: Header=BB2_133 Depth=3
	s_or_b64 exec, exec, s[94:95]
.LBB2_205:                              ;   in Loop: Header=BB2_133 Depth=3
	s_or_b64 exec, exec, s[26:27]
	v_mul_f32_e32 v2, v30, v3
	v_and_b32_e32 v3, 0x7f800000, v2
	v_mov_b32_e32 v4, v29
	v_cmp_ne_u64_e32 vcc, s[76:77], v[3:4]
	v_and_b32_e32 v28, 0x7fffff, v2
                                        ; implicit-def: $vgpr3
                                        ; kill: killed $vgpr3
	s_and_saveexec_b64 s[26:27], vcc
	s_xor_b64 s[94:95], exec, s[26:27]
	s_cbranch_execz .LBB2_219
; %bb.206:                              ;   in Loop: Header=BB2_133 Depth=3
	v_and_b32_e32 v3, 0x7fffffff, v2
	v_mov_b32_e32 v4, v29
	v_cmp_gt_u64_e32 vcc, s[78:79], v[3:4]
	v_and_b32_sdwa v14, v2, s96 dst_sel:DWORD dst_unused:UNUSED_PAD src0_sel:BYTE_3 src1_sel:DWORD
                                        ; implicit-def: $vgpr3
                                        ; kill: killed $vgpr3
	s_and_saveexec_b64 s[26:27], vcc
	s_xor_b64 s[30:31], exec, s[26:27]
	s_cbranch_execz .LBB2_216
; %bb.207:                              ;   in Loop: Header=BB2_133 Depth=3
	v_mov_b32_e32 v3, 0
	v_cmp_ne_u32_e32 vcc, 0, v2
	buffer_store_dword v3, off, s[0:3], s33 offset:144 ; 4-byte Folded Spill
	s_and_saveexec_b64 s[34:35], vcc
	s_cbranch_execz .LBB2_215
; %bb.208:                              ;   in Loop: Header=BB2_133 Depth=3
	v_bfe_u32 v16, v2, 23, 8
	v_cmp_gt_u32_e64 s[26:27], s46, v16
	v_sub_u32_e32 v2, 0x71, v16
	v_cmp_eq_u32_e32 vcc, 0, v16
	v_cndmask_b32_e64 v2, 0, v2, s[26:27]
	v_mov_b32_e32 v4, 0x70
	v_cndmask_b32_e32 v17, v2, v4, vcc
	v_add_u32_e32 v4, 21, v17
	v_or_b32_e32 v3, 0x800000, v28
	v_lshlrev_b64 v[18:19], v4, -1
	v_cndmask_b32_e32 v2, v3, v28, vcc
	v_mov_b32_e32 v3, v29
	v_add_u32_e32 v4, 20, v17
	v_bfi_b32 v18, v18, 0, v2
	v_lshlrev_b64 v[31:32], v4, 1
	v_lshrrev_b64 v[2:3], v17, v[2:3]
	v_bfi_b32 v19, v19, 0, 0
	v_cmp_eq_u64_e64 s[26:27], v[18:19], v[31:32]
	v_mov_b32_e32 v4, v3
	v_mov_b32_e32 v3, v2
	s_and_saveexec_b64 s[36:37], s[26:27]
; %bb.209:                              ;   in Loop: Header=BB2_133 Depth=3
	v_bfe_u32 v3, v2, 21, 1
	v_add_co_u32_e64 v3, s[26:27], v2, v3
	v_add_co_u32_e64 v3, s[26:27], -1, v3
; %bb.210:                              ;   in Loop: Header=BB2_133 Depth=3
	s_or_b64 exec, exec, s[36:37]
	v_add_u32_e32 v4, 0xffffff81, v16
	v_cndmask_b32_e32 v4, v4, v1, vcc
	v_lshrrev_b32_e32 v16, 23, v2
	v_add3_u32 v17, v17, v4, v16
	v_add_u32_e32 v16, 14, v17
	v_and_b32_e32 v3, 0x1fffff, v3
	v_add_u32_e32 v28, v3, v2
	v_cmp_ne_u32_e32 vcc, 0, v16
                                        ; implicit-def: $vgpr2_vgpr3
                                        ; implicit-def: $vgpr4
	s_and_saveexec_b64 s[26:27], vcc
	s_xor_b64 s[26:27], exec, s[26:27]
; %bb.211:                              ;   in Loop: Header=BB2_133 Depth=3
	v_cmp_lt_u64_e32 vcc, s[88:89], v[28:29]
	v_add_u32_e32 v2, 15, v17
	v_cndmask_b32_e32 v4, v16, v2, vcc
	v_cndmask_b32_e64 v2, 0, 1, vcc
	v_lshrrev_b64 v[2:3], v2, v[28:29]
; %bb.212:                              ;   in Loop: Header=BB2_133 Depth=3
	s_andn2_saveexec_b64 s[26:27], s[26:27]
; %bb.213:                              ;   in Loop: Header=BB2_133 Depth=3
	v_mov_b32_e32 v2, v28
	v_mov_b32_e32 v3, v29
	v_bfe_u32 v4, v28, 23, 1
; %bb.214:                              ;   in Loop: Header=BB2_133 Depth=3
	s_or_b64 exec, exec, s[26:27]
	v_lshrrev_b64 v[2:3], 21, v[2:3]
	v_cmp_gt_i32_e32 vcc, 32, v4
	v_cndmask_b32_e32 v3, 0, v3, vcc
	v_cndmask_b32_e32 v2, 3, v2, vcc
	v_cmp_eq_u64_e64 s[26:27], 0, v[2:3]
	v_min_i32_e32 v3, 31, v4
	v_lshlrev_b32_e32 v3, 2, v3
	v_cmp_eq_u32_e32 vcc, 0, v4
	v_and_b32_e32 v3, 0xfc, v3
	v_and_or_b32 v2, v2, 3, v3
	s_and_b64 s[26:27], vcc, s[26:27]
	v_cndmask_b32_e64 v2, v2, 0, s[26:27]
	v_or_b32_e32 v2, v2, v14
	buffer_store_dword v2, off, s[0:3], s33 offset:144 ; 4-byte Folded Spill
.LBB2_215:                              ;   in Loop: Header=BB2_133 Depth=3
	s_or_b64 exec, exec, s[34:35]
                                        ; implicit-def: $vgpr14
.LBB2_216:                              ;   in Loop: Header=BB2_133 Depth=3
	s_andn2_saveexec_b64 s[26:27], s[30:31]
	s_cbranch_execz .LBB2_218
; %bb.217:                              ;   in Loop: Header=BB2_133 Depth=3
	v_or_b32_e32 v2, 0x7b, v14
	buffer_store_dword v2, off, s[0:3], s33 offset:144 ; 4-byte Folded Spill
.LBB2_218:                              ;   in Loop: Header=BB2_133 Depth=3
	s_or_b64 exec, exec, s[26:27]
                                        ; implicit-def: $vgpr2
.LBB2_219:                              ;   in Loop: Header=BB2_133 Depth=3
	s_andn2_saveexec_b64 s[26:27], s[94:95]
	s_cbranch_execz .LBB2_225
; %bb.220:                              ;   in Loop: Header=BB2_133 Depth=3
	v_cmp_ne_u64_e32 vcc, 0, v[28:29]
                                        ; implicit-def: $vgpr3
                                        ; kill: killed $vgpr3
	s_and_saveexec_b64 s[94:95], vcc
	s_xor_b64 s[94:95], exec, s[94:95]
	s_cbranch_execz .LBB2_222
; %bb.221:                              ;   in Loop: Header=BB2_133 Depth=3
	v_or_b32_sdwa v2, v2, s47 dst_sel:DWORD dst_unused:UNUSED_PAD src0_sel:BYTE_3 src1_sel:DWORD
	buffer_store_dword v2, off, s[0:3], s33 offset:144 ; 4-byte Folded Spill
                                        ; implicit-def: $vgpr2
.LBB2_222:                              ;   in Loop: Header=BB2_133 Depth=3
	s_andn2_saveexec_b64 s[94:95], s[94:95]
	s_cbranch_execz .LBB2_224
; %bb.223:                              ;   in Loop: Header=BB2_133 Depth=3
	v_cmp_lt_i32_e32 vcc, -1, v2
	v_cndmask_b32_e32 v2, v6, v22, vcc
	buffer_store_dword v2, off, s[0:3], s33 offset:144 ; 4-byte Folded Spill
.LBB2_224:                              ;   in Loop: Header=BB2_133 Depth=3
	s_or_b64 exec, exec, s[94:95]
.LBB2_225:                              ;   in Loop: Header=BB2_133 Depth=3
	s_or_b64 exec, exec, s[26:27]
	v_cmp_lt_u32_e32 vcc, s57, v8
	v_mov_b32_e32 v3, 0
	s_and_saveexec_b64 s[26:27], vcc
	s_cbranch_execz .LBB2_233
; %bb.226:                              ;   in Loop: Header=BB2_133 Depth=3
	v_lshrrev_b32_e32 v2, 24, v8
	v_cmp_ne_u32_e32 vcc, s96, v2
	v_bfrev_b32_e32 v3, 1
	s_and_saveexec_b64 s[94:95], vcc
	s_cbranch_execz .LBB2_232
; %bb.227:                              ;   in Loop: Header=BB2_133 Depth=3
	v_and_b32_e32 v3, 0x7c000000, v8
	v_bfe_u32 v4, v8, 24, 2
	v_cmp_ne_u32_e32 vcc, s45, v3
                                        ; implicit-def: $vgpr3
	s_and_saveexec_b64 s[30:31], vcc
	s_xor_b64 s[30:31], exec, s[30:31]
	s_cbranch_execz .LBB2_229
; %bb.228:                              ;   in Loop: Header=BB2_133 Depth=3
	v_ffbh_u32_e32 v3, v4
	v_min_u32_e32 v16, 32, v3
	v_subrev_u32_e32 v3, 29, v16
	v_lshlrev_b64 v[2:3], v3, v[2:3]
	v_bfe_u32 v14, v8, 26, 5
	v_sub_u32_e32 v3, 30, v16
	v_and_b32_e32 v2, 3, v2
	v_cmp_eq_u32_e32 vcc, 0, v14
	v_cndmask_b32_e32 v3, v14, v3, vcc
	v_cndmask_b32_e32 v2, v4, v2, vcc
	v_and_b32_e32 v4, 0x80000000, v8
	v_lshl_add_u32 v3, v3, 23, v4
	v_lshl_or_b32 v2, v2, 21, v3
	v_add_u32_e32 v3, 0x38000000, v2
                                        ; implicit-def: $vgpr4
.LBB2_229:                              ;   in Loop: Header=BB2_133 Depth=3
	s_andn2_saveexec_b64 s[30:31], s[30:31]
; %bb.230:                              ;   in Loop: Header=BB2_133 Depth=3
	v_cmp_lt_i32_e32 vcc, -1, v8
	v_cndmask_b32_e32 v2, v7, v0, vcc
	v_cmp_eq_u32_e32 vcc, 0, v4
	v_cndmask_b32_e32 v3, v35, v2, vcc
; %bb.231:                              ;   in Loop: Header=BB2_133 Depth=3
	s_or_b64 exec, exec, s[30:31]
.LBB2_232:                              ;   in Loop: Header=BB2_133 Depth=3
	s_or_b64 exec, exec, s[94:95]
.LBB2_233:                              ;   in Loop: Header=BB2_133 Depth=3
	s_or_b64 exec, exec, s[26:27]
	v_mul_f32_e32 v2, v30, v3
	v_and_b32_e32 v3, 0x7f800000, v2
	v_mov_b32_e32 v4, v29
	v_cmp_ne_u64_e32 vcc, s[76:77], v[3:4]
	v_and_b32_e32 v28, 0x7fffff, v2
                                        ; implicit-def: $vgpr3
                                        ; kill: killed $vgpr3
	s_and_saveexec_b64 s[26:27], vcc
	s_xor_b64 s[94:95], exec, s[26:27]
	s_cbranch_execz .LBB2_247
; %bb.234:                              ;   in Loop: Header=BB2_133 Depth=3
	v_and_b32_e32 v3, 0x7fffffff, v2
	v_mov_b32_e32 v4, v29
	v_cmp_gt_u64_e32 vcc, s[78:79], v[3:4]
	v_and_b32_sdwa v14, v2, s96 dst_sel:DWORD dst_unused:UNUSED_PAD src0_sel:BYTE_3 src1_sel:DWORD
                                        ; implicit-def: $vgpr3
                                        ; kill: killed $vgpr3
	s_and_saveexec_b64 s[26:27], vcc
	s_xor_b64 s[30:31], exec, s[26:27]
	s_cbranch_execz .LBB2_244
; %bb.235:                              ;   in Loop: Header=BB2_133 Depth=3
	v_mov_b32_e32 v3, 0
	v_cmp_ne_u32_e32 vcc, 0, v2
	buffer_store_dword v3, off, s[0:3], s33 offset:148 ; 4-byte Folded Spill
	s_and_saveexec_b64 s[34:35], vcc
	s_cbranch_execz .LBB2_243
; %bb.236:                              ;   in Loop: Header=BB2_133 Depth=3
	v_bfe_u32 v16, v2, 23, 8
	v_cmp_gt_u32_e64 s[26:27], s46, v16
	v_sub_u32_e32 v2, 0x71, v16
	v_cmp_eq_u32_e32 vcc, 0, v16
	v_cndmask_b32_e64 v2, 0, v2, s[26:27]
	v_mov_b32_e32 v4, 0x70
	v_cndmask_b32_e32 v17, v2, v4, vcc
	v_add_u32_e32 v4, 21, v17
	v_or_b32_e32 v3, 0x800000, v28
	v_lshlrev_b64 v[18:19], v4, -1
	v_cndmask_b32_e32 v2, v3, v28, vcc
	v_mov_b32_e32 v3, v29
	v_add_u32_e32 v4, 20, v17
	v_bfi_b32 v18, v18, 0, v2
	v_lshlrev_b64 v[31:32], v4, 1
	v_lshrrev_b64 v[2:3], v17, v[2:3]
	v_bfi_b32 v19, v19, 0, 0
	v_cmp_eq_u64_e64 s[26:27], v[18:19], v[31:32]
	v_mov_b32_e32 v4, v3
	v_mov_b32_e32 v3, v2
	s_and_saveexec_b64 s[36:37], s[26:27]
; %bb.237:                              ;   in Loop: Header=BB2_133 Depth=3
	v_bfe_u32 v3, v2, 21, 1
	v_add_co_u32_e64 v3, s[26:27], v2, v3
	v_add_co_u32_e64 v3, s[26:27], -1, v3
; %bb.238:                              ;   in Loop: Header=BB2_133 Depth=3
	s_or_b64 exec, exec, s[36:37]
	v_add_u32_e32 v4, 0xffffff81, v16
	v_cndmask_b32_e32 v4, v4, v1, vcc
	v_lshrrev_b32_e32 v16, 23, v2
	v_add3_u32 v17, v17, v4, v16
	v_add_u32_e32 v16, 14, v17
	v_and_b32_e32 v3, 0x1fffff, v3
	v_add_u32_e32 v28, v3, v2
	v_cmp_ne_u32_e32 vcc, 0, v16
                                        ; implicit-def: $vgpr2_vgpr3
                                        ; implicit-def: $vgpr4
	s_and_saveexec_b64 s[26:27], vcc
	s_xor_b64 s[26:27], exec, s[26:27]
; %bb.239:                              ;   in Loop: Header=BB2_133 Depth=3
	v_cmp_lt_u64_e32 vcc, s[88:89], v[28:29]
	v_add_u32_e32 v2, 15, v17
	v_cndmask_b32_e32 v4, v16, v2, vcc
	v_cndmask_b32_e64 v2, 0, 1, vcc
	v_lshrrev_b64 v[2:3], v2, v[28:29]
; %bb.240:                              ;   in Loop: Header=BB2_133 Depth=3
	s_andn2_saveexec_b64 s[26:27], s[26:27]
; %bb.241:                              ;   in Loop: Header=BB2_133 Depth=3
	v_mov_b32_e32 v2, v28
	v_mov_b32_e32 v3, v29
	v_bfe_u32 v4, v28, 23, 1
; %bb.242:                              ;   in Loop: Header=BB2_133 Depth=3
	s_or_b64 exec, exec, s[26:27]
	v_lshrrev_b64 v[2:3], 21, v[2:3]
	v_cmp_gt_i32_e32 vcc, 32, v4
	v_cndmask_b32_e32 v3, 0, v3, vcc
	v_cndmask_b32_e32 v2, 3, v2, vcc
	v_cmp_eq_u64_e64 s[26:27], 0, v[2:3]
	v_min_i32_e32 v3, 31, v4
	v_lshlrev_b32_e32 v3, 2, v3
	v_cmp_eq_u32_e32 vcc, 0, v4
	v_and_b32_e32 v3, 0xfc, v3
	v_and_or_b32 v2, v2, 3, v3
	s_and_b64 s[26:27], vcc, s[26:27]
	v_cndmask_b32_e64 v2, v2, 0, s[26:27]
	v_or_b32_e32 v2, v2, v14
	buffer_store_dword v2, off, s[0:3], s33 offset:148 ; 4-byte Folded Spill
.LBB2_243:                              ;   in Loop: Header=BB2_133 Depth=3
	s_or_b64 exec, exec, s[34:35]
                                        ; implicit-def: $vgpr14
.LBB2_244:                              ;   in Loop: Header=BB2_133 Depth=3
	s_andn2_saveexec_b64 s[26:27], s[30:31]
	s_cbranch_execz .LBB2_246
; %bb.245:                              ;   in Loop: Header=BB2_133 Depth=3
	v_or_b32_e32 v2, 0x7b, v14
	buffer_store_dword v2, off, s[0:3], s33 offset:148 ; 4-byte Folded Spill
.LBB2_246:                              ;   in Loop: Header=BB2_133 Depth=3
	s_or_b64 exec, exec, s[26:27]
                                        ; implicit-def: $vgpr2
.LBB2_247:                              ;   in Loop: Header=BB2_133 Depth=3
	s_andn2_saveexec_b64 s[26:27], s[94:95]
	s_cbranch_execz .LBB2_253
; %bb.248:                              ;   in Loop: Header=BB2_133 Depth=3
	v_cmp_ne_u64_e32 vcc, 0, v[28:29]
                                        ; implicit-def: $vgpr3
                                        ; kill: killed $vgpr3
	s_and_saveexec_b64 s[94:95], vcc
	s_xor_b64 s[94:95], exec, s[94:95]
	s_cbranch_execz .LBB2_250
; %bb.249:                              ;   in Loop: Header=BB2_133 Depth=3
	v_or_b32_sdwa v2, v2, s47 dst_sel:DWORD dst_unused:UNUSED_PAD src0_sel:BYTE_3 src1_sel:DWORD
	buffer_store_dword v2, off, s[0:3], s33 offset:148 ; 4-byte Folded Spill
                                        ; implicit-def: $vgpr2
.LBB2_250:                              ;   in Loop: Header=BB2_133 Depth=3
	s_andn2_saveexec_b64 s[94:95], s[94:95]
	s_cbranch_execz .LBB2_252
; %bb.251:                              ;   in Loop: Header=BB2_133 Depth=3
	v_cmp_lt_i32_e32 vcc, -1, v2
	v_cndmask_b32_e32 v2, v6, v22, vcc
	buffer_store_dword v2, off, s[0:3], s33 offset:148 ; 4-byte Folded Spill
.LBB2_252:                              ;   in Loop: Header=BB2_133 Depth=3
	s_or_b64 exec, exec, s[94:95]
.LBB2_253:                              ;   in Loop: Header=BB2_133 Depth=3
	s_or_b64 exec, exec, s[26:27]
	v_mov_b32_e32 v28, v9
	v_cmp_ne_u16_sdwa s[94:95], v9, v29 src0_sel:BYTE_0 src1_sel:DWORD
	v_mov_b32_e32 v2, 0
	s_and_saveexec_b64 s[26:27], s[94:95]
	s_cbranch_execz .LBB2_261
; %bb.254:                              ;   in Loop: Header=BB2_133 Depth=3
	v_cmp_ne_u16_sdwa vcc, v9, s96 src0_sel:BYTE_0 src1_sel:DWORD
	v_bfrev_b32_e32 v2, 1
	s_and_saveexec_b64 s[94:95], vcc
	s_cbranch_execz .LBB2_260
; %bb.255:                              ;   in Loop: Header=BB2_133 Depth=3
	v_and_b32_e32 v2, 0x7c, v9
	v_and_b32_e32 v3, 3, v9
	v_cmp_ne_u32_e32 vcc, s85, v2
                                        ; implicit-def: $vgpr2
	s_and_saveexec_b64 s[30:31], vcc
	s_xor_b64 s[30:31], exec, s[30:31]
	s_cbranch_execz .LBB2_257
; %bb.256:                              ;   in Loop: Header=BB2_133 Depth=3
	v_ffbh_u32_e32 v4, v3
	v_min_u32_e32 v4, 32, v4
	v_bfe_u32 v2, v9, 2, 5
	v_subrev_u32_e32 v14, 29, v4
	v_lshlrev_b64 v[16:17], v14, v[28:29]
	v_sub_u32_e32 v4, 30, v4
	v_cmp_eq_u32_e32 vcc, 0, v2
	v_cndmask_b32_e32 v2, v2, v4, vcc
	v_lshlrev_b32_e32 v4, 24, v9
	v_and_b32_e32 v14, 3, v16
	v_and_b32_e32 v4, 0x80000000, v4
	v_cndmask_b32_e32 v3, v3, v14, vcc
	v_lshl_add_u32 v2, v2, 23, v4
	v_lshl_or_b32 v2, v3, 21, v2
	v_add_u32_e32 v2, 0x38000000, v2
                                        ; implicit-def: $vgpr3
.LBB2_257:                              ;   in Loop: Header=BB2_133 Depth=3
	s_andn2_saveexec_b64 s[30:31], s[30:31]
; %bb.258:                              ;   in Loop: Header=BB2_133 Depth=3
	v_cmp_gt_i16_sdwa vcc, sext(v9), v48 src0_sel:BYTE_0 src1_sel:DWORD
	v_cndmask_b32_e32 v2, v7, v0, vcc
	v_cmp_eq_u32_e32 vcc, 0, v3
	v_cndmask_b32_e32 v2, v35, v2, vcc
; %bb.259:                              ;   in Loop: Header=BB2_133 Depth=3
	s_or_b64 exec, exec, s[30:31]
.LBB2_260:                              ;   in Loop: Header=BB2_133 Depth=3
	s_or_b64 exec, exec, s[94:95]
.LBB2_261:                              ;   in Loop: Header=BB2_133 Depth=3
	s_or_b64 exec, exec, s[26:27]
	v_mul_f32_e32 v4, v30, v2
	v_and_b32_e32 v16, 0x7f800000, v4
	v_mov_b32_e32 v17, v29
	v_cmp_ne_u64_e32 vcc, s[76:77], v[16:17]
	v_and_b32_e32 v2, 0x7fffff, v4
	v_mov_b32_e32 v3, v29
                                        ; implicit-def: $vgpr47
	s_and_saveexec_b64 s[26:27], vcc
	s_xor_b64 s[94:95], exec, s[26:27]
	s_cbranch_execz .LBB2_275
; %bb.262:                              ;   in Loop: Header=BB2_133 Depth=3
	v_and_b32_e32 v16, 0x7fffffff, v4
	v_mov_b32_e32 v17, v29
	v_cmp_gt_u64_e32 vcc, s[78:79], v[16:17]
	v_and_b32_sdwa v14, v4, s96 dst_sel:DWORD dst_unused:UNUSED_PAD src0_sel:BYTE_3 src1_sel:DWORD
                                        ; implicit-def: $vgpr47
	s_and_saveexec_b64 s[26:27], vcc
	s_xor_b64 s[30:31], exec, s[26:27]
	s_cbranch_execz .LBB2_272
; %bb.263:                              ;   in Loop: Header=BB2_133 Depth=3
	v_mov_b32_e32 v47, 0
	v_cmp_ne_u32_e32 vcc, 0, v4
	s_and_saveexec_b64 s[34:35], vcc
	s_cbranch_execz .LBB2_271
; %bb.264:                              ;   in Loop: Header=BB2_133 Depth=3
	v_bfe_u32 v16, v4, 23, 8
	v_cmp_gt_u32_e64 s[26:27], s46, v16
	v_sub_u32_e32 v4, 0x71, v16
	v_cmp_eq_u32_e32 vcc, 0, v16
	v_cndmask_b32_e64 v4, 0, v4, s[26:27]
	v_mov_b32_e32 v17, 0x70
	v_cndmask_b32_e32 v17, v4, v17, vcc
	v_or_b32_e32 v18, 0x800000, v2
	v_add_u32_e32 v4, 21, v17
	v_cndmask_b32_e32 v2, v18, v2, vcc
	v_lshlrev_b64 v[18:19], v4, -1
	v_add_u32_e32 v4, 20, v17
	v_bfi_b32 v18, v18, 0, v2
	v_lshlrev_b64 v[31:32], v4, 1
	v_lshrrev_b64 v[2:3], v17, v[2:3]
	v_bfi_b32 v19, v19, 0, 0
	v_cmp_eq_u64_e64 s[26:27], v[18:19], v[31:32]
	v_mov_b32_e32 v4, v3
	v_mov_b32_e32 v3, v2
	s_and_saveexec_b64 s[36:37], s[26:27]
; %bb.265:                              ;   in Loop: Header=BB2_133 Depth=3
	v_bfe_u32 v3, v2, 21, 1
	v_add_co_u32_e64 v3, s[26:27], v2, v3
	v_add_co_u32_e64 v3, s[26:27], -1, v3
; %bb.266:                              ;   in Loop: Header=BB2_133 Depth=3
	s_or_b64 exec, exec, s[36:37]
	v_add_u32_e32 v4, 0xffffff81, v16
	v_cndmask_b32_e32 v4, v4, v1, vcc
	v_lshrrev_b32_e32 v16, 23, v2
	v_add3_u32 v17, v17, v4, v16
	v_add_u32_e32 v16, 14, v17
	v_and_b32_e32 v3, 0x1fffff, v3
	v_add_u32_e32 v2, v3, v2
	v_mov_b32_e32 v3, v29
	v_cmp_ne_u32_e32 vcc, 0, v16
                                        ; implicit-def: $vgpr4
	s_and_saveexec_b64 s[26:27], vcc
	s_xor_b64 s[26:27], exec, s[26:27]
; %bb.267:                              ;   in Loop: Header=BB2_133 Depth=3
	v_cmp_lt_u64_e32 vcc, s[88:89], v[2:3]
	v_add_u32_e32 v4, 15, v17
	v_cndmask_b32_e32 v4, v16, v4, vcc
	v_cndmask_b32_e64 v16, 0, 1, vcc
	v_lshrrev_b64 v[2:3], v16, v[2:3]
; %bb.268:                              ;   in Loop: Header=BB2_133 Depth=3
	s_andn2_saveexec_b64 s[26:27], s[26:27]
; %bb.269:                              ;   in Loop: Header=BB2_133 Depth=3
	v_bfe_u32 v4, v2, 23, 1
; %bb.270:                              ;   in Loop: Header=BB2_133 Depth=3
	s_or_b64 exec, exec, s[26:27]
	v_lshrrev_b64 v[2:3], 21, v[2:3]
	v_cmp_gt_i32_e32 vcc, 32, v4
	v_cndmask_b32_e32 v3, 0, v3, vcc
	v_cndmask_b32_e32 v2, 3, v2, vcc
	v_cmp_eq_u64_e64 s[26:27], 0, v[2:3]
	v_min_i32_e32 v3, 31, v4
	v_lshlrev_b32_e32 v3, 2, v3
	v_cmp_eq_u32_e32 vcc, 0, v4
	v_and_b32_e32 v3, 0xfc, v3
	v_and_or_b32 v2, v2, 3, v3
	s_and_b64 s[26:27], vcc, s[26:27]
	v_cndmask_b32_e64 v2, v2, 0, s[26:27]
	v_or_b32_e32 v47, v2, v14
.LBB2_271:                              ;   in Loop: Header=BB2_133 Depth=3
	s_or_b64 exec, exec, s[34:35]
                                        ; implicit-def: $vgpr14
.LBB2_272:                              ;   in Loop: Header=BB2_133 Depth=3
	s_andn2_saveexec_b64 s[26:27], s[30:31]
; %bb.273:                              ;   in Loop: Header=BB2_133 Depth=3
	v_or_b32_e32 v47, 0x7b, v14
; %bb.274:                              ;   in Loop: Header=BB2_133 Depth=3
	s_or_b64 exec, exec, s[26:27]
                                        ; implicit-def: $vgpr4
                                        ; implicit-def: $vgpr2_vgpr3
.LBB2_275:                              ;   in Loop: Header=BB2_133 Depth=3
	s_andn2_saveexec_b64 s[26:27], s[94:95]
	s_cbranch_execz .LBB2_281
; %bb.276:                              ;   in Loop: Header=BB2_133 Depth=3
	v_cmp_ne_u64_e32 vcc, 0, v[2:3]
                                        ; implicit-def: $vgpr47
	s_and_saveexec_b64 s[94:95], vcc
	s_xor_b64 s[94:95], exec, s[94:95]
; %bb.277:                              ;   in Loop: Header=BB2_133 Depth=3
	v_or_b32_sdwa v47, v4, s47 dst_sel:DWORD dst_unused:UNUSED_PAD src0_sel:BYTE_3 src1_sel:DWORD
                                        ; implicit-def: $vgpr4
; %bb.278:                              ;   in Loop: Header=BB2_133 Depth=3
	s_andn2_saveexec_b64 s[94:95], s[94:95]
; %bb.279:                              ;   in Loop: Header=BB2_133 Depth=3
	v_cmp_lt_i32_e32 vcc, -1, v4
	v_cndmask_b32_e32 v47, v6, v22, vcc
; %bb.280:                              ;   in Loop: Header=BB2_133 Depth=3
	s_or_b64 exec, exec, s[94:95]
.LBB2_281:                              ;   in Loop: Header=BB2_133 Depth=3
	s_or_b64 exec, exec, s[26:27]
	v_lshrrev_b16_e32 v2, 8, v28
	v_cmp_ne_u16_e32 vcc, 0, v2
	v_mov_b32_e32 v3, 0
	s_and_saveexec_b64 s[26:27], vcc
	s_cbranch_execz .LBB2_289
; %bb.282:                              ;   in Loop: Header=BB2_133 Depth=3
	v_cmp_ne_u16_e32 vcc, s96, v2
	v_bfrev_b32_e32 v3, 1
	s_and_saveexec_b64 s[94:95], vcc
	s_cbranch_execz .LBB2_288
; %bb.283:                              ;   in Loop: Header=BB2_133 Depth=3
	v_and_b32_e32 v3, 0x7c, v2
	v_and_b32_e32 v4, 3, v2
	v_cmp_ne_u32_e32 vcc, s85, v3
                                        ; implicit-def: $vgpr3
	s_and_saveexec_b64 s[30:31], vcc
	s_xor_b64 s[30:31], exec, s[30:31]
	s_cbranch_execz .LBB2_285
; %bb.284:                              ;   in Loop: Header=BB2_133 Depth=3
	v_ffbh_u32_e32 v16, v4
	v_min_u32_e32 v16, 32, v16
	v_mov_b32_e32 v3, v29
	v_subrev_u32_e32 v17, 29, v16
	v_bfe_u32 v14, v2, 2, 5
	v_lshlrev_b64 v[2:3], v17, v[2:3]
	v_cmp_eq_u32_e32 vcc, 0, v14
	v_and_b32_e32 v2, 3, v2
	v_sub_u32_e32 v3, 30, v16
	v_cndmask_b32_e32 v2, v4, v2, vcc
	v_lshlrev_b32_e32 v4, 16, v28
	v_cndmask_b32_e32 v3, v14, v3, vcc
	v_and_b32_e32 v4, 0x80000000, v4
	v_lshl_add_u32 v3, v3, 23, v4
	v_lshl_or_b32 v2, v2, 21, v3
	v_add_u32_e32 v3, 0x38000000, v2
                                        ; implicit-def: $vgpr4
.LBB2_285:                              ;   in Loop: Header=BB2_133 Depth=3
	s_andn2_saveexec_b64 s[30:31], s[30:31]
; %bb.286:                              ;   in Loop: Header=BB2_133 Depth=3
	v_cmp_lt_i16_e32 vcc, -1, v28
	v_cndmask_b32_e32 v2, v7, v0, vcc
	v_cmp_eq_u32_e32 vcc, 0, v4
	v_cndmask_b32_e32 v3, v35, v2, vcc
; %bb.287:                              ;   in Loop: Header=BB2_133 Depth=3
	s_or_b64 exec, exec, s[30:31]
.LBB2_288:                              ;   in Loop: Header=BB2_133 Depth=3
	s_or_b64 exec, exec, s[94:95]
.LBB2_289:                              ;   in Loop: Header=BB2_133 Depth=3
	s_or_b64 exec, exec, s[26:27]
	v_mul_f32_e32 v2, v30, v3
	v_and_b32_e32 v3, 0x7f800000, v2
	v_mov_b32_e32 v4, v29
	v_cmp_ne_u64_e32 vcc, s[76:77], v[3:4]
	v_and_b32_e32 v28, 0x7fffff, v2
                                        ; implicit-def: $vgpr3
                                        ; kill: killed $vgpr3
	s_and_saveexec_b64 s[26:27], vcc
	s_xor_b64 s[94:95], exec, s[26:27]
	s_cbranch_execz .LBB2_303
; %bb.290:                              ;   in Loop: Header=BB2_133 Depth=3
	v_and_b32_e32 v3, 0x7fffffff, v2
	v_mov_b32_e32 v4, v29
	v_cmp_gt_u64_e32 vcc, s[78:79], v[3:4]
	v_and_b32_sdwa v14, v2, s96 dst_sel:DWORD dst_unused:UNUSED_PAD src0_sel:BYTE_3 src1_sel:DWORD
                                        ; implicit-def: $vgpr3
                                        ; kill: killed $vgpr3
	s_and_saveexec_b64 s[26:27], vcc
	s_xor_b64 s[30:31], exec, s[26:27]
	s_cbranch_execz .LBB2_300
; %bb.291:                              ;   in Loop: Header=BB2_133 Depth=3
	v_mov_b32_e32 v3, 0
	v_cmp_ne_u32_e32 vcc, 0, v2
	buffer_store_dword v3, off, s[0:3], s33 offset:160 ; 4-byte Folded Spill
	s_and_saveexec_b64 s[34:35], vcc
	s_cbranch_execz .LBB2_299
; %bb.292:                              ;   in Loop: Header=BB2_133 Depth=3
	v_bfe_u32 v16, v2, 23, 8
	v_cmp_gt_u32_e64 s[26:27], s46, v16
	v_sub_u32_e32 v2, 0x71, v16
	v_cmp_eq_u32_e32 vcc, 0, v16
	v_cndmask_b32_e64 v2, 0, v2, s[26:27]
	v_mov_b32_e32 v4, 0x70
	v_cndmask_b32_e32 v17, v2, v4, vcc
	v_add_u32_e32 v4, 21, v17
	v_or_b32_e32 v3, 0x800000, v28
	v_lshlrev_b64 v[18:19], v4, -1
	v_cndmask_b32_e32 v2, v3, v28, vcc
	v_mov_b32_e32 v3, v29
	v_add_u32_e32 v4, 20, v17
	v_bfi_b32 v18, v18, 0, v2
	v_lshlrev_b64 v[31:32], v4, 1
	v_lshrrev_b64 v[2:3], v17, v[2:3]
	v_bfi_b32 v19, v19, 0, 0
	v_cmp_eq_u64_e64 s[26:27], v[18:19], v[31:32]
	v_mov_b32_e32 v4, v3
	v_mov_b32_e32 v3, v2
	s_and_saveexec_b64 s[36:37], s[26:27]
; %bb.293:                              ;   in Loop: Header=BB2_133 Depth=3
	v_bfe_u32 v3, v2, 21, 1
	v_add_co_u32_e64 v3, s[26:27], v2, v3
	v_add_co_u32_e64 v3, s[26:27], -1, v3
; %bb.294:                              ;   in Loop: Header=BB2_133 Depth=3
	s_or_b64 exec, exec, s[36:37]
	v_add_u32_e32 v4, 0xffffff81, v16
	v_cndmask_b32_e32 v4, v4, v1, vcc
	v_lshrrev_b32_e32 v16, 23, v2
	v_add3_u32 v17, v17, v4, v16
	v_add_u32_e32 v16, 14, v17
	v_and_b32_e32 v3, 0x1fffff, v3
	v_add_u32_e32 v28, v3, v2
	v_cmp_ne_u32_e32 vcc, 0, v16
                                        ; implicit-def: $vgpr2_vgpr3
                                        ; implicit-def: $vgpr4
	s_and_saveexec_b64 s[26:27], vcc
	s_xor_b64 s[26:27], exec, s[26:27]
; %bb.295:                              ;   in Loop: Header=BB2_133 Depth=3
	v_cmp_lt_u64_e32 vcc, s[88:89], v[28:29]
	v_add_u32_e32 v2, 15, v17
	v_cndmask_b32_e32 v4, v16, v2, vcc
	v_cndmask_b32_e64 v2, 0, 1, vcc
	v_lshrrev_b64 v[2:3], v2, v[28:29]
; %bb.296:                              ;   in Loop: Header=BB2_133 Depth=3
	s_andn2_saveexec_b64 s[26:27], s[26:27]
; %bb.297:                              ;   in Loop: Header=BB2_133 Depth=3
	v_mov_b32_e32 v2, v28
	v_mov_b32_e32 v3, v29
	v_bfe_u32 v4, v28, 23, 1
; %bb.298:                              ;   in Loop: Header=BB2_133 Depth=3
	s_or_b64 exec, exec, s[26:27]
	v_lshrrev_b64 v[2:3], 21, v[2:3]
	v_cmp_gt_i32_e32 vcc, 32, v4
	v_cndmask_b32_e32 v3, 0, v3, vcc
	v_cndmask_b32_e32 v2, 3, v2, vcc
	v_cmp_eq_u64_e64 s[26:27], 0, v[2:3]
	v_min_i32_e32 v3, 31, v4
	v_lshlrev_b32_e32 v3, 2, v3
	v_cmp_eq_u32_e32 vcc, 0, v4
	v_and_b32_e32 v3, 0xfc, v3
	v_and_or_b32 v2, v2, 3, v3
	s_and_b64 s[26:27], vcc, s[26:27]
	v_cndmask_b32_e64 v2, v2, 0, s[26:27]
	v_or_b32_e32 v2, v2, v14
	buffer_store_dword v2, off, s[0:3], s33 offset:160 ; 4-byte Folded Spill
.LBB2_299:                              ;   in Loop: Header=BB2_133 Depth=3
	s_or_b64 exec, exec, s[34:35]
                                        ; implicit-def: $vgpr14
.LBB2_300:                              ;   in Loop: Header=BB2_133 Depth=3
	s_andn2_saveexec_b64 s[26:27], s[30:31]
	s_cbranch_execz .LBB2_302
; %bb.301:                              ;   in Loop: Header=BB2_133 Depth=3
	v_or_b32_e32 v2, 0x7b, v14
	buffer_store_dword v2, off, s[0:3], s33 offset:160 ; 4-byte Folded Spill
.LBB2_302:                              ;   in Loop: Header=BB2_133 Depth=3
	s_or_b64 exec, exec, s[26:27]
                                        ; implicit-def: $vgpr2
.LBB2_303:                              ;   in Loop: Header=BB2_133 Depth=3
	s_andn2_saveexec_b64 s[26:27], s[94:95]
	s_cbranch_execz .LBB2_309
; %bb.304:                              ;   in Loop: Header=BB2_133 Depth=3
	v_cmp_ne_u64_e32 vcc, 0, v[28:29]
                                        ; implicit-def: $vgpr3
                                        ; kill: killed $vgpr3
	s_and_saveexec_b64 s[94:95], vcc
	s_xor_b64 s[94:95], exec, s[94:95]
	s_cbranch_execz .LBB2_306
; %bb.305:                              ;   in Loop: Header=BB2_133 Depth=3
	v_or_b32_sdwa v2, v2, s47 dst_sel:DWORD dst_unused:UNUSED_PAD src0_sel:BYTE_3 src1_sel:DWORD
	buffer_store_dword v2, off, s[0:3], s33 offset:160 ; 4-byte Folded Spill
                                        ; implicit-def: $vgpr2
.LBB2_306:                              ;   in Loop: Header=BB2_133 Depth=3
	s_andn2_saveexec_b64 s[94:95], s[94:95]
	s_cbranch_execz .LBB2_308
; %bb.307:                              ;   in Loop: Header=BB2_133 Depth=3
	v_cmp_lt_i32_e32 vcc, -1, v2
	v_cndmask_b32_e32 v2, v6, v22, vcc
	buffer_store_dword v2, off, s[0:3], s33 offset:160 ; 4-byte Folded Spill
.LBB2_308:                              ;   in Loop: Header=BB2_133 Depth=3
	s_or_b64 exec, exec, s[94:95]
.LBB2_309:                              ;   in Loop: Header=BB2_133 Depth=3
	s_or_b64 exec, exec, s[26:27]
	v_lshrrev_b32_e32 v2, 16, v9
	v_cmp_ne_u16_sdwa s[94:95], v2, v29 src0_sel:BYTE_0 src1_sel:DWORD
	v_mov_b32_e32 v3, 0
	s_and_saveexec_b64 s[26:27], s[94:95]
	s_cbranch_execz .LBB2_317
; %bb.310:                              ;   in Loop: Header=BB2_133 Depth=3
	v_cmp_ne_u16_sdwa vcc, v2, s96 src0_sel:BYTE_0 src1_sel:DWORD
	v_bfrev_b32_e32 v3, 1
	s_and_saveexec_b64 s[94:95], vcc
	s_cbranch_execz .LBB2_316
; %bb.311:                              ;   in Loop: Header=BB2_133 Depth=3
	v_and_b32_e32 v3, 0x7c0000, v9
	v_bfe_u32 v4, v9, 16, 2
	v_cmp_ne_u32_e32 vcc, s44, v3
                                        ; implicit-def: $vgpr3
	s_and_saveexec_b64 s[30:31], vcc
	s_xor_b64 s[30:31], exec, s[30:31]
	s_cbranch_execz .LBB2_313
; %bb.312:                              ;   in Loop: Header=BB2_133 Depth=3
	v_ffbh_u32_e32 v3, v4
	v_min_u32_e32 v16, 32, v3
	v_subrev_u32_e32 v3, 29, v16
	v_lshlrev_b64 v[2:3], v3, v[2:3]
	v_bfe_u32 v14, v9, 18, 5
	v_and_b32_e32 v2, 3, v2
	v_cmp_eq_u32_e32 vcc, 0, v14
	v_sub_u32_e32 v3, 30, v16
	v_cndmask_b32_e32 v2, v4, v2, vcc
	v_lshlrev_b32_e32 v4, 8, v9
	v_cndmask_b32_e32 v3, v14, v3, vcc
	v_and_b32_e32 v4, 0x80000000, v4
	v_lshl_add_u32 v3, v3, 23, v4
	v_lshl_or_b32 v2, v2, 21, v3
	v_add_u32_e32 v3, 0x38000000, v2
                                        ; implicit-def: $vgpr4
                                        ; implicit-def: $vgpr2
.LBB2_313:                              ;   in Loop: Header=BB2_133 Depth=3
	s_andn2_saveexec_b64 s[30:31], s[30:31]
; %bb.314:                              ;   in Loop: Header=BB2_133 Depth=3
	v_cmp_gt_i16_sdwa vcc, sext(v2), v48 src0_sel:BYTE_0 src1_sel:DWORD
	v_cndmask_b32_e32 v2, v7, v0, vcc
	v_cmp_eq_u32_e32 vcc, 0, v4
	v_cndmask_b32_e32 v3, v35, v2, vcc
; %bb.315:                              ;   in Loop: Header=BB2_133 Depth=3
	s_or_b64 exec, exec, s[30:31]
.LBB2_316:                              ;   in Loop: Header=BB2_133 Depth=3
	s_or_b64 exec, exec, s[94:95]
.LBB2_317:                              ;   in Loop: Header=BB2_133 Depth=3
	s_or_b64 exec, exec, s[26:27]
	v_mul_f32_e32 v2, v30, v3
	v_and_b32_e32 v3, 0x7f800000, v2
	v_mov_b32_e32 v4, v29
	v_cmp_ne_u64_e32 vcc, s[76:77], v[3:4]
	v_and_b32_e32 v28, 0x7fffff, v2
                                        ; implicit-def: $vgpr3
                                        ; kill: killed $vgpr3
	s_and_saveexec_b64 s[26:27], vcc
	s_xor_b64 s[94:95], exec, s[26:27]
	s_cbranch_execz .LBB2_331
; %bb.318:                              ;   in Loop: Header=BB2_133 Depth=3
	v_and_b32_e32 v3, 0x7fffffff, v2
	v_mov_b32_e32 v4, v29
	v_cmp_gt_u64_e32 vcc, s[78:79], v[3:4]
	v_and_b32_sdwa v14, v2, s96 dst_sel:DWORD dst_unused:UNUSED_PAD src0_sel:BYTE_3 src1_sel:DWORD
                                        ; implicit-def: $vgpr3
                                        ; kill: killed $vgpr3
	s_and_saveexec_b64 s[26:27], vcc
	s_xor_b64 s[30:31], exec, s[26:27]
	s_cbranch_execz .LBB2_328
; %bb.319:                              ;   in Loop: Header=BB2_133 Depth=3
	v_mov_b32_e32 v3, 0
	v_cmp_ne_u32_e32 vcc, 0, v2
	buffer_store_dword v3, off, s[0:3], s33 offset:176 ; 4-byte Folded Spill
	s_and_saveexec_b64 s[34:35], vcc
	s_cbranch_execz .LBB2_327
; %bb.320:                              ;   in Loop: Header=BB2_133 Depth=3
	v_bfe_u32 v16, v2, 23, 8
	v_cmp_gt_u32_e64 s[26:27], s46, v16
	v_sub_u32_e32 v2, 0x71, v16
	v_cmp_eq_u32_e32 vcc, 0, v16
	v_cndmask_b32_e64 v2, 0, v2, s[26:27]
	v_mov_b32_e32 v4, 0x70
	v_cndmask_b32_e32 v17, v2, v4, vcc
	v_add_u32_e32 v4, 21, v17
	v_or_b32_e32 v3, 0x800000, v28
	v_lshlrev_b64 v[18:19], v4, -1
	v_cndmask_b32_e32 v2, v3, v28, vcc
	v_mov_b32_e32 v3, v29
	v_add_u32_e32 v4, 20, v17
	v_bfi_b32 v18, v18, 0, v2
	v_lshlrev_b64 v[31:32], v4, 1
	v_lshrrev_b64 v[2:3], v17, v[2:3]
	v_bfi_b32 v19, v19, 0, 0
	v_cmp_eq_u64_e64 s[26:27], v[18:19], v[31:32]
	v_mov_b32_e32 v4, v3
	v_mov_b32_e32 v3, v2
	s_and_saveexec_b64 s[36:37], s[26:27]
; %bb.321:                              ;   in Loop: Header=BB2_133 Depth=3
	v_bfe_u32 v3, v2, 21, 1
	v_add_co_u32_e64 v3, s[26:27], v2, v3
	v_add_co_u32_e64 v3, s[26:27], -1, v3
; %bb.322:                              ;   in Loop: Header=BB2_133 Depth=3
	s_or_b64 exec, exec, s[36:37]
	v_add_u32_e32 v4, 0xffffff81, v16
	v_cndmask_b32_e32 v4, v4, v1, vcc
	v_lshrrev_b32_e32 v16, 23, v2
	v_add3_u32 v17, v17, v4, v16
	v_add_u32_e32 v16, 14, v17
	v_and_b32_e32 v3, 0x1fffff, v3
	v_add_u32_e32 v28, v3, v2
	v_cmp_ne_u32_e32 vcc, 0, v16
                                        ; implicit-def: $vgpr2_vgpr3
                                        ; implicit-def: $vgpr4
	s_and_saveexec_b64 s[26:27], vcc
	s_xor_b64 s[26:27], exec, s[26:27]
; %bb.323:                              ;   in Loop: Header=BB2_133 Depth=3
	v_cmp_lt_u64_e32 vcc, s[88:89], v[28:29]
	v_add_u32_e32 v2, 15, v17
	v_cndmask_b32_e32 v4, v16, v2, vcc
	v_cndmask_b32_e64 v2, 0, 1, vcc
	v_lshrrev_b64 v[2:3], v2, v[28:29]
; %bb.324:                              ;   in Loop: Header=BB2_133 Depth=3
	s_andn2_saveexec_b64 s[26:27], s[26:27]
; %bb.325:                              ;   in Loop: Header=BB2_133 Depth=3
	v_mov_b32_e32 v2, v28
	v_mov_b32_e32 v3, v29
	v_bfe_u32 v4, v28, 23, 1
; %bb.326:                              ;   in Loop: Header=BB2_133 Depth=3
	s_or_b64 exec, exec, s[26:27]
	v_lshrrev_b64 v[2:3], 21, v[2:3]
	v_cmp_gt_i32_e32 vcc, 32, v4
	v_cndmask_b32_e32 v3, 0, v3, vcc
	v_cndmask_b32_e32 v2, 3, v2, vcc
	v_cmp_eq_u64_e64 s[26:27], 0, v[2:3]
	v_min_i32_e32 v3, 31, v4
	v_lshlrev_b32_e32 v3, 2, v3
	v_cmp_eq_u32_e32 vcc, 0, v4
	v_and_b32_e32 v3, 0xfc, v3
	v_and_or_b32 v2, v2, 3, v3
	s_and_b64 s[26:27], vcc, s[26:27]
	v_cndmask_b32_e64 v2, v2, 0, s[26:27]
	v_or_b32_e32 v2, v2, v14
	buffer_store_dword v2, off, s[0:3], s33 offset:176 ; 4-byte Folded Spill
.LBB2_327:                              ;   in Loop: Header=BB2_133 Depth=3
	s_or_b64 exec, exec, s[34:35]
                                        ; implicit-def: $vgpr14
.LBB2_328:                              ;   in Loop: Header=BB2_133 Depth=3
	s_andn2_saveexec_b64 s[26:27], s[30:31]
	s_cbranch_execz .LBB2_330
; %bb.329:                              ;   in Loop: Header=BB2_133 Depth=3
	v_or_b32_e32 v2, 0x7b, v14
	buffer_store_dword v2, off, s[0:3], s33 offset:176 ; 4-byte Folded Spill
.LBB2_330:                              ;   in Loop: Header=BB2_133 Depth=3
	s_or_b64 exec, exec, s[26:27]
                                        ; implicit-def: $vgpr2
.LBB2_331:                              ;   in Loop: Header=BB2_133 Depth=3
	s_andn2_saveexec_b64 s[26:27], s[94:95]
	s_cbranch_execz .LBB2_337
; %bb.332:                              ;   in Loop: Header=BB2_133 Depth=3
	v_cmp_ne_u64_e32 vcc, 0, v[28:29]
                                        ; implicit-def: $vgpr3
                                        ; kill: killed $vgpr3
	s_and_saveexec_b64 s[94:95], vcc
	s_xor_b64 s[94:95], exec, s[94:95]
	s_cbranch_execz .LBB2_334
; %bb.333:                              ;   in Loop: Header=BB2_133 Depth=3
	v_or_b32_sdwa v2, v2, s47 dst_sel:DWORD dst_unused:UNUSED_PAD src0_sel:BYTE_3 src1_sel:DWORD
	buffer_store_dword v2, off, s[0:3], s33 offset:176 ; 4-byte Folded Spill
                                        ; implicit-def: $vgpr2
.LBB2_334:                              ;   in Loop: Header=BB2_133 Depth=3
	s_andn2_saveexec_b64 s[94:95], s[94:95]
	s_cbranch_execz .LBB2_336
; %bb.335:                              ;   in Loop: Header=BB2_133 Depth=3
	v_cmp_lt_i32_e32 vcc, -1, v2
	v_cndmask_b32_e32 v2, v6, v22, vcc
	buffer_store_dword v2, off, s[0:3], s33 offset:176 ; 4-byte Folded Spill
.LBB2_336:                              ;   in Loop: Header=BB2_133 Depth=3
	s_or_b64 exec, exec, s[94:95]
.LBB2_337:                              ;   in Loop: Header=BB2_133 Depth=3
	s_or_b64 exec, exec, s[26:27]
	v_cmp_lt_u64_e32 vcc, s[56:57], v[8:9]
	v_mov_b32_e32 v3, 0
	s_and_saveexec_b64 s[26:27], vcc
	s_cbranch_execz .LBB2_345
; %bb.338:                              ;   in Loop: Header=BB2_133 Depth=3
	v_lshrrev_b32_e32 v2, 24, v9
	v_cmp_ne_u32_e32 vcc, s96, v2
	v_bfrev_b32_e32 v3, 1
	s_and_saveexec_b64 s[94:95], vcc
	s_cbranch_execz .LBB2_344
; %bb.339:                              ;   in Loop: Header=BB2_133 Depth=3
	v_and_b32_e32 v3, 0x7c000000, v9
	v_bfe_u32 v4, v9, 24, 2
	v_cmp_ne_u32_e32 vcc, s45, v3
                                        ; implicit-def: $vgpr3
	s_and_saveexec_b64 s[30:31], vcc
	s_xor_b64 s[30:31], exec, s[30:31]
	s_cbranch_execz .LBB2_341
; %bb.340:                              ;   in Loop: Header=BB2_133 Depth=3
	v_ffbh_u32_e32 v3, v4
	v_min_u32_e32 v16, 32, v3
	v_subrev_u32_e32 v3, 29, v16
	v_lshlrev_b64 v[2:3], v3, v[2:3]
	v_bfe_u32 v14, v9, 26, 5
	v_sub_u32_e32 v3, 30, v16
	v_and_b32_e32 v2, 3, v2
	v_cmp_eq_u32_e32 vcc, 0, v14
	v_cndmask_b32_e32 v3, v14, v3, vcc
	v_cndmask_b32_e32 v2, v4, v2, vcc
	v_and_b32_e32 v4, 0x80000000, v9
	v_lshl_add_u32 v3, v3, 23, v4
	v_lshl_or_b32 v2, v2, 21, v3
	v_add_u32_e32 v3, 0x38000000, v2
                                        ; implicit-def: $vgpr4
.LBB2_341:                              ;   in Loop: Header=BB2_133 Depth=3
	s_andn2_saveexec_b64 s[30:31], s[30:31]
; %bb.342:                              ;   in Loop: Header=BB2_133 Depth=3
	v_cmp_lt_i64_e32 vcc, -1, v[8:9]
	v_cndmask_b32_e32 v2, v7, v0, vcc
	v_cmp_eq_u32_e32 vcc, 0, v4
	v_cndmask_b32_e32 v3, v35, v2, vcc
; %bb.343:                              ;   in Loop: Header=BB2_133 Depth=3
	s_or_b64 exec, exec, s[30:31]
.LBB2_344:                              ;   in Loop: Header=BB2_133 Depth=3
	s_or_b64 exec, exec, s[94:95]
.LBB2_345:                              ;   in Loop: Header=BB2_133 Depth=3
	s_or_b64 exec, exec, s[26:27]
	v_mul_f32_e32 v2, v30, v3
	v_and_b32_e32 v3, 0x7f800000, v2
	v_mov_b32_e32 v4, v29
	v_cmp_ne_u64_e32 vcc, s[76:77], v[3:4]
	v_and_b32_e32 v28, 0x7fffff, v2
                                        ; implicit-def: $vgpr3
                                        ; kill: killed $vgpr3
	s_and_saveexec_b64 s[26:27], vcc
	s_xor_b64 s[94:95], exec, s[26:27]
	s_cbranch_execz .LBB2_359
; %bb.346:                              ;   in Loop: Header=BB2_133 Depth=3
	v_and_b32_e32 v3, 0x7fffffff, v2
	v_mov_b32_e32 v4, v29
	v_cmp_gt_u64_e32 vcc, s[78:79], v[3:4]
	v_and_b32_sdwa v8, v2, s96 dst_sel:DWORD dst_unused:UNUSED_PAD src0_sel:BYTE_3 src1_sel:DWORD
                                        ; implicit-def: $vgpr3
                                        ; kill: killed $vgpr3
	s_and_saveexec_b64 s[26:27], vcc
	s_xor_b64 s[30:31], exec, s[26:27]
	s_cbranch_execz .LBB2_356
; %bb.347:                              ;   in Loop: Header=BB2_133 Depth=3
	v_mov_b32_e32 v3, 0
	v_cmp_ne_u32_e32 vcc, 0, v2
	buffer_store_dword v3, off, s[0:3], s33 offset:184 ; 4-byte Folded Spill
	s_and_saveexec_b64 s[34:35], vcc
	s_cbranch_execz .LBB2_355
; %bb.348:                              ;   in Loop: Header=BB2_133 Depth=3
	v_bfe_u32 v9, v2, 23, 8
	v_cmp_gt_u32_e64 s[26:27], s46, v9
	v_sub_u32_e32 v2, 0x71, v9
	v_cmp_eq_u32_e32 vcc, 0, v9
	v_cndmask_b32_e64 v2, 0, v2, s[26:27]
	v_mov_b32_e32 v4, 0x70
	v_cndmask_b32_e32 v14, v2, v4, vcc
	v_add_u32_e32 v4, 21, v14
	v_or_b32_e32 v3, 0x800000, v28
	v_lshlrev_b64 v[16:17], v4, -1
	v_cndmask_b32_e32 v2, v3, v28, vcc
	v_mov_b32_e32 v3, v29
	v_add_u32_e32 v4, 20, v14
	v_bfi_b32 v16, v16, 0, v2
	v_lshlrev_b64 v[18:19], v4, 1
	v_lshrrev_b64 v[2:3], v14, v[2:3]
	v_bfi_b32 v17, v17, 0, 0
	v_cmp_eq_u64_e64 s[26:27], v[16:17], v[18:19]
	v_mov_b32_e32 v4, v3
	v_mov_b32_e32 v3, v2
	s_and_saveexec_b64 s[36:37], s[26:27]
; %bb.349:                              ;   in Loop: Header=BB2_133 Depth=3
	v_bfe_u32 v3, v2, 21, 1
	v_add_co_u32_e64 v3, s[26:27], v2, v3
	v_add_co_u32_e64 v3, s[26:27], -1, v3
; %bb.350:                              ;   in Loop: Header=BB2_133 Depth=3
	s_or_b64 exec, exec, s[36:37]
	v_add_u32_e32 v4, 0xffffff81, v9
	v_cndmask_b32_e32 v4, v4, v1, vcc
	v_lshrrev_b32_e32 v9, 23, v2
	v_add3_u32 v14, v14, v4, v9
	v_add_u32_e32 v9, 14, v14
	v_and_b32_e32 v3, 0x1fffff, v3
	v_add_u32_e32 v28, v3, v2
	v_cmp_ne_u32_e32 vcc, 0, v9
                                        ; implicit-def: $vgpr2_vgpr3
                                        ; implicit-def: $vgpr4
	s_and_saveexec_b64 s[26:27], vcc
	s_xor_b64 s[26:27], exec, s[26:27]
; %bb.351:                              ;   in Loop: Header=BB2_133 Depth=3
	v_cmp_lt_u64_e32 vcc, s[88:89], v[28:29]
	v_add_u32_e32 v2, 15, v14
	v_cndmask_b32_e32 v4, v9, v2, vcc
	v_cndmask_b32_e64 v2, 0, 1, vcc
	v_lshrrev_b64 v[2:3], v2, v[28:29]
; %bb.352:                              ;   in Loop: Header=BB2_133 Depth=3
	s_andn2_saveexec_b64 s[26:27], s[26:27]
; %bb.353:                              ;   in Loop: Header=BB2_133 Depth=3
	v_mov_b32_e32 v2, v28
	v_mov_b32_e32 v3, v29
	v_bfe_u32 v4, v28, 23, 1
; %bb.354:                              ;   in Loop: Header=BB2_133 Depth=3
	s_or_b64 exec, exec, s[26:27]
	v_lshrrev_b64 v[2:3], 21, v[2:3]
	v_cmp_gt_i32_e32 vcc, 32, v4
	v_cndmask_b32_e32 v3, 0, v3, vcc
	v_cndmask_b32_e32 v2, 3, v2, vcc
	v_cmp_eq_u64_e64 s[26:27], 0, v[2:3]
	v_min_i32_e32 v3, 31, v4
	v_lshlrev_b32_e32 v3, 2, v3
	v_cmp_eq_u32_e32 vcc, 0, v4
	v_and_b32_e32 v3, 0xfc, v3
	v_and_or_b32 v2, v2, 3, v3
	s_and_b64 s[26:27], vcc, s[26:27]
	v_cndmask_b32_e64 v2, v2, 0, s[26:27]
	v_or_b32_e32 v2, v2, v8
	buffer_store_dword v2, off, s[0:3], s33 offset:184 ; 4-byte Folded Spill
.LBB2_355:                              ;   in Loop: Header=BB2_133 Depth=3
	s_or_b64 exec, exec, s[34:35]
                                        ; implicit-def: $vgpr8
.LBB2_356:                              ;   in Loop: Header=BB2_133 Depth=3
	s_andn2_saveexec_b64 s[26:27], s[30:31]
	s_cbranch_execz .LBB2_358
; %bb.357:                              ;   in Loop: Header=BB2_133 Depth=3
	v_or_b32_e32 v2, 0x7b, v8
	buffer_store_dword v2, off, s[0:3], s33 offset:184 ; 4-byte Folded Spill
.LBB2_358:                              ;   in Loop: Header=BB2_133 Depth=3
	s_or_b64 exec, exec, s[26:27]
                                        ; implicit-def: $vgpr2
.LBB2_359:                              ;   in Loop: Header=BB2_133 Depth=3
	s_andn2_saveexec_b64 s[26:27], s[94:95]
	s_cbranch_execz .LBB2_365
; %bb.360:                              ;   in Loop: Header=BB2_133 Depth=3
	v_cmp_ne_u64_e32 vcc, 0, v[28:29]
                                        ; implicit-def: $vgpr3
                                        ; kill: killed $vgpr3
	s_and_saveexec_b64 s[94:95], vcc
	s_xor_b64 s[94:95], exec, s[94:95]
	s_cbranch_execz .LBB2_362
; %bb.361:                              ;   in Loop: Header=BB2_133 Depth=3
	v_or_b32_sdwa v2, v2, s47 dst_sel:DWORD dst_unused:UNUSED_PAD src0_sel:BYTE_3 src1_sel:DWORD
	buffer_store_dword v2, off, s[0:3], s33 offset:184 ; 4-byte Folded Spill
                                        ; implicit-def: $vgpr2
.LBB2_362:                              ;   in Loop: Header=BB2_133 Depth=3
	s_andn2_saveexec_b64 s[94:95], s[94:95]
	s_cbranch_execz .LBB2_364
; %bb.363:                              ;   in Loop: Header=BB2_133 Depth=3
	v_cmp_lt_i32_e32 vcc, -1, v2
	v_cndmask_b32_e32 v2, v6, v22, vcc
	buffer_store_dword v2, off, s[0:3], s33 offset:184 ; 4-byte Folded Spill
.LBB2_364:                              ;   in Loop: Header=BB2_133 Depth=3
	s_or_b64 exec, exec, s[94:95]
.LBB2_365:                              ;   in Loop: Header=BB2_133 Depth=3
	s_or_b64 exec, exec, s[26:27]
	v_cmp_ne_u16_sdwa s[94:95], v10, v29 src0_sel:BYTE_0 src1_sel:DWORD
	v_mov_b32_e32 v2, 0
	s_and_saveexec_b64 s[26:27], s[94:95]
	s_cbranch_execz .LBB2_373
; %bb.366:                              ;   in Loop: Header=BB2_133 Depth=3
	v_cmp_ne_u16_sdwa vcc, sext(v10), s97 src0_sel:BYTE_0 src1_sel:DWORD
	v_bfrev_b32_e32 v2, 1
	s_and_saveexec_b64 s[94:95], vcc
	s_cbranch_execz .LBB2_372
; %bb.367:                              ;   in Loop: Header=BB2_133 Depth=3
	v_and_b32_e32 v2, 0x7c, v10
	v_and_b32_e32 v3, 3, v10
	v_cmp_ne_u32_e32 vcc, s85, v2
                                        ; implicit-def: $vgpr2
	s_and_saveexec_b64 s[30:31], vcc
	s_xor_b64 s[30:31], exec, s[30:31]
	s_cbranch_execz .LBB2_369
; %bb.368:                              ;   in Loop: Header=BB2_133 Depth=3
	v_ffbh_u32_e32 v4, v3
	v_min_u32_e32 v4, 32, v4
	v_bfe_u32 v2, v10, 2, 5
	v_subrev_u32_e32 v8, 29, v4
	v_lshlrev_b64 v[8:9], v8, v[10:11]
	v_sub_u32_e32 v4, 30, v4
	v_cmp_eq_u32_e32 vcc, 0, v2
	v_cndmask_b32_e32 v2, v2, v4, vcc
	v_lshlrev_b32_e32 v4, 24, v10
	v_and_b32_e32 v8, 3, v8
	v_and_b32_e32 v4, 0x80000000, v4
	v_cndmask_b32_e32 v3, v3, v8, vcc
	v_lshl_add_u32 v2, v2, 23, v4
	v_lshl_or_b32 v2, v3, 21, v2
	v_add_u32_e32 v2, 0x38000000, v2
                                        ; implicit-def: $vgpr3
.LBB2_369:                              ;   in Loop: Header=BB2_133 Depth=3
	s_andn2_saveexec_b64 s[30:31], s[30:31]
; %bb.370:                              ;   in Loop: Header=BB2_133 Depth=3
	v_cmp_gt_i16_sdwa vcc, sext(v10), v48 src0_sel:BYTE_0 src1_sel:DWORD
	v_cndmask_b32_e32 v2, v7, v0, vcc
	v_cmp_eq_u32_e32 vcc, 0, v3
	v_cndmask_b32_e32 v2, v35, v2, vcc
; %bb.371:                              ;   in Loop: Header=BB2_133 Depth=3
	s_or_b64 exec, exec, s[30:31]
.LBB2_372:                              ;   in Loop: Header=BB2_133 Depth=3
	s_or_b64 exec, exec, s[94:95]
.LBB2_373:                              ;   in Loop: Header=BB2_133 Depth=3
	s_or_b64 exec, exec, s[26:27]
	v_mul_f32_e32 v2, v30, v2
	v_and_b32_e32 v3, 0x7f800000, v2
	v_mov_b32_e32 v4, v29
	v_cmp_ne_u64_e32 vcc, s[76:77], v[3:4]
	v_and_b32_e32 v28, 0x7fffff, v2
                                        ; implicit-def: $vgpr3
                                        ; kill: killed $vgpr3
	s_and_saveexec_b64 s[26:27], vcc
	s_xor_b64 s[94:95], exec, s[26:27]
	s_cbranch_execz .LBB2_387
; %bb.374:                              ;   in Loop: Header=BB2_133 Depth=3
	v_and_b32_e32 v3, 0x7fffffff, v2
	v_mov_b32_e32 v4, v29
	v_cmp_gt_u64_e32 vcc, s[78:79], v[3:4]
	v_and_b32_sdwa v8, v2, s96 dst_sel:DWORD dst_unused:UNUSED_PAD src0_sel:BYTE_3 src1_sel:DWORD
                                        ; implicit-def: $vgpr3
                                        ; kill: killed $vgpr3
	s_and_saveexec_b64 s[26:27], vcc
	s_xor_b64 s[30:31], exec, s[26:27]
	s_cbranch_execz .LBB2_384
; %bb.375:                              ;   in Loop: Header=BB2_133 Depth=3
	v_mov_b32_e32 v3, 0
	v_cmp_ne_u32_e32 vcc, 0, v2
	buffer_store_dword v3, off, s[0:3], s33 offset:188 ; 4-byte Folded Spill
	s_and_saveexec_b64 s[34:35], vcc
	s_cbranch_execz .LBB2_383
; %bb.376:                              ;   in Loop: Header=BB2_133 Depth=3
	v_bfe_u32 v9, v2, 23, 8
	v_cmp_gt_u32_e64 s[26:27], s46, v9
	v_sub_u32_e32 v2, 0x71, v9
	v_cmp_eq_u32_e32 vcc, 0, v9
	v_cndmask_b32_e64 v2, 0, v2, s[26:27]
	v_mov_b32_e32 v4, 0x70
	v_cndmask_b32_e32 v14, v2, v4, vcc
	v_add_u32_e32 v4, 21, v14
	v_or_b32_e32 v3, 0x800000, v28
	v_lshlrev_b64 v[16:17], v4, -1
	v_cndmask_b32_e32 v2, v3, v28, vcc
	v_mov_b32_e32 v3, v29
	v_add_u32_e32 v4, 20, v14
	v_bfi_b32 v16, v16, 0, v2
	v_lshlrev_b64 v[18:19], v4, 1
	v_lshrrev_b64 v[2:3], v14, v[2:3]
	v_bfi_b32 v17, v17, 0, 0
	v_cmp_eq_u64_e64 s[26:27], v[16:17], v[18:19]
	v_mov_b32_e32 v4, v3
	v_mov_b32_e32 v3, v2
	s_and_saveexec_b64 s[36:37], s[26:27]
; %bb.377:                              ;   in Loop: Header=BB2_133 Depth=3
	v_bfe_u32 v3, v2, 21, 1
	v_add_co_u32_e64 v3, s[26:27], v2, v3
	v_add_co_u32_e64 v3, s[26:27], -1, v3
; %bb.378:                              ;   in Loop: Header=BB2_133 Depth=3
	s_or_b64 exec, exec, s[36:37]
	v_add_u32_e32 v4, 0xffffff81, v9
	v_cndmask_b32_e32 v4, v4, v1, vcc
	v_lshrrev_b32_e32 v9, 23, v2
	v_add3_u32 v14, v14, v4, v9
	v_add_u32_e32 v9, 14, v14
	v_and_b32_e32 v3, 0x1fffff, v3
	v_add_u32_e32 v28, v3, v2
	v_cmp_ne_u32_e32 vcc, 0, v9
                                        ; implicit-def: $vgpr2_vgpr3
                                        ; implicit-def: $vgpr4
	s_and_saveexec_b64 s[26:27], vcc
	s_xor_b64 s[26:27], exec, s[26:27]
; %bb.379:                              ;   in Loop: Header=BB2_133 Depth=3
	v_cmp_lt_u64_e32 vcc, s[88:89], v[28:29]
	v_add_u32_e32 v2, 15, v14
	v_cndmask_b32_e32 v4, v9, v2, vcc
	v_cndmask_b32_e64 v2, 0, 1, vcc
	v_lshrrev_b64 v[2:3], v2, v[28:29]
; %bb.380:                              ;   in Loop: Header=BB2_133 Depth=3
	s_andn2_saveexec_b64 s[26:27], s[26:27]
; %bb.381:                              ;   in Loop: Header=BB2_133 Depth=3
	v_mov_b32_e32 v2, v28
	v_mov_b32_e32 v3, v29
	v_bfe_u32 v4, v28, 23, 1
; %bb.382:                              ;   in Loop: Header=BB2_133 Depth=3
	s_or_b64 exec, exec, s[26:27]
	v_lshrrev_b64 v[2:3], 21, v[2:3]
	v_cmp_gt_i32_e32 vcc, 32, v4
	v_cndmask_b32_e32 v3, 0, v3, vcc
	v_cndmask_b32_e32 v2, 3, v2, vcc
	v_cmp_eq_u64_e64 s[26:27], 0, v[2:3]
	v_min_i32_e32 v3, 31, v4
	v_lshlrev_b32_e32 v3, 2, v3
	v_cmp_eq_u32_e32 vcc, 0, v4
	v_and_b32_e32 v3, 0xfc, v3
	v_and_or_b32 v2, v2, 3, v3
	s_and_b64 s[26:27], vcc, s[26:27]
	v_cndmask_b32_e64 v2, v2, 0, s[26:27]
	v_or_b32_e32 v2, v2, v8
	buffer_store_dword v2, off, s[0:3], s33 offset:188 ; 4-byte Folded Spill
.LBB2_383:                              ;   in Loop: Header=BB2_133 Depth=3
	s_or_b64 exec, exec, s[34:35]
                                        ; implicit-def: $vgpr8
.LBB2_384:                              ;   in Loop: Header=BB2_133 Depth=3
	s_andn2_saveexec_b64 s[26:27], s[30:31]
	s_cbranch_execz .LBB2_386
; %bb.385:                              ;   in Loop: Header=BB2_133 Depth=3
	v_or_b32_e32 v2, 0x7b, v8
	buffer_store_dword v2, off, s[0:3], s33 offset:188 ; 4-byte Folded Spill
.LBB2_386:                              ;   in Loop: Header=BB2_133 Depth=3
	s_or_b64 exec, exec, s[26:27]
                                        ; implicit-def: $vgpr2
.LBB2_387:                              ;   in Loop: Header=BB2_133 Depth=3
	s_andn2_saveexec_b64 s[26:27], s[94:95]
	s_cbranch_execz .LBB2_393
; %bb.388:                              ;   in Loop: Header=BB2_133 Depth=3
	v_cmp_ne_u64_e32 vcc, 0, v[28:29]
                                        ; implicit-def: $vgpr3
                                        ; kill: killed $vgpr3
	s_and_saveexec_b64 s[94:95], vcc
	s_xor_b64 s[94:95], exec, s[94:95]
	s_cbranch_execz .LBB2_390
; %bb.389:                              ;   in Loop: Header=BB2_133 Depth=3
	v_or_b32_sdwa v2, v2, s47 dst_sel:DWORD dst_unused:UNUSED_PAD src0_sel:BYTE_3 src1_sel:DWORD
	buffer_store_dword v2, off, s[0:3], s33 offset:188 ; 4-byte Folded Spill
                                        ; implicit-def: $vgpr2
.LBB2_390:                              ;   in Loop: Header=BB2_133 Depth=3
	s_andn2_saveexec_b64 s[94:95], s[94:95]
	s_cbranch_execz .LBB2_392
; %bb.391:                              ;   in Loop: Header=BB2_133 Depth=3
	v_cmp_lt_i32_e32 vcc, -1, v2
	v_cndmask_b32_e32 v2, v6, v22, vcc
	buffer_store_dword v2, off, s[0:3], s33 offset:188 ; 4-byte Folded Spill
.LBB2_392:                              ;   in Loop: Header=BB2_133 Depth=3
	s_or_b64 exec, exec, s[94:95]
.LBB2_393:                              ;   in Loop: Header=BB2_133 Depth=3
	s_or_b64 exec, exec, s[26:27]
	v_lshrrev_b16_e32 v2, 8, v10
	v_cmp_ne_u16_e32 vcc, 0, v2
	v_mov_b32_e32 v3, 0
	s_and_saveexec_b64 s[26:27], vcc
	s_cbranch_execz .LBB2_401
; %bb.394:                              ;   in Loop: Header=BB2_133 Depth=3
	v_cmp_ne_u16_e32 vcc, s96, v2
	v_bfrev_b32_e32 v3, 1
	s_and_saveexec_b64 s[94:95], vcc
	s_cbranch_execz .LBB2_400
; %bb.395:                              ;   in Loop: Header=BB2_133 Depth=3
	v_and_b32_e32 v3, 0x7c, v2
	v_and_b32_e32 v4, 3, v2
	v_cmp_ne_u32_e32 vcc, s85, v3
                                        ; implicit-def: $vgpr3
	s_and_saveexec_b64 s[30:31], vcc
	s_xor_b64 s[30:31], exec, s[30:31]
	s_cbranch_execz .LBB2_397
; %bb.396:                              ;   in Loop: Header=BB2_133 Depth=3
	v_ffbh_u32_e32 v9, v4
	v_min_u32_e32 v9, 32, v9
	v_mov_b32_e32 v3, v29
	v_subrev_u32_e32 v14, 29, v9
	v_bfe_u32 v8, v2, 2, 5
	v_lshlrev_b64 v[2:3], v14, v[2:3]
	v_cmp_eq_u32_e32 vcc, 0, v8
	v_and_b32_e32 v2, 3, v2
	v_sub_u32_e32 v3, 30, v9
	v_cndmask_b32_e32 v2, v4, v2, vcc
	v_lshlrev_b32_e32 v4, 16, v10
	v_cndmask_b32_e32 v3, v8, v3, vcc
	v_and_b32_e32 v4, 0x80000000, v4
	v_lshl_add_u32 v3, v3, 23, v4
	v_lshl_or_b32 v2, v2, 21, v3
	v_add_u32_e32 v3, 0x38000000, v2
                                        ; implicit-def: $vgpr4
.LBB2_397:                              ;   in Loop: Header=BB2_133 Depth=3
	s_andn2_saveexec_b64 s[30:31], s[30:31]
; %bb.398:                              ;   in Loop: Header=BB2_133 Depth=3
	v_cmp_lt_i16_e32 vcc, -1, v10
	v_cndmask_b32_e32 v2, v7, v0, vcc
	v_cmp_eq_u32_e32 vcc, 0, v4
	v_cndmask_b32_e32 v3, v35, v2, vcc
; %bb.399:                              ;   in Loop: Header=BB2_133 Depth=3
	s_or_b64 exec, exec, s[30:31]
.LBB2_400:                              ;   in Loop: Header=BB2_133 Depth=3
	s_or_b64 exec, exec, s[94:95]
.LBB2_401:                              ;   in Loop: Header=BB2_133 Depth=3
	s_or_b64 exec, exec, s[26:27]
	v_mul_f32_e32 v2, v30, v3
	v_and_b32_e32 v3, 0x7f800000, v2
	v_mov_b32_e32 v4, v29
	v_cmp_ne_u64_e32 vcc, s[76:77], v[3:4]
	v_and_b32_e32 v28, 0x7fffff, v2
                                        ; implicit-def: $vgpr3
                                        ; kill: killed $vgpr3
	s_and_saveexec_b64 s[26:27], vcc
	s_xor_b64 s[94:95], exec, s[26:27]
	s_cbranch_execz .LBB2_415
; %bb.402:                              ;   in Loop: Header=BB2_133 Depth=3
	v_and_b32_e32 v3, 0x7fffffff, v2
	v_mov_b32_e32 v4, v29
	v_cmp_gt_u64_e32 vcc, s[78:79], v[3:4]
	v_and_b32_sdwa v8, v2, s96 dst_sel:DWORD dst_unused:UNUSED_PAD src0_sel:BYTE_3 src1_sel:DWORD
                                        ; implicit-def: $vgpr3
                                        ; kill: killed $vgpr3
	s_and_saveexec_b64 s[26:27], vcc
	s_xor_b64 s[30:31], exec, s[26:27]
	s_cbranch_execz .LBB2_412
; %bb.403:                              ;   in Loop: Header=BB2_133 Depth=3
	v_mov_b32_e32 v3, 0
	v_cmp_ne_u32_e32 vcc, 0, v2
	buffer_store_dword v3, off, s[0:3], s33 offset:196 ; 4-byte Folded Spill
	s_and_saveexec_b64 s[34:35], vcc
	s_cbranch_execz .LBB2_411
; %bb.404:                              ;   in Loop: Header=BB2_133 Depth=3
	v_bfe_u32 v9, v2, 23, 8
	v_cmp_gt_u32_e64 s[26:27], s46, v9
	v_sub_u32_e32 v2, 0x71, v9
	v_cmp_eq_u32_e32 vcc, 0, v9
	v_cndmask_b32_e64 v2, 0, v2, s[26:27]
	v_mov_b32_e32 v4, 0x70
	v_cndmask_b32_e32 v14, v2, v4, vcc
	v_add_u32_e32 v4, 21, v14
	v_or_b32_e32 v3, 0x800000, v28
	v_lshlrev_b64 v[16:17], v4, -1
	v_cndmask_b32_e32 v2, v3, v28, vcc
	v_mov_b32_e32 v3, v29
	v_add_u32_e32 v4, 20, v14
	v_bfi_b32 v16, v16, 0, v2
	v_lshlrev_b64 v[18:19], v4, 1
	v_lshrrev_b64 v[2:3], v14, v[2:3]
	v_bfi_b32 v17, v17, 0, 0
	v_cmp_eq_u64_e64 s[26:27], v[16:17], v[18:19]
	v_mov_b32_e32 v4, v3
	v_mov_b32_e32 v3, v2
	s_and_saveexec_b64 s[36:37], s[26:27]
; %bb.405:                              ;   in Loop: Header=BB2_133 Depth=3
	v_bfe_u32 v3, v2, 21, 1
	v_add_co_u32_e64 v3, s[26:27], v2, v3
	v_add_co_u32_e64 v3, s[26:27], -1, v3
; %bb.406:                              ;   in Loop: Header=BB2_133 Depth=3
	s_or_b64 exec, exec, s[36:37]
	v_add_u32_e32 v4, 0xffffff81, v9
	v_cndmask_b32_e32 v4, v4, v1, vcc
	v_lshrrev_b32_e32 v9, 23, v2
	v_add3_u32 v14, v14, v4, v9
	v_add_u32_e32 v9, 14, v14
	v_and_b32_e32 v3, 0x1fffff, v3
	v_add_u32_e32 v28, v3, v2
	v_cmp_ne_u32_e32 vcc, 0, v9
                                        ; implicit-def: $vgpr2_vgpr3
                                        ; implicit-def: $vgpr4
	s_and_saveexec_b64 s[26:27], vcc
	s_xor_b64 s[26:27], exec, s[26:27]
; %bb.407:                              ;   in Loop: Header=BB2_133 Depth=3
	v_cmp_lt_u64_e32 vcc, s[88:89], v[28:29]
	v_add_u32_e32 v2, 15, v14
	v_cndmask_b32_e32 v4, v9, v2, vcc
	v_cndmask_b32_e64 v2, 0, 1, vcc
	v_lshrrev_b64 v[2:3], v2, v[28:29]
; %bb.408:                              ;   in Loop: Header=BB2_133 Depth=3
	s_andn2_saveexec_b64 s[26:27], s[26:27]
; %bb.409:                              ;   in Loop: Header=BB2_133 Depth=3
	v_mov_b32_e32 v2, v28
	v_mov_b32_e32 v3, v29
	v_bfe_u32 v4, v28, 23, 1
; %bb.410:                              ;   in Loop: Header=BB2_133 Depth=3
	s_or_b64 exec, exec, s[26:27]
	v_lshrrev_b64 v[2:3], 21, v[2:3]
	v_cmp_gt_i32_e32 vcc, 32, v4
	v_cndmask_b32_e32 v3, 0, v3, vcc
	v_cndmask_b32_e32 v2, 3, v2, vcc
	v_cmp_eq_u64_e64 s[26:27], 0, v[2:3]
	v_min_i32_e32 v3, 31, v4
	v_lshlrev_b32_e32 v3, 2, v3
	v_cmp_eq_u32_e32 vcc, 0, v4
	v_and_b32_e32 v3, 0xfc, v3
	v_and_or_b32 v2, v2, 3, v3
	s_and_b64 s[26:27], vcc, s[26:27]
	v_cndmask_b32_e64 v2, v2, 0, s[26:27]
	v_or_b32_e32 v2, v2, v8
	buffer_store_dword v2, off, s[0:3], s33 offset:196 ; 4-byte Folded Spill
.LBB2_411:                              ;   in Loop: Header=BB2_133 Depth=3
	s_or_b64 exec, exec, s[34:35]
                                        ; implicit-def: $vgpr8
.LBB2_412:                              ;   in Loop: Header=BB2_133 Depth=3
	s_andn2_saveexec_b64 s[26:27], s[30:31]
	s_cbranch_execz .LBB2_414
; %bb.413:                              ;   in Loop: Header=BB2_133 Depth=3
	v_or_b32_e32 v2, 0x7b, v8
	buffer_store_dword v2, off, s[0:3], s33 offset:196 ; 4-byte Folded Spill
.LBB2_414:                              ;   in Loop: Header=BB2_133 Depth=3
	s_or_b64 exec, exec, s[26:27]
                                        ; implicit-def: $vgpr2
.LBB2_415:                              ;   in Loop: Header=BB2_133 Depth=3
	s_andn2_saveexec_b64 s[26:27], s[94:95]
	s_cbranch_execz .LBB2_421
; %bb.416:                              ;   in Loop: Header=BB2_133 Depth=3
	v_cmp_ne_u64_e32 vcc, 0, v[28:29]
                                        ; implicit-def: $vgpr3
                                        ; kill: killed $vgpr3
	s_and_saveexec_b64 s[94:95], vcc
	s_xor_b64 s[94:95], exec, s[94:95]
	s_cbranch_execz .LBB2_418
; %bb.417:                              ;   in Loop: Header=BB2_133 Depth=3
	v_or_b32_sdwa v2, v2, s47 dst_sel:DWORD dst_unused:UNUSED_PAD src0_sel:BYTE_3 src1_sel:DWORD
	buffer_store_dword v2, off, s[0:3], s33 offset:196 ; 4-byte Folded Spill
                                        ; implicit-def: $vgpr2
.LBB2_418:                              ;   in Loop: Header=BB2_133 Depth=3
	s_andn2_saveexec_b64 s[94:95], s[94:95]
	s_cbranch_execz .LBB2_420
; %bb.419:                              ;   in Loop: Header=BB2_133 Depth=3
	v_cmp_lt_i32_e32 vcc, -1, v2
	v_cndmask_b32_e32 v2, v6, v22, vcc
	buffer_store_dword v2, off, s[0:3], s33 offset:196 ; 4-byte Folded Spill
.LBB2_420:                              ;   in Loop: Header=BB2_133 Depth=3
	s_or_b64 exec, exec, s[94:95]
.LBB2_421:                              ;   in Loop: Header=BB2_133 Depth=3
	s_or_b64 exec, exec, s[26:27]
	v_lshrrev_b32_e32 v2, 16, v10
	v_cmp_ne_u16_sdwa s[94:95], v2, v29 src0_sel:BYTE_0 src1_sel:DWORD
	v_mov_b32_e32 v3, 0
	s_and_saveexec_b64 s[26:27], s[94:95]
	s_cbranch_execz .LBB2_429
; %bb.422:                              ;   in Loop: Header=BB2_133 Depth=3
	v_cmp_ne_u16_sdwa vcc, v2, s96 src0_sel:BYTE_0 src1_sel:DWORD
	v_bfrev_b32_e32 v3, 1
	s_and_saveexec_b64 s[94:95], vcc
	s_cbranch_execz .LBB2_428
; %bb.423:                              ;   in Loop: Header=BB2_133 Depth=3
	v_and_b32_e32 v3, 0x7c0000, v10
	v_bfe_u32 v4, v10, 16, 2
	v_cmp_ne_u32_e32 vcc, s44, v3
                                        ; implicit-def: $vgpr3
	s_and_saveexec_b64 s[30:31], vcc
	s_xor_b64 s[30:31], exec, s[30:31]
	s_cbranch_execz .LBB2_425
; %bb.424:                              ;   in Loop: Header=BB2_133 Depth=3
	v_ffbh_u32_e32 v3, v4
	v_min_u32_e32 v9, 32, v3
	v_subrev_u32_e32 v3, 29, v9
	v_lshlrev_b64 v[2:3], v3, v[2:3]
	v_bfe_u32 v8, v10, 18, 5
	v_and_b32_e32 v2, 3, v2
	v_cmp_eq_u32_e32 vcc, 0, v8
	v_sub_u32_e32 v3, 30, v9
	v_cndmask_b32_e32 v2, v4, v2, vcc
	v_lshlrev_b32_e32 v4, 8, v10
	v_cndmask_b32_e32 v3, v8, v3, vcc
	v_and_b32_e32 v4, 0x80000000, v4
	v_lshl_add_u32 v3, v3, 23, v4
	v_lshl_or_b32 v2, v2, 21, v3
	v_add_u32_e32 v3, 0x38000000, v2
                                        ; implicit-def: $vgpr4
                                        ; implicit-def: $vgpr2
.LBB2_425:                              ;   in Loop: Header=BB2_133 Depth=3
	s_andn2_saveexec_b64 s[30:31], s[30:31]
; %bb.426:                              ;   in Loop: Header=BB2_133 Depth=3
	v_cmp_gt_i16_sdwa vcc, sext(v2), v48 src0_sel:BYTE_0 src1_sel:DWORD
	v_cndmask_b32_e32 v2, v7, v0, vcc
	v_cmp_eq_u32_e32 vcc, 0, v4
	v_cndmask_b32_e32 v3, v35, v2, vcc
; %bb.427:                              ;   in Loop: Header=BB2_133 Depth=3
	s_or_b64 exec, exec, s[30:31]
.LBB2_428:                              ;   in Loop: Header=BB2_133 Depth=3
	s_or_b64 exec, exec, s[94:95]
.LBB2_429:                              ;   in Loop: Header=BB2_133 Depth=3
	s_or_b64 exec, exec, s[26:27]
	v_mul_f32_e32 v2, v30, v3
	v_and_b32_e32 v3, 0x7f800000, v2
	v_mov_b32_e32 v4, v29
	v_cmp_ne_u64_e32 vcc, s[76:77], v[3:4]
	v_and_b32_e32 v28, 0x7fffff, v2
                                        ; implicit-def: $vgpr3
                                        ; kill: killed $vgpr3
	s_and_saveexec_b64 s[26:27], vcc
	s_xor_b64 s[94:95], exec, s[26:27]
	s_cbranch_execz .LBB2_443
; %bb.430:                              ;   in Loop: Header=BB2_133 Depth=3
	v_and_b32_e32 v3, 0x7fffffff, v2
	v_mov_b32_e32 v4, v29
	v_cmp_gt_u64_e32 vcc, s[78:79], v[3:4]
	v_and_b32_sdwa v8, v2, s96 dst_sel:DWORD dst_unused:UNUSED_PAD src0_sel:BYTE_3 src1_sel:DWORD
                                        ; implicit-def: $vgpr3
                                        ; kill: killed $vgpr3
	s_and_saveexec_b64 s[26:27], vcc
	s_xor_b64 s[30:31], exec, s[26:27]
	s_cbranch_execz .LBB2_440
; %bb.431:                              ;   in Loop: Header=BB2_133 Depth=3
	v_mov_b32_e32 v3, 0
	v_cmp_ne_u32_e32 vcc, 0, v2
	buffer_store_dword v3, off, s[0:3], s33 offset:204 ; 4-byte Folded Spill
	s_and_saveexec_b64 s[34:35], vcc
	s_cbranch_execz .LBB2_439
; %bb.432:                              ;   in Loop: Header=BB2_133 Depth=3
	v_bfe_u32 v9, v2, 23, 8
	v_cmp_gt_u32_e64 s[26:27], s46, v9
	v_sub_u32_e32 v2, 0x71, v9
	v_cmp_eq_u32_e32 vcc, 0, v9
	v_cndmask_b32_e64 v2, 0, v2, s[26:27]
	v_mov_b32_e32 v4, 0x70
	v_cndmask_b32_e32 v14, v2, v4, vcc
	v_add_u32_e32 v4, 21, v14
	v_or_b32_e32 v3, 0x800000, v28
	v_lshlrev_b64 v[16:17], v4, -1
	v_cndmask_b32_e32 v2, v3, v28, vcc
	v_mov_b32_e32 v3, v29
	v_add_u32_e32 v4, 20, v14
	v_bfi_b32 v16, v16, 0, v2
	v_lshlrev_b64 v[18:19], v4, 1
	v_lshrrev_b64 v[2:3], v14, v[2:3]
	v_bfi_b32 v17, v17, 0, 0
	v_cmp_eq_u64_e64 s[26:27], v[16:17], v[18:19]
	v_mov_b32_e32 v4, v3
	v_mov_b32_e32 v3, v2
	s_and_saveexec_b64 s[36:37], s[26:27]
; %bb.433:                              ;   in Loop: Header=BB2_133 Depth=3
	v_bfe_u32 v3, v2, 21, 1
	v_add_co_u32_e64 v3, s[26:27], v2, v3
	v_add_co_u32_e64 v3, s[26:27], -1, v3
; %bb.434:                              ;   in Loop: Header=BB2_133 Depth=3
	s_or_b64 exec, exec, s[36:37]
	v_add_u32_e32 v4, 0xffffff81, v9
	v_cndmask_b32_e32 v4, v4, v1, vcc
	v_lshrrev_b32_e32 v9, 23, v2
	v_add3_u32 v14, v14, v4, v9
	v_add_u32_e32 v9, 14, v14
	v_and_b32_e32 v3, 0x1fffff, v3
	v_add_u32_e32 v28, v3, v2
	v_cmp_ne_u32_e32 vcc, 0, v9
                                        ; implicit-def: $vgpr2_vgpr3
                                        ; implicit-def: $vgpr4
	s_and_saveexec_b64 s[26:27], vcc
	s_xor_b64 s[26:27], exec, s[26:27]
; %bb.435:                              ;   in Loop: Header=BB2_133 Depth=3
	v_cmp_lt_u64_e32 vcc, s[88:89], v[28:29]
	v_add_u32_e32 v2, 15, v14
	v_cndmask_b32_e32 v4, v9, v2, vcc
	v_cndmask_b32_e64 v2, 0, 1, vcc
	v_lshrrev_b64 v[2:3], v2, v[28:29]
; %bb.436:                              ;   in Loop: Header=BB2_133 Depth=3
	s_andn2_saveexec_b64 s[26:27], s[26:27]
; %bb.437:                              ;   in Loop: Header=BB2_133 Depth=3
	v_mov_b32_e32 v2, v28
	v_mov_b32_e32 v3, v29
	v_bfe_u32 v4, v28, 23, 1
; %bb.438:                              ;   in Loop: Header=BB2_133 Depth=3
	s_or_b64 exec, exec, s[26:27]
	v_lshrrev_b64 v[2:3], 21, v[2:3]
	v_cmp_gt_i32_e32 vcc, 32, v4
	v_cndmask_b32_e32 v3, 0, v3, vcc
	v_cndmask_b32_e32 v2, 3, v2, vcc
	v_cmp_eq_u64_e64 s[26:27], 0, v[2:3]
	v_min_i32_e32 v3, 31, v4
	v_lshlrev_b32_e32 v3, 2, v3
	v_cmp_eq_u32_e32 vcc, 0, v4
	v_and_b32_e32 v3, 0xfc, v3
	v_and_or_b32 v2, v2, 3, v3
	s_and_b64 s[26:27], vcc, s[26:27]
	v_cndmask_b32_e64 v2, v2, 0, s[26:27]
	v_or_b32_e32 v2, v2, v8
	buffer_store_dword v2, off, s[0:3], s33 offset:204 ; 4-byte Folded Spill
.LBB2_439:                              ;   in Loop: Header=BB2_133 Depth=3
	s_or_b64 exec, exec, s[34:35]
                                        ; implicit-def: $vgpr8
.LBB2_440:                              ;   in Loop: Header=BB2_133 Depth=3
	s_andn2_saveexec_b64 s[26:27], s[30:31]
	s_cbranch_execz .LBB2_442
; %bb.441:                              ;   in Loop: Header=BB2_133 Depth=3
	v_or_b32_e32 v2, 0x7b, v8
	buffer_store_dword v2, off, s[0:3], s33 offset:204 ; 4-byte Folded Spill
.LBB2_442:                              ;   in Loop: Header=BB2_133 Depth=3
	s_or_b64 exec, exec, s[26:27]
                                        ; implicit-def: $vgpr2
.LBB2_443:                              ;   in Loop: Header=BB2_133 Depth=3
	s_andn2_saveexec_b64 s[26:27], s[94:95]
	s_cbranch_execz .LBB2_449
; %bb.444:                              ;   in Loop: Header=BB2_133 Depth=3
	v_cmp_ne_u64_e32 vcc, 0, v[28:29]
                                        ; implicit-def: $vgpr3
                                        ; kill: killed $vgpr3
	s_and_saveexec_b64 s[94:95], vcc
	s_xor_b64 s[94:95], exec, s[94:95]
	s_cbranch_execz .LBB2_446
; %bb.445:                              ;   in Loop: Header=BB2_133 Depth=3
	v_or_b32_sdwa v2, v2, s47 dst_sel:DWORD dst_unused:UNUSED_PAD src0_sel:BYTE_3 src1_sel:DWORD
	buffer_store_dword v2, off, s[0:3], s33 offset:204 ; 4-byte Folded Spill
                                        ; implicit-def: $vgpr2
.LBB2_446:                              ;   in Loop: Header=BB2_133 Depth=3
	s_andn2_saveexec_b64 s[94:95], s[94:95]
	s_cbranch_execz .LBB2_448
; %bb.447:                              ;   in Loop: Header=BB2_133 Depth=3
	v_cmp_lt_i32_e32 vcc, -1, v2
	v_cndmask_b32_e32 v2, v6, v22, vcc
	buffer_store_dword v2, off, s[0:3], s33 offset:204 ; 4-byte Folded Spill
.LBB2_448:                              ;   in Loop: Header=BB2_133 Depth=3
	s_or_b64 exec, exec, s[94:95]
.LBB2_449:                              ;   in Loop: Header=BB2_133 Depth=3
	s_or_b64 exec, exec, s[26:27]
	v_cmp_lt_u32_e32 vcc, s57, v10
	v_mov_b32_e32 v3, 0
	s_and_saveexec_b64 s[26:27], vcc
	s_cbranch_execz .LBB2_457
; %bb.450:                              ;   in Loop: Header=BB2_133 Depth=3
	v_lshrrev_b32_e32 v2, 24, v10
	v_cmp_ne_u32_e32 vcc, s96, v2
	v_bfrev_b32_e32 v3, 1
	s_and_saveexec_b64 s[94:95], vcc
	s_cbranch_execz .LBB2_456
; %bb.451:                              ;   in Loop: Header=BB2_133 Depth=3
	v_and_b32_e32 v3, 0x7c000000, v10
	v_bfe_u32 v4, v10, 24, 2
	v_cmp_ne_u32_e32 vcc, s45, v3
                                        ; implicit-def: $vgpr3
	s_and_saveexec_b64 s[30:31], vcc
	s_xor_b64 s[30:31], exec, s[30:31]
	s_cbranch_execz .LBB2_453
; %bb.452:                              ;   in Loop: Header=BB2_133 Depth=3
	v_ffbh_u32_e32 v3, v4
	v_min_u32_e32 v9, 32, v3
	v_subrev_u32_e32 v3, 29, v9
	v_lshlrev_b64 v[2:3], v3, v[2:3]
	v_bfe_u32 v8, v10, 26, 5
	v_sub_u32_e32 v3, 30, v9
	v_and_b32_e32 v2, 3, v2
	v_cmp_eq_u32_e32 vcc, 0, v8
	v_cndmask_b32_e32 v3, v8, v3, vcc
	v_cndmask_b32_e32 v2, v4, v2, vcc
	v_and_b32_e32 v4, 0x80000000, v10
	v_lshl_add_u32 v3, v3, 23, v4
	v_lshl_or_b32 v2, v2, 21, v3
	v_add_u32_e32 v3, 0x38000000, v2
                                        ; implicit-def: $vgpr4
.LBB2_453:                              ;   in Loop: Header=BB2_133 Depth=3
	s_andn2_saveexec_b64 s[30:31], s[30:31]
; %bb.454:                              ;   in Loop: Header=BB2_133 Depth=3
	v_cmp_lt_i32_e32 vcc, -1, v10
	v_cndmask_b32_e32 v2, v7, v0, vcc
	v_cmp_eq_u32_e32 vcc, 0, v4
	v_cndmask_b32_e32 v3, v35, v2, vcc
; %bb.455:                              ;   in Loop: Header=BB2_133 Depth=3
	s_or_b64 exec, exec, s[30:31]
.LBB2_456:                              ;   in Loop: Header=BB2_133 Depth=3
	s_or_b64 exec, exec, s[94:95]
.LBB2_457:                              ;   in Loop: Header=BB2_133 Depth=3
	s_or_b64 exec, exec, s[26:27]
	v_mul_f32_e32 v2, v30, v3
	v_and_b32_e32 v3, 0x7f800000, v2
	v_mov_b32_e32 v4, v29
	v_cmp_ne_u64_e32 vcc, s[76:77], v[3:4]
	v_and_b32_e32 v28, 0x7fffff, v2
                                        ; implicit-def: $vgpr60
	s_and_saveexec_b64 s[26:27], vcc
	s_xor_b64 s[94:95], exec, s[26:27]
	s_cbranch_execz .LBB2_471
; %bb.458:                              ;   in Loop: Header=BB2_133 Depth=3
	v_and_b32_e32 v3, 0x7fffffff, v2
	v_mov_b32_e32 v4, v29
	v_cmp_gt_u64_e32 vcc, s[78:79], v[3:4]
	v_and_b32_sdwa v8, v2, s96 dst_sel:DWORD dst_unused:UNUSED_PAD src0_sel:BYTE_3 src1_sel:DWORD
                                        ; implicit-def: $vgpr60
	s_and_saveexec_b64 s[26:27], vcc
	s_xor_b64 s[30:31], exec, s[26:27]
	s_cbranch_execz .LBB2_468
; %bb.459:                              ;   in Loop: Header=BB2_133 Depth=3
	v_mov_b32_e32 v60, 0
	v_cmp_ne_u32_e32 vcc, 0, v2
	s_and_saveexec_b64 s[34:35], vcc
	s_cbranch_execz .LBB2_467
; %bb.460:                              ;   in Loop: Header=BB2_133 Depth=3
	v_bfe_u32 v9, v2, 23, 8
	v_cmp_gt_u32_e64 s[26:27], s46, v9
	v_sub_u32_e32 v2, 0x71, v9
	v_cmp_eq_u32_e32 vcc, 0, v9
	v_cndmask_b32_e64 v2, 0, v2, s[26:27]
	v_mov_b32_e32 v4, 0x70
	v_cndmask_b32_e32 v14, v2, v4, vcc
	v_add_u32_e32 v4, 21, v14
	v_or_b32_e32 v3, 0x800000, v28
	v_lshlrev_b64 v[16:17], v4, -1
	v_cndmask_b32_e32 v2, v3, v28, vcc
	v_mov_b32_e32 v3, v29
	v_add_u32_e32 v4, 20, v14
	v_bfi_b32 v16, v16, 0, v2
	v_lshlrev_b64 v[18:19], v4, 1
	v_lshrrev_b64 v[2:3], v14, v[2:3]
	v_bfi_b32 v17, v17, 0, 0
	v_cmp_eq_u64_e64 s[26:27], v[16:17], v[18:19]
	v_mov_b32_e32 v4, v3
	v_mov_b32_e32 v3, v2
	s_and_saveexec_b64 s[36:37], s[26:27]
; %bb.461:                              ;   in Loop: Header=BB2_133 Depth=3
	v_bfe_u32 v3, v2, 21, 1
	v_add_co_u32_e64 v3, s[26:27], v2, v3
	v_add_co_u32_e64 v3, s[26:27], -1, v3
; %bb.462:                              ;   in Loop: Header=BB2_133 Depth=3
	s_or_b64 exec, exec, s[36:37]
	v_add_u32_e32 v4, 0xffffff81, v9
	v_cndmask_b32_e32 v4, v4, v1, vcc
	v_lshrrev_b32_e32 v9, 23, v2
	v_add3_u32 v14, v14, v4, v9
	v_add_u32_e32 v9, 14, v14
	v_and_b32_e32 v3, 0x1fffff, v3
	v_add_u32_e32 v28, v3, v2
	v_cmp_ne_u32_e32 vcc, 0, v9
                                        ; implicit-def: $vgpr2_vgpr3
                                        ; implicit-def: $vgpr4
	s_and_saveexec_b64 s[26:27], vcc
	s_xor_b64 s[26:27], exec, s[26:27]
; %bb.463:                              ;   in Loop: Header=BB2_133 Depth=3
	v_cmp_lt_u64_e32 vcc, s[88:89], v[28:29]
	v_add_u32_e32 v2, 15, v14
	v_cndmask_b32_e32 v4, v9, v2, vcc
	v_cndmask_b32_e64 v2, 0, 1, vcc
	v_lshrrev_b64 v[2:3], v2, v[28:29]
; %bb.464:                              ;   in Loop: Header=BB2_133 Depth=3
	s_andn2_saveexec_b64 s[26:27], s[26:27]
; %bb.465:                              ;   in Loop: Header=BB2_133 Depth=3
	v_mov_b32_e32 v2, v28
	v_mov_b32_e32 v3, v29
	v_bfe_u32 v4, v28, 23, 1
; %bb.466:                              ;   in Loop: Header=BB2_133 Depth=3
	s_or_b64 exec, exec, s[26:27]
	v_lshrrev_b64 v[2:3], 21, v[2:3]
	v_cmp_gt_i32_e32 vcc, 32, v4
	v_cndmask_b32_e32 v3, 0, v3, vcc
	v_cndmask_b32_e32 v2, 3, v2, vcc
	v_cmp_eq_u64_e64 s[26:27], 0, v[2:3]
	v_min_i32_e32 v3, 31, v4
	v_lshlrev_b32_e32 v3, 2, v3
	v_cmp_eq_u32_e32 vcc, 0, v4
	v_and_b32_e32 v3, 0xfc, v3
	v_and_or_b32 v2, v2, 3, v3
	s_and_b64 s[26:27], vcc, s[26:27]
	v_cndmask_b32_e64 v2, v2, 0, s[26:27]
	v_or_b32_e32 v60, v2, v8
.LBB2_467:                              ;   in Loop: Header=BB2_133 Depth=3
	s_or_b64 exec, exec, s[34:35]
                                        ; implicit-def: $vgpr8
.LBB2_468:                              ;   in Loop: Header=BB2_133 Depth=3
	s_andn2_saveexec_b64 s[26:27], s[30:31]
; %bb.469:                              ;   in Loop: Header=BB2_133 Depth=3
	v_or_b32_e32 v60, 0x7b, v8
; %bb.470:                              ;   in Loop: Header=BB2_133 Depth=3
	s_or_b64 exec, exec, s[26:27]
                                        ; implicit-def: $vgpr2
.LBB2_471:                              ;   in Loop: Header=BB2_133 Depth=3
	s_andn2_saveexec_b64 s[26:27], s[94:95]
	s_cbranch_execz .LBB2_477
; %bb.472:                              ;   in Loop: Header=BB2_133 Depth=3
	v_cmp_ne_u64_e32 vcc, 0, v[28:29]
                                        ; implicit-def: $vgpr60
	s_and_saveexec_b64 s[94:95], vcc
	s_xor_b64 s[94:95], exec, s[94:95]
; %bb.473:                              ;   in Loop: Header=BB2_133 Depth=3
	v_or_b32_sdwa v60, v2, s47 dst_sel:DWORD dst_unused:UNUSED_PAD src0_sel:BYTE_3 src1_sel:DWORD
                                        ; implicit-def: $vgpr2
; %bb.474:                              ;   in Loop: Header=BB2_133 Depth=3
	s_andn2_saveexec_b64 s[94:95], s[94:95]
; %bb.475:                              ;   in Loop: Header=BB2_133 Depth=3
	v_cmp_lt_i32_e32 vcc, -1, v2
	v_cndmask_b32_e32 v60, v6, v22, vcc
; %bb.476:                              ;   in Loop: Header=BB2_133 Depth=3
	s_or_b64 exec, exec, s[94:95]
.LBB2_477:                              ;   in Loop: Header=BB2_133 Depth=3
	s_or_b64 exec, exec, s[26:27]
	v_mov_b32_e32 v28, v11
	v_cmp_ne_u16_sdwa s[94:95], v11, v29 src0_sel:BYTE_0 src1_sel:DWORD
	v_mov_b32_e32 v2, 0
	s_and_saveexec_b64 s[26:27], s[94:95]
	s_cbranch_execz .LBB2_485
; %bb.478:                              ;   in Loop: Header=BB2_133 Depth=3
	v_cmp_ne_u16_sdwa vcc, v11, s96 src0_sel:BYTE_0 src1_sel:DWORD
	v_bfrev_b32_e32 v2, 1
	s_and_saveexec_b64 s[94:95], vcc
	s_cbranch_execz .LBB2_484
; %bb.479:                              ;   in Loop: Header=BB2_133 Depth=3
	v_and_b32_e32 v2, 0x7c, v11
	v_and_b32_e32 v3, 3, v11
	v_cmp_ne_u32_e32 vcc, s85, v2
                                        ; implicit-def: $vgpr2
	s_and_saveexec_b64 s[30:31], vcc
	s_xor_b64 s[30:31], exec, s[30:31]
	s_cbranch_execz .LBB2_481
; %bb.480:                              ;   in Loop: Header=BB2_133 Depth=3
	v_ffbh_u32_e32 v4, v3
	v_min_u32_e32 v4, 32, v4
	v_bfe_u32 v2, v11, 2, 5
	v_subrev_u32_e32 v8, 29, v4
	v_lshlrev_b64 v[8:9], v8, v[28:29]
	v_sub_u32_e32 v4, 30, v4
	v_cmp_eq_u32_e32 vcc, 0, v2
	v_cndmask_b32_e32 v2, v2, v4, vcc
	v_lshlrev_b32_e32 v4, 24, v11
	v_and_b32_e32 v8, 3, v8
	v_and_b32_e32 v4, 0x80000000, v4
	v_cndmask_b32_e32 v3, v3, v8, vcc
	v_lshl_add_u32 v2, v2, 23, v4
	v_lshl_or_b32 v2, v3, 21, v2
	v_add_u32_e32 v2, 0x38000000, v2
                                        ; implicit-def: $vgpr3
.LBB2_481:                              ;   in Loop: Header=BB2_133 Depth=3
	s_andn2_saveexec_b64 s[30:31], s[30:31]
; %bb.482:                              ;   in Loop: Header=BB2_133 Depth=3
	v_cmp_gt_i16_sdwa vcc, sext(v11), v48 src0_sel:BYTE_0 src1_sel:DWORD
	v_cndmask_b32_e32 v2, v7, v0, vcc
	v_cmp_eq_u32_e32 vcc, 0, v3
	v_cndmask_b32_e32 v2, v35, v2, vcc
; %bb.483:                              ;   in Loop: Header=BB2_133 Depth=3
	s_or_b64 exec, exec, s[30:31]
.LBB2_484:                              ;   in Loop: Header=BB2_133 Depth=3
	s_or_b64 exec, exec, s[94:95]
.LBB2_485:                              ;   in Loop: Header=BB2_133 Depth=3
	s_or_b64 exec, exec, s[26:27]
	v_mul_f32_e32 v4, v30, v2
	v_and_b32_e32 v8, 0x7f800000, v4
	v_mov_b32_e32 v9, v29
	v_cmp_ne_u64_e32 vcc, s[76:77], v[8:9]
	v_and_b32_e32 v2, 0x7fffff, v4
	v_mov_b32_e32 v3, v29
                                        ; implicit-def: $vgpr23
	s_and_saveexec_b64 s[26:27], vcc
	s_xor_b64 s[94:95], exec, s[26:27]
	s_cbranch_execz .LBB2_499
; %bb.486:                              ;   in Loop: Header=BB2_133 Depth=3
	v_and_b32_e32 v8, 0x7fffffff, v4
	v_mov_b32_e32 v9, v29
	v_cmp_gt_u64_e32 vcc, s[78:79], v[8:9]
	v_and_b32_sdwa v8, v4, s96 dst_sel:DWORD dst_unused:UNUSED_PAD src0_sel:BYTE_3 src1_sel:DWORD
                                        ; implicit-def: $vgpr23
	s_and_saveexec_b64 s[26:27], vcc
	s_xor_b64 s[30:31], exec, s[26:27]
	s_cbranch_execz .LBB2_496
; %bb.487:                              ;   in Loop: Header=BB2_133 Depth=3
	v_mov_b32_e32 v23, 0
	v_cmp_ne_u32_e32 vcc, 0, v4
	s_and_saveexec_b64 s[34:35], vcc
	s_cbranch_execz .LBB2_495
; %bb.488:                              ;   in Loop: Header=BB2_133 Depth=3
	v_bfe_u32 v9, v4, 23, 8
	v_cmp_gt_u32_e64 s[26:27], s46, v9
	v_sub_u32_e32 v4, 0x71, v9
	v_cmp_eq_u32_e32 vcc, 0, v9
	v_cndmask_b32_e64 v4, 0, v4, s[26:27]
	v_mov_b32_e32 v14, 0x70
	v_cndmask_b32_e32 v14, v4, v14, vcc
	v_or_b32_e32 v16, 0x800000, v2
	v_add_u32_e32 v4, 21, v14
	v_cndmask_b32_e32 v2, v16, v2, vcc
	v_lshlrev_b64 v[16:17], v4, -1
	v_add_u32_e32 v4, 20, v14
	v_bfi_b32 v16, v16, 0, v2
	v_lshlrev_b64 v[18:19], v4, 1
	v_lshrrev_b64 v[2:3], v14, v[2:3]
	v_bfi_b32 v17, v17, 0, 0
	v_cmp_eq_u64_e64 s[26:27], v[16:17], v[18:19]
	v_mov_b32_e32 v4, v3
	v_mov_b32_e32 v3, v2
	s_and_saveexec_b64 s[36:37], s[26:27]
; %bb.489:                              ;   in Loop: Header=BB2_133 Depth=3
	v_bfe_u32 v3, v2, 21, 1
	v_add_co_u32_e64 v3, s[26:27], v2, v3
	v_add_co_u32_e64 v3, s[26:27], -1, v3
; %bb.490:                              ;   in Loop: Header=BB2_133 Depth=3
	s_or_b64 exec, exec, s[36:37]
	v_add_u32_e32 v4, 0xffffff81, v9
	v_cndmask_b32_e32 v4, v4, v1, vcc
	v_lshrrev_b32_e32 v9, 23, v2
	v_add3_u32 v14, v14, v4, v9
	v_add_u32_e32 v9, 14, v14
	v_and_b32_e32 v3, 0x1fffff, v3
	v_add_u32_e32 v2, v3, v2
	v_mov_b32_e32 v3, v29
	v_cmp_ne_u32_e32 vcc, 0, v9
                                        ; implicit-def: $vgpr4
	s_and_saveexec_b64 s[26:27], vcc
	s_xor_b64 s[26:27], exec, s[26:27]
; %bb.491:                              ;   in Loop: Header=BB2_133 Depth=3
	v_cmp_lt_u64_e32 vcc, s[88:89], v[2:3]
	v_add_u32_e32 v4, 15, v14
	v_cndmask_b32_e32 v4, v9, v4, vcc
	v_cndmask_b32_e64 v9, 0, 1, vcc
	v_lshrrev_b64 v[2:3], v9, v[2:3]
; %bb.492:                              ;   in Loop: Header=BB2_133 Depth=3
	s_andn2_saveexec_b64 s[26:27], s[26:27]
; %bb.493:                              ;   in Loop: Header=BB2_133 Depth=3
	v_bfe_u32 v4, v2, 23, 1
; %bb.494:                              ;   in Loop: Header=BB2_133 Depth=3
	s_or_b64 exec, exec, s[26:27]
	v_lshrrev_b64 v[2:3], 21, v[2:3]
	v_cmp_gt_i32_e32 vcc, 32, v4
	v_cndmask_b32_e32 v3, 0, v3, vcc
	v_cndmask_b32_e32 v2, 3, v2, vcc
	v_cmp_eq_u64_e64 s[26:27], 0, v[2:3]
	v_min_i32_e32 v3, 31, v4
	v_lshlrev_b32_e32 v3, 2, v3
	v_cmp_eq_u32_e32 vcc, 0, v4
	v_and_b32_e32 v3, 0xfc, v3
	v_and_or_b32 v2, v2, 3, v3
	s_and_b64 s[26:27], vcc, s[26:27]
	v_cndmask_b32_e64 v2, v2, 0, s[26:27]
	v_or_b32_e32 v23, v2, v8
.LBB2_495:                              ;   in Loop: Header=BB2_133 Depth=3
	s_or_b64 exec, exec, s[34:35]
                                        ; implicit-def: $vgpr8
.LBB2_496:                              ;   in Loop: Header=BB2_133 Depth=3
	s_andn2_saveexec_b64 s[26:27], s[30:31]
; %bb.497:                              ;   in Loop: Header=BB2_133 Depth=3
	v_or_b32_e32 v23, 0x7b, v8
; %bb.498:                              ;   in Loop: Header=BB2_133 Depth=3
	s_or_b64 exec, exec, s[26:27]
                                        ; implicit-def: $vgpr4
                                        ; implicit-def: $vgpr2_vgpr3
.LBB2_499:                              ;   in Loop: Header=BB2_133 Depth=3
	s_andn2_saveexec_b64 s[26:27], s[94:95]
	s_cbranch_execz .LBB2_505
; %bb.500:                              ;   in Loop: Header=BB2_133 Depth=3
	v_cmp_ne_u64_e32 vcc, 0, v[2:3]
                                        ; implicit-def: $vgpr23
	s_and_saveexec_b64 s[94:95], vcc
	s_xor_b64 s[94:95], exec, s[94:95]
; %bb.501:                              ;   in Loop: Header=BB2_133 Depth=3
	v_or_b32_sdwa v23, v4, s47 dst_sel:DWORD dst_unused:UNUSED_PAD src0_sel:BYTE_3 src1_sel:DWORD
                                        ; implicit-def: $vgpr4
; %bb.502:                              ;   in Loop: Header=BB2_133 Depth=3
	s_andn2_saveexec_b64 s[94:95], s[94:95]
; %bb.503:                              ;   in Loop: Header=BB2_133 Depth=3
	v_cmp_lt_i32_e32 vcc, -1, v4
	v_cndmask_b32_e32 v23, v6, v22, vcc
; %bb.504:                              ;   in Loop: Header=BB2_133 Depth=3
	s_or_b64 exec, exec, s[94:95]
.LBB2_505:                              ;   in Loop: Header=BB2_133 Depth=3
	s_or_b64 exec, exec, s[26:27]
	v_lshrrev_b16_e32 v2, 8, v28
	v_cmp_ne_u16_e32 vcc, 0, v2
	v_mov_b32_e32 v3, 0
	s_and_saveexec_b64 s[26:27], vcc
	s_cbranch_execz .LBB2_513
; %bb.506:                              ;   in Loop: Header=BB2_133 Depth=3
	v_cmp_ne_u16_e32 vcc, s96, v2
	v_bfrev_b32_e32 v3, 1
	s_and_saveexec_b64 s[94:95], vcc
	s_cbranch_execz .LBB2_512
; %bb.507:                              ;   in Loop: Header=BB2_133 Depth=3
	v_and_b32_e32 v3, 0x7c, v2
	v_and_b32_e32 v4, 3, v2
	v_cmp_ne_u32_e32 vcc, s85, v3
                                        ; implicit-def: $vgpr3
	s_and_saveexec_b64 s[30:31], vcc
	s_xor_b64 s[30:31], exec, s[30:31]
	s_cbranch_execz .LBB2_509
; %bb.508:                              ;   in Loop: Header=BB2_133 Depth=3
	v_ffbh_u32_e32 v9, v4
	v_min_u32_e32 v9, 32, v9
	v_mov_b32_e32 v3, v29
	v_subrev_u32_e32 v14, 29, v9
	v_bfe_u32 v8, v2, 2, 5
	v_lshlrev_b64 v[2:3], v14, v[2:3]
	v_cmp_eq_u32_e32 vcc, 0, v8
	v_and_b32_e32 v2, 3, v2
	v_sub_u32_e32 v3, 30, v9
	v_cndmask_b32_e32 v2, v4, v2, vcc
	v_lshlrev_b32_e32 v4, 16, v28
	v_cndmask_b32_e32 v3, v8, v3, vcc
	v_and_b32_e32 v4, 0x80000000, v4
	v_lshl_add_u32 v3, v3, 23, v4
	v_lshl_or_b32 v2, v2, 21, v3
	v_add_u32_e32 v3, 0x38000000, v2
                                        ; implicit-def: $vgpr4
.LBB2_509:                              ;   in Loop: Header=BB2_133 Depth=3
	s_andn2_saveexec_b64 s[30:31], s[30:31]
; %bb.510:                              ;   in Loop: Header=BB2_133 Depth=3
	v_cmp_lt_i16_e32 vcc, -1, v28
	v_cndmask_b32_e32 v2, v7, v0, vcc
	v_cmp_eq_u32_e32 vcc, 0, v4
	v_cndmask_b32_e32 v3, v35, v2, vcc
; %bb.511:                              ;   in Loop: Header=BB2_133 Depth=3
	s_or_b64 exec, exec, s[30:31]
.LBB2_512:                              ;   in Loop: Header=BB2_133 Depth=3
	s_or_b64 exec, exec, s[94:95]
.LBB2_513:                              ;   in Loop: Header=BB2_133 Depth=3
	s_or_b64 exec, exec, s[26:27]
	v_mul_f32_e32 v2, v30, v3
	v_and_b32_e32 v3, 0x7f800000, v2
	v_mov_b32_e32 v4, v29
	v_cmp_ne_u64_e32 vcc, s[76:77], v[3:4]
	v_and_b32_e32 v28, 0x7fffff, v2
                                        ; implicit-def: $vgpr37
	s_and_saveexec_b64 s[26:27], vcc
	s_xor_b64 s[94:95], exec, s[26:27]
	s_cbranch_execz .LBB2_527
; %bb.514:                              ;   in Loop: Header=BB2_133 Depth=3
	v_and_b32_e32 v3, 0x7fffffff, v2
	v_mov_b32_e32 v4, v29
	v_cmp_gt_u64_e32 vcc, s[78:79], v[3:4]
	v_and_b32_sdwa v8, v2, s96 dst_sel:DWORD dst_unused:UNUSED_PAD src0_sel:BYTE_3 src1_sel:DWORD
                                        ; implicit-def: $vgpr37
	s_and_saveexec_b64 s[26:27], vcc
	s_xor_b64 s[30:31], exec, s[26:27]
	s_cbranch_execz .LBB2_524
; %bb.515:                              ;   in Loop: Header=BB2_133 Depth=3
	v_mov_b32_e32 v37, 0
	v_cmp_ne_u32_e32 vcc, 0, v2
	s_and_saveexec_b64 s[34:35], vcc
	s_cbranch_execz .LBB2_523
; %bb.516:                              ;   in Loop: Header=BB2_133 Depth=3
	v_bfe_u32 v9, v2, 23, 8
	v_cmp_gt_u32_e64 s[26:27], s46, v9
	v_sub_u32_e32 v2, 0x71, v9
	v_cmp_eq_u32_e32 vcc, 0, v9
	v_cndmask_b32_e64 v2, 0, v2, s[26:27]
	v_mov_b32_e32 v4, 0x70
	v_cndmask_b32_e32 v14, v2, v4, vcc
	v_add_u32_e32 v4, 21, v14
	v_or_b32_e32 v3, 0x800000, v28
	v_lshlrev_b64 v[16:17], v4, -1
	v_cndmask_b32_e32 v2, v3, v28, vcc
	v_mov_b32_e32 v3, v29
	v_add_u32_e32 v4, 20, v14
	v_bfi_b32 v16, v16, 0, v2
	v_lshlrev_b64 v[18:19], v4, 1
	v_lshrrev_b64 v[2:3], v14, v[2:3]
	v_bfi_b32 v17, v17, 0, 0
	v_cmp_eq_u64_e64 s[26:27], v[16:17], v[18:19]
	v_mov_b32_e32 v4, v3
	v_mov_b32_e32 v3, v2
	s_and_saveexec_b64 s[36:37], s[26:27]
; %bb.517:                              ;   in Loop: Header=BB2_133 Depth=3
	v_bfe_u32 v3, v2, 21, 1
	v_add_co_u32_e64 v3, s[26:27], v2, v3
	v_add_co_u32_e64 v3, s[26:27], -1, v3
; %bb.518:                              ;   in Loop: Header=BB2_133 Depth=3
	s_or_b64 exec, exec, s[36:37]
	v_add_u32_e32 v4, 0xffffff81, v9
	v_cndmask_b32_e32 v4, v4, v1, vcc
	v_lshrrev_b32_e32 v9, 23, v2
	v_add3_u32 v14, v14, v4, v9
	v_add_u32_e32 v9, 14, v14
	v_and_b32_e32 v3, 0x1fffff, v3
	v_add_u32_e32 v28, v3, v2
	v_cmp_ne_u32_e32 vcc, 0, v9
                                        ; implicit-def: $vgpr2_vgpr3
                                        ; implicit-def: $vgpr4
	s_and_saveexec_b64 s[26:27], vcc
	s_xor_b64 s[26:27], exec, s[26:27]
; %bb.519:                              ;   in Loop: Header=BB2_133 Depth=3
	v_cmp_lt_u64_e32 vcc, s[88:89], v[28:29]
	v_add_u32_e32 v2, 15, v14
	v_cndmask_b32_e32 v4, v9, v2, vcc
	v_cndmask_b32_e64 v2, 0, 1, vcc
	v_lshrrev_b64 v[2:3], v2, v[28:29]
; %bb.520:                              ;   in Loop: Header=BB2_133 Depth=3
	s_andn2_saveexec_b64 s[26:27], s[26:27]
; %bb.521:                              ;   in Loop: Header=BB2_133 Depth=3
	v_mov_b32_e32 v2, v28
	v_mov_b32_e32 v3, v29
	v_bfe_u32 v4, v28, 23, 1
; %bb.522:                              ;   in Loop: Header=BB2_133 Depth=3
	s_or_b64 exec, exec, s[26:27]
	v_lshrrev_b64 v[2:3], 21, v[2:3]
	v_cmp_gt_i32_e32 vcc, 32, v4
	v_cndmask_b32_e32 v3, 0, v3, vcc
	v_cndmask_b32_e32 v2, 3, v2, vcc
	v_cmp_eq_u64_e64 s[26:27], 0, v[2:3]
	v_min_i32_e32 v3, 31, v4
	v_lshlrev_b32_e32 v3, 2, v3
	v_cmp_eq_u32_e32 vcc, 0, v4
	v_and_b32_e32 v3, 0xfc, v3
	v_and_or_b32 v2, v2, 3, v3
	s_and_b64 s[26:27], vcc, s[26:27]
	v_cndmask_b32_e64 v2, v2, 0, s[26:27]
	v_or_b32_e32 v37, v2, v8
.LBB2_523:                              ;   in Loop: Header=BB2_133 Depth=3
	s_or_b64 exec, exec, s[34:35]
                                        ; implicit-def: $vgpr8
.LBB2_524:                              ;   in Loop: Header=BB2_133 Depth=3
	s_andn2_saveexec_b64 s[26:27], s[30:31]
; %bb.525:                              ;   in Loop: Header=BB2_133 Depth=3
	v_or_b32_e32 v37, 0x7b, v8
; %bb.526:                              ;   in Loop: Header=BB2_133 Depth=3
	s_or_b64 exec, exec, s[26:27]
                                        ; implicit-def: $vgpr2
.LBB2_527:                              ;   in Loop: Header=BB2_133 Depth=3
	s_andn2_saveexec_b64 s[26:27], s[94:95]
	s_cbranch_execz .LBB2_533
; %bb.528:                              ;   in Loop: Header=BB2_133 Depth=3
	v_cmp_ne_u64_e32 vcc, 0, v[28:29]
                                        ; implicit-def: $vgpr37
	s_and_saveexec_b64 s[94:95], vcc
	s_xor_b64 s[94:95], exec, s[94:95]
; %bb.529:                              ;   in Loop: Header=BB2_133 Depth=3
	v_or_b32_sdwa v37, v2, s47 dst_sel:DWORD dst_unused:UNUSED_PAD src0_sel:BYTE_3 src1_sel:DWORD
                                        ; implicit-def: $vgpr2
; %bb.530:                              ;   in Loop: Header=BB2_133 Depth=3
	s_andn2_saveexec_b64 s[94:95], s[94:95]
; %bb.531:                              ;   in Loop: Header=BB2_133 Depth=3
	v_cmp_lt_i32_e32 vcc, -1, v2
	v_cndmask_b32_e32 v37, v6, v22, vcc
; %bb.532:                              ;   in Loop: Header=BB2_133 Depth=3
	s_or_b64 exec, exec, s[94:95]
.LBB2_533:                              ;   in Loop: Header=BB2_133 Depth=3
	s_or_b64 exec, exec, s[26:27]
	v_lshrrev_b32_e32 v2, 16, v11
	v_cmp_ne_u16_sdwa s[94:95], v2, v29 src0_sel:BYTE_0 src1_sel:DWORD
	v_mov_b32_e32 v3, 0
	s_and_saveexec_b64 s[26:27], s[94:95]
	s_cbranch_execz .LBB2_541
; %bb.534:                              ;   in Loop: Header=BB2_133 Depth=3
	v_cmp_ne_u16_sdwa vcc, v2, s96 src0_sel:BYTE_0 src1_sel:DWORD
	v_bfrev_b32_e32 v3, 1
	s_and_saveexec_b64 s[94:95], vcc
	s_cbranch_execz .LBB2_540
; %bb.535:                              ;   in Loop: Header=BB2_133 Depth=3
	v_and_b32_e32 v3, 0x7c0000, v11
	v_bfe_u32 v4, v11, 16, 2
	v_cmp_ne_u32_e32 vcc, s44, v3
                                        ; implicit-def: $vgpr3
	s_and_saveexec_b64 s[30:31], vcc
	s_xor_b64 s[30:31], exec, s[30:31]
	s_cbranch_execz .LBB2_537
; %bb.536:                              ;   in Loop: Header=BB2_133 Depth=3
	v_ffbh_u32_e32 v3, v4
	v_min_u32_e32 v9, 32, v3
	v_subrev_u32_e32 v3, 29, v9
	v_lshlrev_b64 v[2:3], v3, v[2:3]
	v_bfe_u32 v8, v11, 18, 5
	v_and_b32_e32 v2, 3, v2
	v_cmp_eq_u32_e32 vcc, 0, v8
	v_sub_u32_e32 v3, 30, v9
	v_cndmask_b32_e32 v2, v4, v2, vcc
	v_lshlrev_b32_e32 v4, 8, v11
	v_cndmask_b32_e32 v3, v8, v3, vcc
	v_and_b32_e32 v4, 0x80000000, v4
	v_lshl_add_u32 v3, v3, 23, v4
	v_lshl_or_b32 v2, v2, 21, v3
	v_add_u32_e32 v3, 0x38000000, v2
                                        ; implicit-def: $vgpr4
                                        ; implicit-def: $vgpr2
.LBB2_537:                              ;   in Loop: Header=BB2_133 Depth=3
	s_andn2_saveexec_b64 s[30:31], s[30:31]
; %bb.538:                              ;   in Loop: Header=BB2_133 Depth=3
	v_cmp_gt_i16_sdwa vcc, sext(v2), v48 src0_sel:BYTE_0 src1_sel:DWORD
	v_cndmask_b32_e32 v2, v7, v0, vcc
	v_cmp_eq_u32_e32 vcc, 0, v4
	v_cndmask_b32_e32 v3, v35, v2, vcc
; %bb.539:                              ;   in Loop: Header=BB2_133 Depth=3
	s_or_b64 exec, exec, s[30:31]
.LBB2_540:                              ;   in Loop: Header=BB2_133 Depth=3
	s_or_b64 exec, exec, s[94:95]
.LBB2_541:                              ;   in Loop: Header=BB2_133 Depth=3
	s_or_b64 exec, exec, s[26:27]
	v_mul_f32_e32 v2, v30, v3
	v_and_b32_e32 v3, 0x7f800000, v2
	v_mov_b32_e32 v4, v29
	v_cmp_ne_u64_e32 vcc, s[76:77], v[3:4]
	v_and_b32_e32 v28, 0x7fffff, v2
                                        ; implicit-def: $vgpr61
	s_and_saveexec_b64 s[26:27], vcc
	s_xor_b64 s[94:95], exec, s[26:27]
	s_cbranch_execz .LBB2_555
; %bb.542:                              ;   in Loop: Header=BB2_133 Depth=3
	v_and_b32_e32 v3, 0x7fffffff, v2
	v_mov_b32_e32 v4, v29
	v_cmp_gt_u64_e32 vcc, s[78:79], v[3:4]
	v_and_b32_sdwa v8, v2, s96 dst_sel:DWORD dst_unused:UNUSED_PAD src0_sel:BYTE_3 src1_sel:DWORD
                                        ; implicit-def: $vgpr61
	s_and_saveexec_b64 s[26:27], vcc
	s_xor_b64 s[30:31], exec, s[26:27]
	s_cbranch_execz .LBB2_552
; %bb.543:                              ;   in Loop: Header=BB2_133 Depth=3
	v_mov_b32_e32 v61, 0
	v_cmp_ne_u32_e32 vcc, 0, v2
	s_and_saveexec_b64 s[34:35], vcc
	s_cbranch_execz .LBB2_551
; %bb.544:                              ;   in Loop: Header=BB2_133 Depth=3
	v_bfe_u32 v9, v2, 23, 8
	v_cmp_gt_u32_e64 s[26:27], s46, v9
	v_sub_u32_e32 v2, 0x71, v9
	v_cmp_eq_u32_e32 vcc, 0, v9
	v_cndmask_b32_e64 v2, 0, v2, s[26:27]
	v_mov_b32_e32 v4, 0x70
	v_cndmask_b32_e32 v14, v2, v4, vcc
	v_add_u32_e32 v4, 21, v14
	v_or_b32_e32 v3, 0x800000, v28
	v_lshlrev_b64 v[16:17], v4, -1
	v_cndmask_b32_e32 v2, v3, v28, vcc
	v_mov_b32_e32 v3, v29
	v_add_u32_e32 v4, 20, v14
	v_bfi_b32 v16, v16, 0, v2
	v_lshlrev_b64 v[18:19], v4, 1
	v_lshrrev_b64 v[2:3], v14, v[2:3]
	v_bfi_b32 v17, v17, 0, 0
	v_cmp_eq_u64_e64 s[26:27], v[16:17], v[18:19]
	v_mov_b32_e32 v4, v3
	v_mov_b32_e32 v3, v2
	s_and_saveexec_b64 s[36:37], s[26:27]
; %bb.545:                              ;   in Loop: Header=BB2_133 Depth=3
	v_bfe_u32 v3, v2, 21, 1
	v_add_co_u32_e64 v3, s[26:27], v2, v3
	v_add_co_u32_e64 v3, s[26:27], -1, v3
; %bb.546:                              ;   in Loop: Header=BB2_133 Depth=3
	s_or_b64 exec, exec, s[36:37]
	v_add_u32_e32 v4, 0xffffff81, v9
	v_cndmask_b32_e32 v4, v4, v1, vcc
	v_lshrrev_b32_e32 v9, 23, v2
	v_add3_u32 v14, v14, v4, v9
	v_add_u32_e32 v9, 14, v14
	v_and_b32_e32 v3, 0x1fffff, v3
	v_add_u32_e32 v28, v3, v2
	v_cmp_ne_u32_e32 vcc, 0, v9
                                        ; implicit-def: $vgpr2_vgpr3
                                        ; implicit-def: $vgpr4
	s_and_saveexec_b64 s[26:27], vcc
	s_xor_b64 s[26:27], exec, s[26:27]
; %bb.547:                              ;   in Loop: Header=BB2_133 Depth=3
	v_cmp_lt_u64_e32 vcc, s[88:89], v[28:29]
	v_add_u32_e32 v2, 15, v14
	v_cndmask_b32_e32 v4, v9, v2, vcc
	v_cndmask_b32_e64 v2, 0, 1, vcc
	v_lshrrev_b64 v[2:3], v2, v[28:29]
; %bb.548:                              ;   in Loop: Header=BB2_133 Depth=3
	s_andn2_saveexec_b64 s[26:27], s[26:27]
; %bb.549:                              ;   in Loop: Header=BB2_133 Depth=3
	v_mov_b32_e32 v2, v28
	v_mov_b32_e32 v3, v29
	v_bfe_u32 v4, v28, 23, 1
; %bb.550:                              ;   in Loop: Header=BB2_133 Depth=3
	s_or_b64 exec, exec, s[26:27]
	v_lshrrev_b64 v[2:3], 21, v[2:3]
	v_cmp_gt_i32_e32 vcc, 32, v4
	v_cndmask_b32_e32 v3, 0, v3, vcc
	v_cndmask_b32_e32 v2, 3, v2, vcc
	v_cmp_eq_u64_e64 s[26:27], 0, v[2:3]
	v_min_i32_e32 v3, 31, v4
	v_lshlrev_b32_e32 v3, 2, v3
	v_cmp_eq_u32_e32 vcc, 0, v4
	v_and_b32_e32 v3, 0xfc, v3
	v_and_or_b32 v2, v2, 3, v3
	s_and_b64 s[26:27], vcc, s[26:27]
	v_cndmask_b32_e64 v2, v2, 0, s[26:27]
	v_or_b32_e32 v61, v2, v8
.LBB2_551:                              ;   in Loop: Header=BB2_133 Depth=3
	s_or_b64 exec, exec, s[34:35]
                                        ; implicit-def: $vgpr8
.LBB2_552:                              ;   in Loop: Header=BB2_133 Depth=3
	s_andn2_saveexec_b64 s[26:27], s[30:31]
; %bb.553:                              ;   in Loop: Header=BB2_133 Depth=3
	v_or_b32_e32 v61, 0x7b, v8
; %bb.554:                              ;   in Loop: Header=BB2_133 Depth=3
	s_or_b64 exec, exec, s[26:27]
                                        ; implicit-def: $vgpr2
.LBB2_555:                              ;   in Loop: Header=BB2_133 Depth=3
	s_andn2_saveexec_b64 s[26:27], s[94:95]
	s_cbranch_execz .LBB2_561
; %bb.556:                              ;   in Loop: Header=BB2_133 Depth=3
	v_cmp_ne_u64_e32 vcc, 0, v[28:29]
                                        ; implicit-def: $vgpr61
	s_and_saveexec_b64 s[94:95], vcc
	s_xor_b64 s[94:95], exec, s[94:95]
; %bb.557:                              ;   in Loop: Header=BB2_133 Depth=3
	v_or_b32_sdwa v61, v2, s47 dst_sel:DWORD dst_unused:UNUSED_PAD src0_sel:BYTE_3 src1_sel:DWORD
                                        ; implicit-def: $vgpr2
; %bb.558:                              ;   in Loop: Header=BB2_133 Depth=3
	s_andn2_saveexec_b64 s[94:95], s[94:95]
; %bb.559:                              ;   in Loop: Header=BB2_133 Depth=3
	v_cmp_lt_i32_e32 vcc, -1, v2
	v_cndmask_b32_e32 v61, v6, v22, vcc
; %bb.560:                              ;   in Loop: Header=BB2_133 Depth=3
	s_or_b64 exec, exec, s[94:95]
.LBB2_561:                              ;   in Loop: Header=BB2_133 Depth=3
	s_or_b64 exec, exec, s[26:27]
	v_cmp_lt_u64_e32 vcc, s[56:57], v[10:11]
	v_mov_b32_e32 v3, 0
	s_and_saveexec_b64 s[26:27], vcc
	s_cbranch_execz .LBB2_569
; %bb.562:                              ;   in Loop: Header=BB2_133 Depth=3
	v_lshrrev_b32_e32 v2, 24, v11
	v_cmp_ne_u32_e32 vcc, s96, v2
	v_bfrev_b32_e32 v3, 1
	s_and_saveexec_b64 s[94:95], vcc
	s_cbranch_execz .LBB2_568
; %bb.563:                              ;   in Loop: Header=BB2_133 Depth=3
	v_and_b32_e32 v3, 0x7c000000, v11
	v_bfe_u32 v4, v11, 24, 2
	v_cmp_ne_u32_e32 vcc, s45, v3
                                        ; implicit-def: $vgpr3
	s_and_saveexec_b64 s[30:31], vcc
	s_xor_b64 s[30:31], exec, s[30:31]
	s_cbranch_execz .LBB2_565
; %bb.564:                              ;   in Loop: Header=BB2_133 Depth=3
	v_ffbh_u32_e32 v3, v4
	v_min_u32_e32 v9, 32, v3
	v_subrev_u32_e32 v3, 29, v9
	v_lshlrev_b64 v[2:3], v3, v[2:3]
	v_bfe_u32 v8, v11, 26, 5
	v_sub_u32_e32 v3, 30, v9
	v_and_b32_e32 v2, 3, v2
	v_cmp_eq_u32_e32 vcc, 0, v8
	v_cndmask_b32_e32 v3, v8, v3, vcc
	v_cndmask_b32_e32 v2, v4, v2, vcc
	v_and_b32_e32 v4, 0x80000000, v11
	v_lshl_add_u32 v3, v3, 23, v4
	v_lshl_or_b32 v2, v2, 21, v3
	v_add_u32_e32 v3, 0x38000000, v2
                                        ; implicit-def: $vgpr4
                                        ; implicit-def: $vgpr10_vgpr11
.LBB2_565:                              ;   in Loop: Header=BB2_133 Depth=3
	s_andn2_saveexec_b64 s[30:31], s[30:31]
; %bb.566:                              ;   in Loop: Header=BB2_133 Depth=3
	v_cmp_lt_i64_e32 vcc, -1, v[10:11]
	v_cndmask_b32_e32 v2, v7, v0, vcc
	v_cmp_eq_u32_e32 vcc, 0, v4
	v_cndmask_b32_e32 v3, v35, v2, vcc
; %bb.567:                              ;   in Loop: Header=BB2_133 Depth=3
	s_or_b64 exec, exec, s[30:31]
.LBB2_568:                              ;   in Loop: Header=BB2_133 Depth=3
	s_or_b64 exec, exec, s[94:95]
.LBB2_569:                              ;   in Loop: Header=BB2_133 Depth=3
	s_or_b64 exec, exec, s[26:27]
	v_mul_f32_e32 v2, v30, v3
	v_and_b32_e32 v3, 0x7f800000, v2
	v_mov_b32_e32 v4, v29
	v_cmp_ne_u64_e32 vcc, s[76:77], v[3:4]
	v_and_b32_e32 v28, 0x7fffff, v2
                                        ; implicit-def: $vgpr17
	s_and_saveexec_b64 s[26:27], vcc
	s_xor_b64 s[94:95], exec, s[26:27]
	s_cbranch_execz .LBB2_583
; %bb.570:                              ;   in Loop: Header=BB2_133 Depth=3
	v_and_b32_e32 v3, 0x7fffffff, v2
	v_mov_b32_e32 v4, v29
	v_cmp_gt_u64_e32 vcc, s[78:79], v[3:4]
	v_and_b32_sdwa v8, v2, s96 dst_sel:DWORD dst_unused:UNUSED_PAD src0_sel:BYTE_3 src1_sel:DWORD
                                        ; implicit-def: $vgpr17
	s_and_saveexec_b64 s[26:27], vcc
	s_xor_b64 s[30:31], exec, s[26:27]
	s_cbranch_execz .LBB2_580
; %bb.571:                              ;   in Loop: Header=BB2_133 Depth=3
	v_mov_b32_e32 v17, 0
	v_cmp_ne_u32_e32 vcc, 0, v2
	s_and_saveexec_b64 s[34:35], vcc
	s_cbranch_execz .LBB2_579
; %bb.572:                              ;   in Loop: Header=BB2_133 Depth=3
	v_bfe_u32 v9, v2, 23, 8
	v_cmp_gt_u32_e64 s[26:27], s46, v9
	v_sub_u32_e32 v2, 0x71, v9
	v_cmp_eq_u32_e32 vcc, 0, v9
	v_cndmask_b32_e64 v2, 0, v2, s[26:27]
	v_mov_b32_e32 v4, 0x70
	v_cndmask_b32_e32 v10, v2, v4, vcc
	v_add_u32_e32 v4, 21, v10
	v_or_b32_e32 v3, 0x800000, v28
	v_lshlrev_b64 v[16:17], v4, -1
	v_cndmask_b32_e32 v2, v3, v28, vcc
	v_mov_b32_e32 v3, v29
	v_add_u32_e32 v4, 20, v10
	v_bfi_b32 v16, v16, 0, v2
	v_lshlrev_b64 v[18:19], v4, 1
	v_lshrrev_b64 v[2:3], v10, v[2:3]
	v_bfi_b32 v17, v17, 0, 0
	v_cmp_eq_u64_e64 s[26:27], v[16:17], v[18:19]
	v_mov_b32_e32 v4, v3
	v_mov_b32_e32 v3, v2
	s_and_saveexec_b64 s[36:37], s[26:27]
; %bb.573:                              ;   in Loop: Header=BB2_133 Depth=3
	v_bfe_u32 v3, v2, 21, 1
	v_add_co_u32_e64 v3, s[26:27], v2, v3
	v_add_co_u32_e64 v3, s[26:27], -1, v3
; %bb.574:                              ;   in Loop: Header=BB2_133 Depth=3
	s_or_b64 exec, exec, s[36:37]
	v_add_u32_e32 v4, 0xffffff81, v9
	v_cndmask_b32_e32 v4, v4, v1, vcc
	v_lshrrev_b32_e32 v9, 23, v2
	v_add3_u32 v10, v10, v4, v9
	v_add_u32_e32 v9, 14, v10
	v_and_b32_e32 v3, 0x1fffff, v3
	v_add_u32_e32 v28, v3, v2
	v_cmp_ne_u32_e32 vcc, 0, v9
                                        ; implicit-def: $vgpr2_vgpr3
                                        ; implicit-def: $vgpr4
	s_and_saveexec_b64 s[26:27], vcc
	s_xor_b64 s[26:27], exec, s[26:27]
; %bb.575:                              ;   in Loop: Header=BB2_133 Depth=3
	v_cmp_lt_u64_e32 vcc, s[88:89], v[28:29]
	v_add_u32_e32 v2, 15, v10
	v_cndmask_b32_e32 v4, v9, v2, vcc
	v_cndmask_b32_e64 v2, 0, 1, vcc
	v_lshrrev_b64 v[2:3], v2, v[28:29]
; %bb.576:                              ;   in Loop: Header=BB2_133 Depth=3
	s_andn2_saveexec_b64 s[26:27], s[26:27]
; %bb.577:                              ;   in Loop: Header=BB2_133 Depth=3
	v_mov_b32_e32 v2, v28
	v_mov_b32_e32 v3, v29
	v_bfe_u32 v4, v28, 23, 1
; %bb.578:                              ;   in Loop: Header=BB2_133 Depth=3
	s_or_b64 exec, exec, s[26:27]
	v_lshrrev_b64 v[2:3], 21, v[2:3]
	v_cmp_gt_i32_e32 vcc, 32, v4
	v_cndmask_b32_e32 v3, 0, v3, vcc
	v_cndmask_b32_e32 v2, 3, v2, vcc
	v_cmp_eq_u64_e64 s[26:27], 0, v[2:3]
	v_min_i32_e32 v3, 31, v4
	v_lshlrev_b32_e32 v3, 2, v3
	v_cmp_eq_u32_e32 vcc, 0, v4
	v_and_b32_e32 v3, 0xfc, v3
	v_and_or_b32 v2, v2, 3, v3
	s_and_b64 s[26:27], vcc, s[26:27]
	v_cndmask_b32_e64 v2, v2, 0, s[26:27]
	v_or_b32_e32 v17, v2, v8
.LBB2_579:                              ;   in Loop: Header=BB2_133 Depth=3
	s_or_b64 exec, exec, s[34:35]
                                        ; implicit-def: $vgpr8
.LBB2_580:                              ;   in Loop: Header=BB2_133 Depth=3
	s_andn2_saveexec_b64 s[26:27], s[30:31]
; %bb.581:                              ;   in Loop: Header=BB2_133 Depth=3
	v_or_b32_e32 v17, 0x7b, v8
; %bb.582:                              ;   in Loop: Header=BB2_133 Depth=3
	s_or_b64 exec, exec, s[26:27]
                                        ; implicit-def: $vgpr2
.LBB2_583:                              ;   in Loop: Header=BB2_133 Depth=3
	s_andn2_saveexec_b64 s[26:27], s[94:95]
	s_cbranch_execz .LBB2_589
; %bb.584:                              ;   in Loop: Header=BB2_133 Depth=3
	v_cmp_ne_u64_e32 vcc, 0, v[28:29]
                                        ; implicit-def: $vgpr17
	s_and_saveexec_b64 s[94:95], vcc
	s_xor_b64 s[94:95], exec, s[94:95]
; %bb.585:                              ;   in Loop: Header=BB2_133 Depth=3
	v_or_b32_sdwa v17, v2, s47 dst_sel:DWORD dst_unused:UNUSED_PAD src0_sel:BYTE_3 src1_sel:DWORD
                                        ; implicit-def: $vgpr2
; %bb.586:                              ;   in Loop: Header=BB2_133 Depth=3
	s_andn2_saveexec_b64 s[94:95], s[94:95]
; %bb.587:                              ;   in Loop: Header=BB2_133 Depth=3
	v_cmp_lt_i32_e32 vcc, -1, v2
	v_cndmask_b32_e32 v17, v6, v22, vcc
; %bb.588:                              ;   in Loop: Header=BB2_133 Depth=3
	s_or_b64 exec, exec, s[94:95]
.LBB2_589:                              ;   in Loop: Header=BB2_133 Depth=3
	s_or_b64 exec, exec, s[26:27]
	global_load_dwordx4 v[8:11], v[44:45], off offset:1024 glc slc
	v_mov_b32_e32 v2, 0
	s_waitcnt vmcnt(0)
	v_cmp_ne_u16_sdwa s[94:95], v8, v29 src0_sel:BYTE_0 src1_sel:DWORD
	s_and_saveexec_b64 s[26:27], s[94:95]
	s_cbranch_execz .LBB2_597
; %bb.590:                              ;   in Loop: Header=BB2_133 Depth=3
	v_cmp_ne_u16_sdwa vcc, sext(v8), s97 src0_sel:BYTE_0 src1_sel:DWORD
	v_bfrev_b32_e32 v2, 1
	s_and_saveexec_b64 s[94:95], vcc
	s_cbranch_execz .LBB2_596
; %bb.591:                              ;   in Loop: Header=BB2_133 Depth=3
	v_and_b32_e32 v2, 0x7c, v8
	v_and_b32_e32 v3, 3, v8
	v_cmp_ne_u32_e32 vcc, s85, v2
                                        ; implicit-def: $vgpr2
	s_and_saveexec_b64 s[30:31], vcc
	s_xor_b64 s[30:31], exec, s[30:31]
	s_cbranch_execz .LBB2_593
; %bb.592:                              ;   in Loop: Header=BB2_133 Depth=3
	v_ffbh_u32_e32 v4, v3
	v_min_u32_e32 v4, 32, v4
	v_bfe_u32 v2, v8, 2, 5
	v_subrev_u32_e32 v14, 29, v4
	v_lshlrev_b64 v[18:19], v14, v[8:9]
	v_sub_u32_e32 v4, 30, v4
	v_cmp_eq_u32_e32 vcc, 0, v2
	v_cndmask_b32_e32 v2, v2, v4, vcc
	v_lshlrev_b32_e32 v4, 24, v8
	v_and_b32_e32 v14, 3, v18
	v_and_b32_e32 v4, 0x80000000, v4
	v_cndmask_b32_e32 v3, v3, v14, vcc
	v_lshl_add_u32 v2, v2, 23, v4
	v_lshl_or_b32 v2, v3, 21, v2
	v_add_u32_e32 v2, 0x38000000, v2
                                        ; implicit-def: $vgpr3
.LBB2_593:                              ;   in Loop: Header=BB2_133 Depth=3
	s_andn2_saveexec_b64 s[30:31], s[30:31]
; %bb.594:                              ;   in Loop: Header=BB2_133 Depth=3
	v_cmp_gt_i16_sdwa vcc, sext(v8), v48 src0_sel:BYTE_0 src1_sel:DWORD
	v_cndmask_b32_e32 v2, v7, v0, vcc
	v_cmp_eq_u32_e32 vcc, 0, v3
	v_cndmask_b32_e32 v2, v35, v2, vcc
; %bb.595:                              ;   in Loop: Header=BB2_133 Depth=3
	s_or_b64 exec, exec, s[30:31]
.LBB2_596:                              ;   in Loop: Header=BB2_133 Depth=3
	s_or_b64 exec, exec, s[94:95]
.LBB2_597:                              ;   in Loop: Header=BB2_133 Depth=3
	s_or_b64 exec, exec, s[26:27]
	v_mul_f32_e32 v2, v30, v2
	v_and_b32_e32 v3, 0x7f800000, v2
	v_mov_b32_e32 v4, v29
	v_cmp_ne_u64_e32 vcc, s[76:77], v[3:4]
	v_and_b32_e32 v28, 0x7fffff, v2
                                        ; implicit-def: $vgpr44
	s_and_saveexec_b64 s[26:27], vcc
	s_xor_b64 s[94:95], exec, s[26:27]
	s_cbranch_execz .LBB2_611
; %bb.598:                              ;   in Loop: Header=BB2_133 Depth=3
	v_and_b32_e32 v3, 0x7fffffff, v2
	v_mov_b32_e32 v4, v29
	v_cmp_gt_u64_e32 vcc, s[78:79], v[3:4]
	v_and_b32_sdwa v14, v2, s96 dst_sel:DWORD dst_unused:UNUSED_PAD src0_sel:BYTE_3 src1_sel:DWORD
                                        ; implicit-def: $vgpr44
	s_and_saveexec_b64 s[26:27], vcc
	s_xor_b64 s[30:31], exec, s[26:27]
	s_cbranch_execz .LBB2_608
; %bb.599:                              ;   in Loop: Header=BB2_133 Depth=3
	v_mov_b32_e32 v44, 0
	v_cmp_ne_u32_e32 vcc, 0, v2
	s_and_saveexec_b64 s[34:35], vcc
	s_cbranch_execz .LBB2_607
; %bb.600:                              ;   in Loop: Header=BB2_133 Depth=3
	v_bfe_u32 v16, v2, 23, 8
	v_cmp_gt_u32_e64 s[26:27], s46, v16
	v_sub_u32_e32 v2, 0x71, v16
	v_cmp_eq_u32_e32 vcc, 0, v16
	v_cndmask_b32_e64 v2, 0, v2, s[26:27]
	v_mov_b32_e32 v4, 0x70
	v_cndmask_b32_e32 v18, v2, v4, vcc
	v_add_u32_e32 v4, 21, v18
	v_or_b32_e32 v3, 0x800000, v28
	v_lshlrev_b64 v[31:32], v4, -1
	v_cndmask_b32_e32 v2, v3, v28, vcc
	v_mov_b32_e32 v3, v29
	v_add_u32_e32 v4, 20, v18
	v_bfi_b32 v31, v31, 0, v2
	v_lshlrev_b64 v[38:39], v4, 1
	v_lshrrev_b64 v[2:3], v18, v[2:3]
	v_bfi_b32 v32, v32, 0, 0
	v_cmp_eq_u64_e64 s[26:27], v[31:32], v[38:39]
	v_mov_b32_e32 v4, v3
	v_mov_b32_e32 v3, v2
	s_and_saveexec_b64 s[36:37], s[26:27]
; %bb.601:                              ;   in Loop: Header=BB2_133 Depth=3
	v_bfe_u32 v3, v2, 21, 1
	v_add_co_u32_e64 v3, s[26:27], v2, v3
	v_add_co_u32_e64 v3, s[26:27], -1, v3
; %bb.602:                              ;   in Loop: Header=BB2_133 Depth=3
	s_or_b64 exec, exec, s[36:37]
	v_add_u32_e32 v4, 0xffffff81, v16
	v_cndmask_b32_e32 v4, v4, v1, vcc
	v_lshrrev_b32_e32 v16, 23, v2
	v_add3_u32 v18, v18, v4, v16
	v_add_u32_e32 v16, 14, v18
	v_and_b32_e32 v3, 0x1fffff, v3
	v_add_u32_e32 v28, v3, v2
	v_cmp_ne_u32_e32 vcc, 0, v16
                                        ; implicit-def: $vgpr2_vgpr3
                                        ; implicit-def: $vgpr4
	s_and_saveexec_b64 s[26:27], vcc
	s_xor_b64 s[26:27], exec, s[26:27]
; %bb.603:                              ;   in Loop: Header=BB2_133 Depth=3
	v_cmp_lt_u64_e32 vcc, s[88:89], v[28:29]
	v_add_u32_e32 v2, 15, v18
	v_cndmask_b32_e32 v4, v16, v2, vcc
	v_cndmask_b32_e64 v2, 0, 1, vcc
	v_lshrrev_b64 v[2:3], v2, v[28:29]
; %bb.604:                              ;   in Loop: Header=BB2_133 Depth=3
	s_andn2_saveexec_b64 s[26:27], s[26:27]
; %bb.605:                              ;   in Loop: Header=BB2_133 Depth=3
	v_mov_b32_e32 v2, v28
	v_mov_b32_e32 v3, v29
	v_bfe_u32 v4, v28, 23, 1
; %bb.606:                              ;   in Loop: Header=BB2_133 Depth=3
	s_or_b64 exec, exec, s[26:27]
	v_lshrrev_b64 v[2:3], 21, v[2:3]
	v_cmp_gt_i32_e32 vcc, 32, v4
	v_cndmask_b32_e32 v3, 0, v3, vcc
	v_cndmask_b32_e32 v2, 3, v2, vcc
	v_cmp_eq_u64_e64 s[26:27], 0, v[2:3]
	v_min_i32_e32 v3, 31, v4
	v_lshlrev_b32_e32 v3, 2, v3
	v_cmp_eq_u32_e32 vcc, 0, v4
	v_and_b32_e32 v3, 0xfc, v3
	v_and_or_b32 v2, v2, 3, v3
	s_and_b64 s[26:27], vcc, s[26:27]
	v_cndmask_b32_e64 v2, v2, 0, s[26:27]
	v_or_b32_e32 v44, v2, v14
.LBB2_607:                              ;   in Loop: Header=BB2_133 Depth=3
	s_or_b64 exec, exec, s[34:35]
                                        ; implicit-def: $vgpr14
.LBB2_608:                              ;   in Loop: Header=BB2_133 Depth=3
	s_andn2_saveexec_b64 s[26:27], s[30:31]
; %bb.609:                              ;   in Loop: Header=BB2_133 Depth=3
	v_or_b32_e32 v44, 0x7b, v14
; %bb.610:                              ;   in Loop: Header=BB2_133 Depth=3
	s_or_b64 exec, exec, s[26:27]
                                        ; implicit-def: $vgpr2
.LBB2_611:                              ;   in Loop: Header=BB2_133 Depth=3
	s_andn2_saveexec_b64 s[26:27], s[94:95]
	s_cbranch_execz .LBB2_617
; %bb.612:                              ;   in Loop: Header=BB2_133 Depth=3
	v_cmp_ne_u64_e32 vcc, 0, v[28:29]
                                        ; implicit-def: $vgpr44
	s_and_saveexec_b64 s[94:95], vcc
	s_xor_b64 s[94:95], exec, s[94:95]
; %bb.613:                              ;   in Loop: Header=BB2_133 Depth=3
	v_or_b32_sdwa v44, v2, s47 dst_sel:DWORD dst_unused:UNUSED_PAD src0_sel:BYTE_3 src1_sel:DWORD
                                        ; implicit-def: $vgpr2
; %bb.614:                              ;   in Loop: Header=BB2_133 Depth=3
	s_andn2_saveexec_b64 s[94:95], s[94:95]
; %bb.615:                              ;   in Loop: Header=BB2_133 Depth=3
	v_cmp_lt_i32_e32 vcc, -1, v2
	v_cndmask_b32_e32 v44, v6, v22, vcc
; %bb.616:                              ;   in Loop: Header=BB2_133 Depth=3
	s_or_b64 exec, exec, s[94:95]
.LBB2_617:                              ;   in Loop: Header=BB2_133 Depth=3
	s_or_b64 exec, exec, s[26:27]
	v_lshrrev_b16_e32 v2, 8, v8
	v_cmp_ne_u16_e32 vcc, 0, v2
	v_mov_b32_e32 v3, 0
	s_and_saveexec_b64 s[26:27], vcc
	s_cbranch_execz .LBB2_625
; %bb.618:                              ;   in Loop: Header=BB2_133 Depth=3
	v_cmp_ne_u16_e32 vcc, s96, v2
	v_bfrev_b32_e32 v3, 1
	s_and_saveexec_b64 s[94:95], vcc
	s_cbranch_execz .LBB2_624
; %bb.619:                              ;   in Loop: Header=BB2_133 Depth=3
	v_and_b32_e32 v3, 0x7c, v2
	v_and_b32_e32 v4, 3, v2
	v_cmp_ne_u32_e32 vcc, s85, v3
                                        ; implicit-def: $vgpr3
	s_and_saveexec_b64 s[30:31], vcc
	s_xor_b64 s[30:31], exec, s[30:31]
	s_cbranch_execz .LBB2_621
; %bb.620:                              ;   in Loop: Header=BB2_133 Depth=3
	v_ffbh_u32_e32 v16, v4
	v_min_u32_e32 v16, 32, v16
	v_mov_b32_e32 v3, v29
	v_subrev_u32_e32 v18, 29, v16
	v_bfe_u32 v14, v2, 2, 5
	v_lshlrev_b64 v[2:3], v18, v[2:3]
	v_cmp_eq_u32_e32 vcc, 0, v14
	v_and_b32_e32 v2, 3, v2
	v_sub_u32_e32 v3, 30, v16
	v_cndmask_b32_e32 v2, v4, v2, vcc
	v_lshlrev_b32_e32 v4, 16, v8
	v_cndmask_b32_e32 v3, v14, v3, vcc
	v_and_b32_e32 v4, 0x80000000, v4
	v_lshl_add_u32 v3, v3, 23, v4
	v_lshl_or_b32 v2, v2, 21, v3
	v_add_u32_e32 v3, 0x38000000, v2
                                        ; implicit-def: $vgpr4
.LBB2_621:                              ;   in Loop: Header=BB2_133 Depth=3
	s_andn2_saveexec_b64 s[30:31], s[30:31]
; %bb.622:                              ;   in Loop: Header=BB2_133 Depth=3
	v_cmp_lt_i16_e32 vcc, -1, v8
	v_cndmask_b32_e32 v2, v7, v0, vcc
	v_cmp_eq_u32_e32 vcc, 0, v4
	v_cndmask_b32_e32 v3, v35, v2, vcc
; %bb.623:                              ;   in Loop: Header=BB2_133 Depth=3
	s_or_b64 exec, exec, s[30:31]
.LBB2_624:                              ;   in Loop: Header=BB2_133 Depth=3
	s_or_b64 exec, exec, s[94:95]
.LBB2_625:                              ;   in Loop: Header=BB2_133 Depth=3
	s_or_b64 exec, exec, s[26:27]
	v_mul_f32_e32 v2, v30, v3
	v_and_b32_e32 v3, 0x7f800000, v2
	v_mov_b32_e32 v4, v29
	v_cmp_ne_u64_e32 vcc, s[76:77], v[3:4]
	v_and_b32_e32 v28, 0x7fffff, v2
                                        ; implicit-def: $vgpr45
	s_and_saveexec_b64 s[26:27], vcc
	s_xor_b64 s[94:95], exec, s[26:27]
	s_cbranch_execz .LBB2_639
; %bb.626:                              ;   in Loop: Header=BB2_133 Depth=3
	v_and_b32_e32 v3, 0x7fffffff, v2
	v_mov_b32_e32 v4, v29
	v_cmp_gt_u64_e32 vcc, s[78:79], v[3:4]
	v_and_b32_sdwa v14, v2, s96 dst_sel:DWORD dst_unused:UNUSED_PAD src0_sel:BYTE_3 src1_sel:DWORD
                                        ; implicit-def: $vgpr45
	s_and_saveexec_b64 s[26:27], vcc
	s_xor_b64 s[30:31], exec, s[26:27]
	s_cbranch_execz .LBB2_636
; %bb.627:                              ;   in Loop: Header=BB2_133 Depth=3
	v_mov_b32_e32 v45, 0
	v_cmp_ne_u32_e32 vcc, 0, v2
	s_and_saveexec_b64 s[34:35], vcc
	s_cbranch_execz .LBB2_635
; %bb.628:                              ;   in Loop: Header=BB2_133 Depth=3
	v_bfe_u32 v16, v2, 23, 8
	v_cmp_gt_u32_e64 s[26:27], s46, v16
	v_sub_u32_e32 v2, 0x71, v16
	v_cmp_eq_u32_e32 vcc, 0, v16
	v_cndmask_b32_e64 v2, 0, v2, s[26:27]
	v_mov_b32_e32 v4, 0x70
	v_cndmask_b32_e32 v18, v2, v4, vcc
	v_add_u32_e32 v4, 21, v18
	v_or_b32_e32 v3, 0x800000, v28
	v_lshlrev_b64 v[31:32], v4, -1
	v_cndmask_b32_e32 v2, v3, v28, vcc
	v_mov_b32_e32 v3, v29
	v_add_u32_e32 v4, 20, v18
	v_bfi_b32 v31, v31, 0, v2
	v_lshlrev_b64 v[38:39], v4, 1
	v_lshrrev_b64 v[2:3], v18, v[2:3]
	v_bfi_b32 v32, v32, 0, 0
	v_cmp_eq_u64_e64 s[26:27], v[31:32], v[38:39]
	v_mov_b32_e32 v4, v3
	v_mov_b32_e32 v3, v2
	s_and_saveexec_b64 s[36:37], s[26:27]
; %bb.629:                              ;   in Loop: Header=BB2_133 Depth=3
	v_bfe_u32 v3, v2, 21, 1
	v_add_co_u32_e64 v3, s[26:27], v2, v3
	v_add_co_u32_e64 v3, s[26:27], -1, v3
; %bb.630:                              ;   in Loop: Header=BB2_133 Depth=3
	s_or_b64 exec, exec, s[36:37]
	v_add_u32_e32 v4, 0xffffff81, v16
	v_cndmask_b32_e32 v4, v4, v1, vcc
	v_lshrrev_b32_e32 v16, 23, v2
	v_add3_u32 v18, v18, v4, v16
	v_add_u32_e32 v16, 14, v18
	v_and_b32_e32 v3, 0x1fffff, v3
	v_add_u32_e32 v28, v3, v2
	v_cmp_ne_u32_e32 vcc, 0, v16
                                        ; implicit-def: $vgpr2_vgpr3
                                        ; implicit-def: $vgpr4
	s_and_saveexec_b64 s[26:27], vcc
	s_xor_b64 s[26:27], exec, s[26:27]
; %bb.631:                              ;   in Loop: Header=BB2_133 Depth=3
	v_cmp_lt_u64_e32 vcc, s[88:89], v[28:29]
	v_add_u32_e32 v2, 15, v18
	v_cndmask_b32_e32 v4, v16, v2, vcc
	v_cndmask_b32_e64 v2, 0, 1, vcc
	v_lshrrev_b64 v[2:3], v2, v[28:29]
; %bb.632:                              ;   in Loop: Header=BB2_133 Depth=3
	s_andn2_saveexec_b64 s[26:27], s[26:27]
; %bb.633:                              ;   in Loop: Header=BB2_133 Depth=3
	v_mov_b32_e32 v2, v28
	v_mov_b32_e32 v3, v29
	v_bfe_u32 v4, v28, 23, 1
; %bb.634:                              ;   in Loop: Header=BB2_133 Depth=3
	s_or_b64 exec, exec, s[26:27]
	v_lshrrev_b64 v[2:3], 21, v[2:3]
	v_cmp_gt_i32_e32 vcc, 32, v4
	v_cndmask_b32_e32 v3, 0, v3, vcc
	v_cndmask_b32_e32 v2, 3, v2, vcc
	v_cmp_eq_u64_e64 s[26:27], 0, v[2:3]
	v_min_i32_e32 v3, 31, v4
	v_lshlrev_b32_e32 v3, 2, v3
	v_cmp_eq_u32_e32 vcc, 0, v4
	v_and_b32_e32 v3, 0xfc, v3
	v_and_or_b32 v2, v2, 3, v3
	s_and_b64 s[26:27], vcc, s[26:27]
	v_cndmask_b32_e64 v2, v2, 0, s[26:27]
	v_or_b32_e32 v45, v2, v14
.LBB2_635:                              ;   in Loop: Header=BB2_133 Depth=3
	s_or_b64 exec, exec, s[34:35]
                                        ; implicit-def: $vgpr14
.LBB2_636:                              ;   in Loop: Header=BB2_133 Depth=3
	s_andn2_saveexec_b64 s[26:27], s[30:31]
; %bb.637:                              ;   in Loop: Header=BB2_133 Depth=3
	v_or_b32_e32 v45, 0x7b, v14
; %bb.638:                              ;   in Loop: Header=BB2_133 Depth=3
	s_or_b64 exec, exec, s[26:27]
                                        ; implicit-def: $vgpr2
.LBB2_639:                              ;   in Loop: Header=BB2_133 Depth=3
	s_andn2_saveexec_b64 s[26:27], s[94:95]
	s_cbranch_execz .LBB2_645
; %bb.640:                              ;   in Loop: Header=BB2_133 Depth=3
	v_cmp_ne_u64_e32 vcc, 0, v[28:29]
                                        ; implicit-def: $vgpr45
	s_and_saveexec_b64 s[94:95], vcc
	s_xor_b64 s[94:95], exec, s[94:95]
; %bb.641:                              ;   in Loop: Header=BB2_133 Depth=3
	v_or_b32_sdwa v45, v2, s47 dst_sel:DWORD dst_unused:UNUSED_PAD src0_sel:BYTE_3 src1_sel:DWORD
                                        ; implicit-def: $vgpr2
; %bb.642:                              ;   in Loop: Header=BB2_133 Depth=3
	s_andn2_saveexec_b64 s[94:95], s[94:95]
; %bb.643:                              ;   in Loop: Header=BB2_133 Depth=3
	v_cmp_lt_i32_e32 vcc, -1, v2
	v_cndmask_b32_e32 v45, v6, v22, vcc
; %bb.644:                              ;   in Loop: Header=BB2_133 Depth=3
	s_or_b64 exec, exec, s[94:95]
.LBB2_645:                              ;   in Loop: Header=BB2_133 Depth=3
	s_or_b64 exec, exec, s[26:27]
	v_lshrrev_b32_e32 v2, 16, v8
	v_cmp_ne_u16_sdwa s[94:95], v2, v29 src0_sel:BYTE_0 src1_sel:DWORD
	v_mov_b32_e32 v3, 0
	s_and_saveexec_b64 s[26:27], s[94:95]
	s_cbranch_execz .LBB2_653
; %bb.646:                              ;   in Loop: Header=BB2_133 Depth=3
	v_cmp_ne_u16_sdwa vcc, v2, s96 src0_sel:BYTE_0 src1_sel:DWORD
	v_bfrev_b32_e32 v3, 1
	s_and_saveexec_b64 s[94:95], vcc
	s_cbranch_execz .LBB2_652
; %bb.647:                              ;   in Loop: Header=BB2_133 Depth=3
	v_and_b32_e32 v3, 0x7c0000, v8
	v_bfe_u32 v4, v8, 16, 2
	v_cmp_ne_u32_e32 vcc, s44, v3
                                        ; implicit-def: $vgpr3
	s_and_saveexec_b64 s[30:31], vcc
	s_xor_b64 s[30:31], exec, s[30:31]
	s_cbranch_execz .LBB2_649
; %bb.648:                              ;   in Loop: Header=BB2_133 Depth=3
	v_ffbh_u32_e32 v3, v4
	v_min_u32_e32 v16, 32, v3
	v_subrev_u32_e32 v3, 29, v16
	v_lshlrev_b64 v[2:3], v3, v[2:3]
	v_bfe_u32 v14, v8, 18, 5
	v_and_b32_e32 v2, 3, v2
	v_cmp_eq_u32_e32 vcc, 0, v14
	v_sub_u32_e32 v3, 30, v16
	v_cndmask_b32_e32 v2, v4, v2, vcc
	v_lshlrev_b32_e32 v4, 8, v8
	v_cndmask_b32_e32 v3, v14, v3, vcc
	v_and_b32_e32 v4, 0x80000000, v4
	v_lshl_add_u32 v3, v3, 23, v4
	v_lshl_or_b32 v2, v2, 21, v3
	v_add_u32_e32 v3, 0x38000000, v2
                                        ; implicit-def: $vgpr4
                                        ; implicit-def: $vgpr2
.LBB2_649:                              ;   in Loop: Header=BB2_133 Depth=3
	s_andn2_saveexec_b64 s[30:31], s[30:31]
; %bb.650:                              ;   in Loop: Header=BB2_133 Depth=3
	v_cmp_gt_i16_sdwa vcc, sext(v2), v48 src0_sel:BYTE_0 src1_sel:DWORD
	v_cndmask_b32_e32 v2, v7, v0, vcc
	v_cmp_eq_u32_e32 vcc, 0, v4
	v_cndmask_b32_e32 v3, v35, v2, vcc
; %bb.651:                              ;   in Loop: Header=BB2_133 Depth=3
	s_or_b64 exec, exec, s[30:31]
.LBB2_652:                              ;   in Loop: Header=BB2_133 Depth=3
	s_or_b64 exec, exec, s[94:95]
.LBB2_653:                              ;   in Loop: Header=BB2_133 Depth=3
	s_or_b64 exec, exec, s[26:27]
	v_mul_f32_e32 v2, v30, v3
	v_and_b32_e32 v3, 0x7f800000, v2
	v_mov_b32_e32 v4, v29
	v_cmp_ne_u64_e32 vcc, s[76:77], v[3:4]
	v_and_b32_e32 v28, 0x7fffff, v2
                                        ; implicit-def: $vgpr52
	s_and_saveexec_b64 s[26:27], vcc
	s_xor_b64 s[94:95], exec, s[26:27]
	s_cbranch_execz .LBB2_667
; %bb.654:                              ;   in Loop: Header=BB2_133 Depth=3
	v_and_b32_e32 v3, 0x7fffffff, v2
	v_mov_b32_e32 v4, v29
	v_cmp_gt_u64_e32 vcc, s[78:79], v[3:4]
	v_and_b32_sdwa v14, v2, s96 dst_sel:DWORD dst_unused:UNUSED_PAD src0_sel:BYTE_3 src1_sel:DWORD
                                        ; implicit-def: $vgpr52
	s_and_saveexec_b64 s[26:27], vcc
	s_xor_b64 s[30:31], exec, s[26:27]
	s_cbranch_execz .LBB2_664
; %bb.655:                              ;   in Loop: Header=BB2_133 Depth=3
	v_mov_b32_e32 v52, 0
	v_cmp_ne_u32_e32 vcc, 0, v2
	s_and_saveexec_b64 s[34:35], vcc
	s_cbranch_execz .LBB2_663
; %bb.656:                              ;   in Loop: Header=BB2_133 Depth=3
	v_bfe_u32 v16, v2, 23, 8
	v_cmp_gt_u32_e64 s[26:27], s46, v16
	v_sub_u32_e32 v2, 0x71, v16
	v_cmp_eq_u32_e32 vcc, 0, v16
	v_cndmask_b32_e64 v2, 0, v2, s[26:27]
	v_mov_b32_e32 v4, 0x70
	v_cndmask_b32_e32 v18, v2, v4, vcc
	v_add_u32_e32 v4, 21, v18
	v_or_b32_e32 v3, 0x800000, v28
	v_lshlrev_b64 v[31:32], v4, -1
	v_cndmask_b32_e32 v2, v3, v28, vcc
	v_mov_b32_e32 v3, v29
	v_add_u32_e32 v4, 20, v18
	v_bfi_b32 v31, v31, 0, v2
	v_lshlrev_b64 v[38:39], v4, 1
	v_lshrrev_b64 v[2:3], v18, v[2:3]
	v_bfi_b32 v32, v32, 0, 0
	v_cmp_eq_u64_e64 s[26:27], v[31:32], v[38:39]
	v_mov_b32_e32 v4, v3
	v_mov_b32_e32 v3, v2
	s_and_saveexec_b64 s[36:37], s[26:27]
; %bb.657:                              ;   in Loop: Header=BB2_133 Depth=3
	v_bfe_u32 v3, v2, 21, 1
	v_add_co_u32_e64 v3, s[26:27], v2, v3
	v_add_co_u32_e64 v3, s[26:27], -1, v3
; %bb.658:                              ;   in Loop: Header=BB2_133 Depth=3
	s_or_b64 exec, exec, s[36:37]
	v_add_u32_e32 v4, 0xffffff81, v16
	v_cndmask_b32_e32 v4, v4, v1, vcc
	v_lshrrev_b32_e32 v16, 23, v2
	v_add3_u32 v18, v18, v4, v16
	v_add_u32_e32 v16, 14, v18
	v_and_b32_e32 v3, 0x1fffff, v3
	v_add_u32_e32 v28, v3, v2
	v_cmp_ne_u32_e32 vcc, 0, v16
                                        ; implicit-def: $vgpr2_vgpr3
                                        ; implicit-def: $vgpr4
	s_and_saveexec_b64 s[26:27], vcc
	s_xor_b64 s[26:27], exec, s[26:27]
; %bb.659:                              ;   in Loop: Header=BB2_133 Depth=3
	v_cmp_lt_u64_e32 vcc, s[88:89], v[28:29]
	v_add_u32_e32 v2, 15, v18
	v_cndmask_b32_e32 v4, v16, v2, vcc
	v_cndmask_b32_e64 v2, 0, 1, vcc
	v_lshrrev_b64 v[2:3], v2, v[28:29]
; %bb.660:                              ;   in Loop: Header=BB2_133 Depth=3
	s_andn2_saveexec_b64 s[26:27], s[26:27]
; %bb.661:                              ;   in Loop: Header=BB2_133 Depth=3
	v_mov_b32_e32 v2, v28
	v_mov_b32_e32 v3, v29
	v_bfe_u32 v4, v28, 23, 1
; %bb.662:                              ;   in Loop: Header=BB2_133 Depth=3
	s_or_b64 exec, exec, s[26:27]
	v_lshrrev_b64 v[2:3], 21, v[2:3]
	v_cmp_gt_i32_e32 vcc, 32, v4
	v_cndmask_b32_e32 v3, 0, v3, vcc
	v_cndmask_b32_e32 v2, 3, v2, vcc
	v_cmp_eq_u64_e64 s[26:27], 0, v[2:3]
	v_min_i32_e32 v3, 31, v4
	v_lshlrev_b32_e32 v3, 2, v3
	v_cmp_eq_u32_e32 vcc, 0, v4
	v_and_b32_e32 v3, 0xfc, v3
	v_and_or_b32 v2, v2, 3, v3
	s_and_b64 s[26:27], vcc, s[26:27]
	v_cndmask_b32_e64 v2, v2, 0, s[26:27]
	v_or_b32_e32 v52, v2, v14
.LBB2_663:                              ;   in Loop: Header=BB2_133 Depth=3
	s_or_b64 exec, exec, s[34:35]
                                        ; implicit-def: $vgpr14
.LBB2_664:                              ;   in Loop: Header=BB2_133 Depth=3
	s_andn2_saveexec_b64 s[26:27], s[30:31]
; %bb.665:                              ;   in Loop: Header=BB2_133 Depth=3
	v_or_b32_e32 v52, 0x7b, v14
; %bb.666:                              ;   in Loop: Header=BB2_133 Depth=3
	s_or_b64 exec, exec, s[26:27]
                                        ; implicit-def: $vgpr2
.LBB2_667:                              ;   in Loop: Header=BB2_133 Depth=3
	s_andn2_saveexec_b64 s[26:27], s[94:95]
	s_cbranch_execz .LBB2_673
; %bb.668:                              ;   in Loop: Header=BB2_133 Depth=3
	v_cmp_ne_u64_e32 vcc, 0, v[28:29]
                                        ; implicit-def: $vgpr52
	s_and_saveexec_b64 s[94:95], vcc
	s_xor_b64 s[94:95], exec, s[94:95]
; %bb.669:                              ;   in Loop: Header=BB2_133 Depth=3
	v_or_b32_sdwa v52, v2, s47 dst_sel:DWORD dst_unused:UNUSED_PAD src0_sel:BYTE_3 src1_sel:DWORD
                                        ; implicit-def: $vgpr2
; %bb.670:                              ;   in Loop: Header=BB2_133 Depth=3
	s_andn2_saveexec_b64 s[94:95], s[94:95]
; %bb.671:                              ;   in Loop: Header=BB2_133 Depth=3
	v_cmp_lt_i32_e32 vcc, -1, v2
	v_cndmask_b32_e32 v52, v6, v22, vcc
; %bb.672:                              ;   in Loop: Header=BB2_133 Depth=3
	s_or_b64 exec, exec, s[94:95]
.LBB2_673:                              ;   in Loop: Header=BB2_133 Depth=3
	s_or_b64 exec, exec, s[26:27]
	v_cmp_lt_u32_e32 vcc, s57, v8
	v_mov_b32_e32 v3, 0
	s_and_saveexec_b64 s[26:27], vcc
	s_cbranch_execz .LBB2_681
; %bb.674:                              ;   in Loop: Header=BB2_133 Depth=3
	v_lshrrev_b32_e32 v2, 24, v8
	v_cmp_ne_u32_e32 vcc, s96, v2
	v_bfrev_b32_e32 v3, 1
	s_and_saveexec_b64 s[94:95], vcc
	s_cbranch_execz .LBB2_680
; %bb.675:                              ;   in Loop: Header=BB2_133 Depth=3
	v_and_b32_e32 v3, 0x7c000000, v8
	v_bfe_u32 v4, v8, 24, 2
	v_cmp_ne_u32_e32 vcc, s45, v3
                                        ; implicit-def: $vgpr3
	s_and_saveexec_b64 s[30:31], vcc
	s_xor_b64 s[30:31], exec, s[30:31]
	s_cbranch_execz .LBB2_677
; %bb.676:                              ;   in Loop: Header=BB2_133 Depth=3
	v_ffbh_u32_e32 v3, v4
	v_min_u32_e32 v16, 32, v3
	v_subrev_u32_e32 v3, 29, v16
	v_lshlrev_b64 v[2:3], v3, v[2:3]
	v_bfe_u32 v14, v8, 26, 5
	v_sub_u32_e32 v3, 30, v16
	v_and_b32_e32 v2, 3, v2
	v_cmp_eq_u32_e32 vcc, 0, v14
	v_cndmask_b32_e32 v3, v14, v3, vcc
	v_cndmask_b32_e32 v2, v4, v2, vcc
	v_and_b32_e32 v4, 0x80000000, v8
	v_lshl_add_u32 v3, v3, 23, v4
	v_lshl_or_b32 v2, v2, 21, v3
	v_add_u32_e32 v3, 0x38000000, v2
                                        ; implicit-def: $vgpr4
.LBB2_677:                              ;   in Loop: Header=BB2_133 Depth=3
	s_andn2_saveexec_b64 s[30:31], s[30:31]
; %bb.678:                              ;   in Loop: Header=BB2_133 Depth=3
	v_cmp_lt_i32_e32 vcc, -1, v8
	v_cndmask_b32_e32 v2, v7, v0, vcc
	v_cmp_eq_u32_e32 vcc, 0, v4
	v_cndmask_b32_e32 v3, v35, v2, vcc
; %bb.679:                              ;   in Loop: Header=BB2_133 Depth=3
	s_or_b64 exec, exec, s[30:31]
.LBB2_680:                              ;   in Loop: Header=BB2_133 Depth=3
	s_or_b64 exec, exec, s[94:95]
.LBB2_681:                              ;   in Loop: Header=BB2_133 Depth=3
	s_or_b64 exec, exec, s[26:27]
	v_mul_f32_e32 v2, v30, v3
	v_and_b32_e32 v3, 0x7f800000, v2
	v_mov_b32_e32 v4, v29
	v_cmp_ne_u64_e32 vcc, s[76:77], v[3:4]
	v_and_b32_e32 v28, 0x7fffff, v2
                                        ; implicit-def: $vgpr53
	s_and_saveexec_b64 s[26:27], vcc
	s_xor_b64 s[94:95], exec, s[26:27]
	s_cbranch_execz .LBB2_695
; %bb.682:                              ;   in Loop: Header=BB2_133 Depth=3
	v_and_b32_e32 v3, 0x7fffffff, v2
	v_mov_b32_e32 v4, v29
	v_cmp_gt_u64_e32 vcc, s[78:79], v[3:4]
	v_and_b32_sdwa v14, v2, s96 dst_sel:DWORD dst_unused:UNUSED_PAD src0_sel:BYTE_3 src1_sel:DWORD
                                        ; implicit-def: $vgpr53
	s_and_saveexec_b64 s[26:27], vcc
	s_xor_b64 s[30:31], exec, s[26:27]
	s_cbranch_execz .LBB2_692
; %bb.683:                              ;   in Loop: Header=BB2_133 Depth=3
	v_mov_b32_e32 v53, 0
	v_cmp_ne_u32_e32 vcc, 0, v2
	s_and_saveexec_b64 s[34:35], vcc
	s_cbranch_execz .LBB2_691
; %bb.684:                              ;   in Loop: Header=BB2_133 Depth=3
	v_bfe_u32 v16, v2, 23, 8
	v_cmp_gt_u32_e64 s[26:27], s46, v16
	v_sub_u32_e32 v2, 0x71, v16
	v_cmp_eq_u32_e32 vcc, 0, v16
	v_cndmask_b32_e64 v2, 0, v2, s[26:27]
	v_mov_b32_e32 v4, 0x70
	v_cndmask_b32_e32 v18, v2, v4, vcc
	v_add_u32_e32 v4, 21, v18
	v_or_b32_e32 v3, 0x800000, v28
	v_lshlrev_b64 v[31:32], v4, -1
	v_cndmask_b32_e32 v2, v3, v28, vcc
	v_mov_b32_e32 v3, v29
	v_add_u32_e32 v4, 20, v18
	v_bfi_b32 v31, v31, 0, v2
	v_lshlrev_b64 v[38:39], v4, 1
	v_lshrrev_b64 v[2:3], v18, v[2:3]
	v_bfi_b32 v32, v32, 0, 0
	v_cmp_eq_u64_e64 s[26:27], v[31:32], v[38:39]
	v_mov_b32_e32 v4, v3
	v_mov_b32_e32 v3, v2
	s_and_saveexec_b64 s[36:37], s[26:27]
; %bb.685:                              ;   in Loop: Header=BB2_133 Depth=3
	v_bfe_u32 v3, v2, 21, 1
	v_add_co_u32_e64 v3, s[26:27], v2, v3
	v_add_co_u32_e64 v3, s[26:27], -1, v3
; %bb.686:                              ;   in Loop: Header=BB2_133 Depth=3
	s_or_b64 exec, exec, s[36:37]
	v_add_u32_e32 v4, 0xffffff81, v16
	v_cndmask_b32_e32 v4, v4, v1, vcc
	v_lshrrev_b32_e32 v16, 23, v2
	v_add3_u32 v18, v18, v4, v16
	v_add_u32_e32 v16, 14, v18
	v_and_b32_e32 v3, 0x1fffff, v3
	v_add_u32_e32 v28, v3, v2
	v_cmp_ne_u32_e32 vcc, 0, v16
                                        ; implicit-def: $vgpr2_vgpr3
                                        ; implicit-def: $vgpr4
	s_and_saveexec_b64 s[26:27], vcc
	s_xor_b64 s[26:27], exec, s[26:27]
; %bb.687:                              ;   in Loop: Header=BB2_133 Depth=3
	v_cmp_lt_u64_e32 vcc, s[88:89], v[28:29]
	v_add_u32_e32 v2, 15, v18
	v_cndmask_b32_e32 v4, v16, v2, vcc
	v_cndmask_b32_e64 v2, 0, 1, vcc
	v_lshrrev_b64 v[2:3], v2, v[28:29]
; %bb.688:                              ;   in Loop: Header=BB2_133 Depth=3
	s_andn2_saveexec_b64 s[26:27], s[26:27]
; %bb.689:                              ;   in Loop: Header=BB2_133 Depth=3
	v_mov_b32_e32 v2, v28
	v_mov_b32_e32 v3, v29
	v_bfe_u32 v4, v28, 23, 1
; %bb.690:                              ;   in Loop: Header=BB2_133 Depth=3
	s_or_b64 exec, exec, s[26:27]
	v_lshrrev_b64 v[2:3], 21, v[2:3]
	v_cmp_gt_i32_e32 vcc, 32, v4
	v_cndmask_b32_e32 v3, 0, v3, vcc
	v_cndmask_b32_e32 v2, 3, v2, vcc
	v_cmp_eq_u64_e64 s[26:27], 0, v[2:3]
	v_min_i32_e32 v3, 31, v4
	v_lshlrev_b32_e32 v3, 2, v3
	v_cmp_eq_u32_e32 vcc, 0, v4
	v_and_b32_e32 v3, 0xfc, v3
	v_and_or_b32 v2, v2, 3, v3
	s_and_b64 s[26:27], vcc, s[26:27]
	v_cndmask_b32_e64 v2, v2, 0, s[26:27]
	v_or_b32_e32 v53, v2, v14
.LBB2_691:                              ;   in Loop: Header=BB2_133 Depth=3
	s_or_b64 exec, exec, s[34:35]
                                        ; implicit-def: $vgpr14
.LBB2_692:                              ;   in Loop: Header=BB2_133 Depth=3
	s_andn2_saveexec_b64 s[26:27], s[30:31]
; %bb.693:                              ;   in Loop: Header=BB2_133 Depth=3
	v_or_b32_e32 v53, 0x7b, v14
; %bb.694:                              ;   in Loop: Header=BB2_133 Depth=3
	s_or_b64 exec, exec, s[26:27]
                                        ; implicit-def: $vgpr2
.LBB2_695:                              ;   in Loop: Header=BB2_133 Depth=3
	s_andn2_saveexec_b64 s[26:27], s[94:95]
	s_cbranch_execz .LBB2_701
; %bb.696:                              ;   in Loop: Header=BB2_133 Depth=3
	v_cmp_ne_u64_e32 vcc, 0, v[28:29]
                                        ; implicit-def: $vgpr53
	s_and_saveexec_b64 s[94:95], vcc
	s_xor_b64 s[94:95], exec, s[94:95]
; %bb.697:                              ;   in Loop: Header=BB2_133 Depth=3
	v_or_b32_sdwa v53, v2, s47 dst_sel:DWORD dst_unused:UNUSED_PAD src0_sel:BYTE_3 src1_sel:DWORD
                                        ; implicit-def: $vgpr2
; %bb.698:                              ;   in Loop: Header=BB2_133 Depth=3
	s_andn2_saveexec_b64 s[94:95], s[94:95]
; %bb.699:                              ;   in Loop: Header=BB2_133 Depth=3
	v_cmp_lt_i32_e32 vcc, -1, v2
	v_cndmask_b32_e32 v53, v6, v22, vcc
; %bb.700:                              ;   in Loop: Header=BB2_133 Depth=3
	s_or_b64 exec, exec, s[94:95]
.LBB2_701:                              ;   in Loop: Header=BB2_133 Depth=3
	s_or_b64 exec, exec, s[26:27]
	v_mov_b32_e32 v28, v9
	v_cmp_ne_u16_sdwa s[94:95], v9, v29 src0_sel:BYTE_0 src1_sel:DWORD
	v_mov_b32_e32 v2, 0
	s_and_saveexec_b64 s[26:27], s[94:95]
	s_cbranch_execz .LBB2_709
; %bb.702:                              ;   in Loop: Header=BB2_133 Depth=3
	v_cmp_ne_u16_sdwa vcc, v9, s96 src0_sel:BYTE_0 src1_sel:DWORD
	v_bfrev_b32_e32 v2, 1
	s_and_saveexec_b64 s[94:95], vcc
	s_cbranch_execz .LBB2_708
; %bb.703:                              ;   in Loop: Header=BB2_133 Depth=3
	v_and_b32_e32 v2, 0x7c, v9
	v_and_b32_e32 v3, 3, v9
	v_cmp_ne_u32_e32 vcc, s85, v2
                                        ; implicit-def: $vgpr2
	s_and_saveexec_b64 s[30:31], vcc
	s_xor_b64 s[30:31], exec, s[30:31]
	s_cbranch_execz .LBB2_705
; %bb.704:                              ;   in Loop: Header=BB2_133 Depth=3
	v_ffbh_u32_e32 v4, v3
	v_min_u32_e32 v4, 32, v4
	v_bfe_u32 v2, v9, 2, 5
	v_subrev_u32_e32 v14, 29, v4
	v_lshlrev_b64 v[18:19], v14, v[28:29]
	v_sub_u32_e32 v4, 30, v4
	v_cmp_eq_u32_e32 vcc, 0, v2
	v_cndmask_b32_e32 v2, v2, v4, vcc
	v_lshlrev_b32_e32 v4, 24, v9
	v_and_b32_e32 v14, 3, v18
	v_and_b32_e32 v4, 0x80000000, v4
	v_cndmask_b32_e32 v3, v3, v14, vcc
	v_lshl_add_u32 v2, v2, 23, v4
	v_lshl_or_b32 v2, v3, 21, v2
	v_add_u32_e32 v2, 0x38000000, v2
                                        ; implicit-def: $vgpr3
.LBB2_705:                              ;   in Loop: Header=BB2_133 Depth=3
	s_andn2_saveexec_b64 s[30:31], s[30:31]
; %bb.706:                              ;   in Loop: Header=BB2_133 Depth=3
	v_cmp_gt_i16_sdwa vcc, sext(v9), v48 src0_sel:BYTE_0 src1_sel:DWORD
	v_cndmask_b32_e32 v2, v7, v0, vcc
	v_cmp_eq_u32_e32 vcc, 0, v3
	v_cndmask_b32_e32 v2, v35, v2, vcc
; %bb.707:                              ;   in Loop: Header=BB2_133 Depth=3
	s_or_b64 exec, exec, s[30:31]
.LBB2_708:                              ;   in Loop: Header=BB2_133 Depth=3
	s_or_b64 exec, exec, s[94:95]
.LBB2_709:                              ;   in Loop: Header=BB2_133 Depth=3
	s_or_b64 exec, exec, s[26:27]
	v_mul_f32_e32 v4, v30, v2
	v_and_b32_e32 v18, 0x7f800000, v4
	v_mov_b32_e32 v19, v29
	v_cmp_ne_u64_e32 vcc, s[76:77], v[18:19]
	v_and_b32_e32 v2, 0x7fffff, v4
	v_mov_b32_e32 v3, v29
                                        ; implicit-def: $vgpr16
	s_and_saveexec_b64 s[26:27], vcc
	s_xor_b64 s[94:95], exec, s[26:27]
	s_cbranch_execz .LBB2_723
; %bb.710:                              ;   in Loop: Header=BB2_133 Depth=3
	v_and_b32_e32 v18, 0x7fffffff, v4
	v_mov_b32_e32 v19, v29
	v_cmp_gt_u64_e32 vcc, s[78:79], v[18:19]
	v_and_b32_sdwa v14, v4, s96 dst_sel:DWORD dst_unused:UNUSED_PAD src0_sel:BYTE_3 src1_sel:DWORD
                                        ; implicit-def: $vgpr16
	s_and_saveexec_b64 s[26:27], vcc
	s_xor_b64 s[30:31], exec, s[26:27]
	s_cbranch_execz .LBB2_720
; %bb.711:                              ;   in Loop: Header=BB2_133 Depth=3
	v_mov_b32_e32 v16, 0
	v_cmp_ne_u32_e32 vcc, 0, v4
	s_and_saveexec_b64 s[34:35], vcc
	s_cbranch_execz .LBB2_719
; %bb.712:                              ;   in Loop: Header=BB2_133 Depth=3
	v_bfe_u32 v16, v4, 23, 8
	v_cmp_gt_u32_e64 s[26:27], s46, v16
	v_sub_u32_e32 v4, 0x71, v16
	v_cmp_eq_u32_e32 vcc, 0, v16
	v_cndmask_b32_e64 v4, 0, v4, s[26:27]
	v_mov_b32_e32 v18, 0x70
	v_cndmask_b32_e32 v18, v4, v18, vcc
	v_add_u32_e32 v4, 21, v18
	v_or_b32_e32 v19, 0x800000, v2
	v_lshlrev_b64 v[31:32], v4, -1
	v_cndmask_b32_e32 v2, v19, v2, vcc
	v_add_u32_e32 v4, 20, v18
	v_bfi_b32 v31, v31, 0, v2
	v_lshlrev_b64 v[38:39], v4, 1
	v_lshrrev_b64 v[2:3], v18, v[2:3]
	v_bfi_b32 v32, v32, 0, 0
	v_cmp_eq_u64_e64 s[26:27], v[31:32], v[38:39]
	v_mov_b32_e32 v4, v3
	v_mov_b32_e32 v3, v2
	s_and_saveexec_b64 s[36:37], s[26:27]
; %bb.713:                              ;   in Loop: Header=BB2_133 Depth=3
	v_bfe_u32 v3, v2, 21, 1
	v_add_co_u32_e64 v3, s[26:27], v2, v3
	v_add_co_u32_e64 v3, s[26:27], -1, v3
; %bb.714:                              ;   in Loop: Header=BB2_133 Depth=3
	s_or_b64 exec, exec, s[36:37]
	v_add_u32_e32 v4, 0xffffff81, v16
	v_cndmask_b32_e32 v4, v4, v1, vcc
	v_lshrrev_b32_e32 v16, 23, v2
	v_add3_u32 v18, v18, v4, v16
	v_add_u32_e32 v16, 14, v18
	v_and_b32_e32 v3, 0x1fffff, v3
	v_add_u32_e32 v2, v3, v2
	v_mov_b32_e32 v3, v29
	v_cmp_ne_u32_e32 vcc, 0, v16
                                        ; implicit-def: $vgpr4
	s_and_saveexec_b64 s[26:27], vcc
	s_xor_b64 s[26:27], exec, s[26:27]
; %bb.715:                              ;   in Loop: Header=BB2_133 Depth=3
	v_cmp_lt_u64_e32 vcc, s[88:89], v[2:3]
	v_add_u32_e32 v4, 15, v18
	v_cndmask_b32_e32 v4, v16, v4, vcc
	v_cndmask_b32_e64 v16, 0, 1, vcc
	v_lshrrev_b64 v[2:3], v16, v[2:3]
; %bb.716:                              ;   in Loop: Header=BB2_133 Depth=3
	s_andn2_saveexec_b64 s[26:27], s[26:27]
; %bb.717:                              ;   in Loop: Header=BB2_133 Depth=3
	v_bfe_u32 v4, v2, 23, 1
; %bb.718:                              ;   in Loop: Header=BB2_133 Depth=3
	s_or_b64 exec, exec, s[26:27]
	v_lshrrev_b64 v[2:3], 21, v[2:3]
	v_cmp_gt_i32_e32 vcc, 32, v4
	v_cndmask_b32_e32 v3, 0, v3, vcc
	v_cndmask_b32_e32 v2, 3, v2, vcc
	v_cmp_eq_u64_e64 s[26:27], 0, v[2:3]
	v_min_i32_e32 v3, 31, v4
	v_lshlrev_b32_e32 v3, 2, v3
	v_cmp_eq_u32_e32 vcc, 0, v4
	v_and_b32_e32 v3, 0xfc, v3
	v_and_or_b32 v2, v2, 3, v3
	s_and_b64 s[26:27], vcc, s[26:27]
	v_cndmask_b32_e64 v2, v2, 0, s[26:27]
	v_or_b32_e32 v16, v2, v14
.LBB2_719:                              ;   in Loop: Header=BB2_133 Depth=3
	s_or_b64 exec, exec, s[34:35]
                                        ; implicit-def: $vgpr14
.LBB2_720:                              ;   in Loop: Header=BB2_133 Depth=3
	s_andn2_saveexec_b64 s[26:27], s[30:31]
; %bb.721:                              ;   in Loop: Header=BB2_133 Depth=3
	v_or_b32_e32 v16, 0x7b, v14
; %bb.722:                              ;   in Loop: Header=BB2_133 Depth=3
	s_or_b64 exec, exec, s[26:27]
                                        ; implicit-def: $vgpr4
                                        ; implicit-def: $vgpr2_vgpr3
.LBB2_723:                              ;   in Loop: Header=BB2_133 Depth=3
	s_andn2_saveexec_b64 s[26:27], s[94:95]
	s_cbranch_execz .LBB2_729
; %bb.724:                              ;   in Loop: Header=BB2_133 Depth=3
	v_cmp_ne_u64_e32 vcc, 0, v[2:3]
                                        ; implicit-def: $vgpr16
	s_and_saveexec_b64 s[94:95], vcc
	s_xor_b64 s[94:95], exec, s[94:95]
; %bb.725:                              ;   in Loop: Header=BB2_133 Depth=3
	v_or_b32_sdwa v16, v4, s47 dst_sel:DWORD dst_unused:UNUSED_PAD src0_sel:BYTE_3 src1_sel:DWORD
                                        ; implicit-def: $vgpr4
; %bb.726:                              ;   in Loop: Header=BB2_133 Depth=3
	s_andn2_saveexec_b64 s[94:95], s[94:95]
; %bb.727:                              ;   in Loop: Header=BB2_133 Depth=3
	v_cmp_lt_i32_e32 vcc, -1, v4
	v_cndmask_b32_e32 v16, v6, v22, vcc
; %bb.728:                              ;   in Loop: Header=BB2_133 Depth=3
	s_or_b64 exec, exec, s[94:95]
.LBB2_729:                              ;   in Loop: Header=BB2_133 Depth=3
	s_or_b64 exec, exec, s[26:27]
	v_lshrrev_b16_e32 v2, 8, v28
	v_cmp_ne_u16_e32 vcc, 0, v2
	v_mov_b32_e32 v3, 0
	s_and_saveexec_b64 s[26:27], vcc
	s_cbranch_execz .LBB2_737
; %bb.730:                              ;   in Loop: Header=BB2_133 Depth=3
	v_cmp_ne_u16_e32 vcc, s96, v2
	v_bfrev_b32_e32 v3, 1
	s_and_saveexec_b64 s[94:95], vcc
	s_cbranch_execz .LBB2_736
; %bb.731:                              ;   in Loop: Header=BB2_133 Depth=3
	v_and_b32_e32 v3, 0x7c, v2
	v_and_b32_e32 v4, 3, v2
	v_cmp_ne_u32_e32 vcc, s85, v3
                                        ; implicit-def: $vgpr3
	s_and_saveexec_b64 s[30:31], vcc
	s_xor_b64 s[30:31], exec, s[30:31]
	s_cbranch_execz .LBB2_733
; %bb.732:                              ;   in Loop: Header=BB2_133 Depth=3
	v_ffbh_u32_e32 v18, v4
	v_min_u32_e32 v18, 32, v18
	v_mov_b32_e32 v3, v29
	v_subrev_u32_e32 v19, 29, v18
	v_bfe_u32 v14, v2, 2, 5
	v_lshlrev_b64 v[2:3], v19, v[2:3]
	v_cmp_eq_u32_e32 vcc, 0, v14
	v_and_b32_e32 v2, 3, v2
	v_sub_u32_e32 v3, 30, v18
	v_cndmask_b32_e32 v2, v4, v2, vcc
	v_lshlrev_b32_e32 v4, 16, v28
	v_cndmask_b32_e32 v3, v14, v3, vcc
	v_and_b32_e32 v4, 0x80000000, v4
	v_lshl_add_u32 v3, v3, 23, v4
	v_lshl_or_b32 v2, v2, 21, v3
	v_add_u32_e32 v3, 0x38000000, v2
                                        ; implicit-def: $vgpr4
.LBB2_733:                              ;   in Loop: Header=BB2_133 Depth=3
	s_andn2_saveexec_b64 s[30:31], s[30:31]
; %bb.734:                              ;   in Loop: Header=BB2_133 Depth=3
	v_cmp_lt_i16_e32 vcc, -1, v28
	v_cndmask_b32_e32 v2, v7, v0, vcc
	v_cmp_eq_u32_e32 vcc, 0, v4
	v_cndmask_b32_e32 v3, v35, v2, vcc
; %bb.735:                              ;   in Loop: Header=BB2_133 Depth=3
	s_or_b64 exec, exec, s[30:31]
.LBB2_736:                              ;   in Loop: Header=BB2_133 Depth=3
	s_or_b64 exec, exec, s[94:95]
.LBB2_737:                              ;   in Loop: Header=BB2_133 Depth=3
	s_or_b64 exec, exec, s[26:27]
	v_mul_f32_e32 v2, v30, v3
	v_and_b32_e32 v3, 0x7f800000, v2
	v_mov_b32_e32 v4, v29
	v_cmp_ne_u64_e32 vcc, s[76:77], v[3:4]
	v_and_b32_e32 v28, 0x7fffff, v2
                                        ; implicit-def: $vgpr18
	s_and_saveexec_b64 s[26:27], vcc
	s_xor_b64 s[94:95], exec, s[26:27]
	s_cbranch_execz .LBB2_751
; %bb.738:                              ;   in Loop: Header=BB2_133 Depth=3
	v_and_b32_e32 v3, 0x7fffffff, v2
	v_mov_b32_e32 v4, v29
	v_cmp_gt_u64_e32 vcc, s[78:79], v[3:4]
	v_and_b32_sdwa v14, v2, s96 dst_sel:DWORD dst_unused:UNUSED_PAD src0_sel:BYTE_3 src1_sel:DWORD
                                        ; implicit-def: $vgpr18
	s_and_saveexec_b64 s[26:27], vcc
	s_xor_b64 s[30:31], exec, s[26:27]
	s_cbranch_execz .LBB2_748
; %bb.739:                              ;   in Loop: Header=BB2_133 Depth=3
	v_mov_b32_e32 v18, 0
	v_cmp_ne_u32_e32 vcc, 0, v2
	s_and_saveexec_b64 s[34:35], vcc
	s_cbranch_execz .LBB2_747
; %bb.740:                              ;   in Loop: Header=BB2_133 Depth=3
	v_bfe_u32 v18, v2, 23, 8
	v_cmp_gt_u32_e64 s[26:27], s46, v18
	v_sub_u32_e32 v2, 0x71, v18
	v_cmp_eq_u32_e32 vcc, 0, v18
	v_cndmask_b32_e64 v2, 0, v2, s[26:27]
	v_mov_b32_e32 v4, 0x70
	v_cndmask_b32_e32 v19, v2, v4, vcc
	v_add_u32_e32 v4, 21, v19
	v_or_b32_e32 v3, 0x800000, v28
	v_lshlrev_b64 v[31:32], v4, -1
	v_cndmask_b32_e32 v2, v3, v28, vcc
	v_mov_b32_e32 v3, v29
	v_add_u32_e32 v4, 20, v19
	v_bfi_b32 v31, v31, 0, v2
	v_lshlrev_b64 v[38:39], v4, 1
	v_lshrrev_b64 v[2:3], v19, v[2:3]
	v_bfi_b32 v32, v32, 0, 0
	v_cmp_eq_u64_e64 s[26:27], v[31:32], v[38:39]
	v_mov_b32_e32 v4, v3
	v_mov_b32_e32 v3, v2
	s_and_saveexec_b64 s[36:37], s[26:27]
; %bb.741:                              ;   in Loop: Header=BB2_133 Depth=3
	v_bfe_u32 v3, v2, 21, 1
	v_add_co_u32_e64 v3, s[26:27], v2, v3
	v_add_co_u32_e64 v3, s[26:27], -1, v3
; %bb.742:                              ;   in Loop: Header=BB2_133 Depth=3
	s_or_b64 exec, exec, s[36:37]
	v_add_u32_e32 v4, 0xffffff81, v18
	v_cndmask_b32_e32 v4, v4, v1, vcc
	v_lshrrev_b32_e32 v18, 23, v2
	v_add3_u32 v19, v19, v4, v18
	v_add_u32_e32 v18, 14, v19
	v_and_b32_e32 v3, 0x1fffff, v3
	v_add_u32_e32 v28, v3, v2
	v_cmp_ne_u32_e32 vcc, 0, v18
                                        ; implicit-def: $vgpr2_vgpr3
                                        ; implicit-def: $vgpr4
	s_and_saveexec_b64 s[26:27], vcc
	s_xor_b64 s[26:27], exec, s[26:27]
; %bb.743:                              ;   in Loop: Header=BB2_133 Depth=3
	v_cmp_lt_u64_e32 vcc, s[88:89], v[28:29]
	v_add_u32_e32 v2, 15, v19
	v_cndmask_b32_e32 v4, v18, v2, vcc
	v_cndmask_b32_e64 v2, 0, 1, vcc
	v_lshrrev_b64 v[2:3], v2, v[28:29]
; %bb.744:                              ;   in Loop: Header=BB2_133 Depth=3
	s_andn2_saveexec_b64 s[26:27], s[26:27]
; %bb.745:                              ;   in Loop: Header=BB2_133 Depth=3
	v_mov_b32_e32 v2, v28
	v_mov_b32_e32 v3, v29
	v_bfe_u32 v4, v28, 23, 1
; %bb.746:                              ;   in Loop: Header=BB2_133 Depth=3
	s_or_b64 exec, exec, s[26:27]
	v_lshrrev_b64 v[2:3], 21, v[2:3]
	v_cmp_gt_i32_e32 vcc, 32, v4
	v_cndmask_b32_e32 v3, 0, v3, vcc
	v_cndmask_b32_e32 v2, 3, v2, vcc
	v_cmp_eq_u64_e64 s[26:27], 0, v[2:3]
	v_min_i32_e32 v3, 31, v4
	v_lshlrev_b32_e32 v3, 2, v3
	v_cmp_eq_u32_e32 vcc, 0, v4
	v_and_b32_e32 v3, 0xfc, v3
	v_and_or_b32 v2, v2, 3, v3
	s_and_b64 s[26:27], vcc, s[26:27]
	v_cndmask_b32_e64 v2, v2, 0, s[26:27]
	v_or_b32_e32 v18, v2, v14
.LBB2_747:                              ;   in Loop: Header=BB2_133 Depth=3
	s_or_b64 exec, exec, s[34:35]
                                        ; implicit-def: $vgpr14
.LBB2_748:                              ;   in Loop: Header=BB2_133 Depth=3
	s_andn2_saveexec_b64 s[26:27], s[30:31]
; %bb.749:                              ;   in Loop: Header=BB2_133 Depth=3
	v_or_b32_e32 v18, 0x7b, v14
; %bb.750:                              ;   in Loop: Header=BB2_133 Depth=3
	s_or_b64 exec, exec, s[26:27]
                                        ; implicit-def: $vgpr2
.LBB2_751:                              ;   in Loop: Header=BB2_133 Depth=3
	s_andn2_saveexec_b64 s[26:27], s[94:95]
	s_cbranch_execz .LBB2_757
; %bb.752:                              ;   in Loop: Header=BB2_133 Depth=3
	v_cmp_ne_u64_e32 vcc, 0, v[28:29]
                                        ; implicit-def: $vgpr18
	s_and_saveexec_b64 s[94:95], vcc
	s_xor_b64 s[94:95], exec, s[94:95]
; %bb.753:                              ;   in Loop: Header=BB2_133 Depth=3
	v_or_b32_sdwa v18, v2, s47 dst_sel:DWORD dst_unused:UNUSED_PAD src0_sel:BYTE_3 src1_sel:DWORD
                                        ; implicit-def: $vgpr2
; %bb.754:                              ;   in Loop: Header=BB2_133 Depth=3
	s_andn2_saveexec_b64 s[94:95], s[94:95]
; %bb.755:                              ;   in Loop: Header=BB2_133 Depth=3
	v_cmp_lt_i32_e32 vcc, -1, v2
	v_cndmask_b32_e32 v18, v6, v22, vcc
; %bb.756:                              ;   in Loop: Header=BB2_133 Depth=3
	s_or_b64 exec, exec, s[94:95]
.LBB2_757:                              ;   in Loop: Header=BB2_133 Depth=3
	s_or_b64 exec, exec, s[26:27]
	v_lshrrev_b32_e32 v2, 16, v9
	v_cmp_ne_u16_sdwa s[94:95], v2, v29 src0_sel:BYTE_0 src1_sel:DWORD
	v_mov_b32_e32 v3, 0
	s_and_saveexec_b64 s[26:27], s[94:95]
	s_cbranch_execz .LBB2_765
; %bb.758:                              ;   in Loop: Header=BB2_133 Depth=3
	v_cmp_ne_u16_sdwa vcc, v2, s96 src0_sel:BYTE_0 src1_sel:DWORD
	v_bfrev_b32_e32 v3, 1
	s_and_saveexec_b64 s[94:95], vcc
	s_cbranch_execz .LBB2_764
; %bb.759:                              ;   in Loop: Header=BB2_133 Depth=3
	v_and_b32_e32 v3, 0x7c0000, v9
	v_bfe_u32 v4, v9, 16, 2
	v_cmp_ne_u32_e32 vcc, s44, v3
                                        ; implicit-def: $vgpr3
	s_and_saveexec_b64 s[30:31], vcc
	s_xor_b64 s[30:31], exec, s[30:31]
	s_cbranch_execz .LBB2_761
; %bb.760:                              ;   in Loop: Header=BB2_133 Depth=3
	v_ffbh_u32_e32 v3, v4
	v_min_u32_e32 v19, 32, v3
	v_subrev_u32_e32 v3, 29, v19
	v_lshlrev_b64 v[2:3], v3, v[2:3]
	v_bfe_u32 v14, v9, 18, 5
	v_and_b32_e32 v2, 3, v2
	v_cmp_eq_u32_e32 vcc, 0, v14
	v_sub_u32_e32 v3, 30, v19
	v_cndmask_b32_e32 v2, v4, v2, vcc
	v_lshlrev_b32_e32 v4, 8, v9
	v_cndmask_b32_e32 v3, v14, v3, vcc
	v_and_b32_e32 v4, 0x80000000, v4
	v_lshl_add_u32 v3, v3, 23, v4
	v_lshl_or_b32 v2, v2, 21, v3
	v_add_u32_e32 v3, 0x38000000, v2
                                        ; implicit-def: $vgpr4
                                        ; implicit-def: $vgpr2
.LBB2_761:                              ;   in Loop: Header=BB2_133 Depth=3
	s_andn2_saveexec_b64 s[30:31], s[30:31]
; %bb.762:                              ;   in Loop: Header=BB2_133 Depth=3
	v_cmp_gt_i16_sdwa vcc, sext(v2), v48 src0_sel:BYTE_0 src1_sel:DWORD
	v_cndmask_b32_e32 v2, v7, v0, vcc
	v_cmp_eq_u32_e32 vcc, 0, v4
	v_cndmask_b32_e32 v3, v35, v2, vcc
; %bb.763:                              ;   in Loop: Header=BB2_133 Depth=3
	s_or_b64 exec, exec, s[30:31]
.LBB2_764:                              ;   in Loop: Header=BB2_133 Depth=3
	s_or_b64 exec, exec, s[94:95]
.LBB2_765:                              ;   in Loop: Header=BB2_133 Depth=3
	s_or_b64 exec, exec, s[26:27]
	v_mul_f32_e32 v2, v30, v3
	v_and_b32_e32 v3, 0x7f800000, v2
	v_mov_b32_e32 v4, v29
	v_cmp_ne_u64_e32 vcc, s[76:77], v[3:4]
	v_and_b32_e32 v28, 0x7fffff, v2
                                        ; implicit-def: $vgpr14
	s_and_saveexec_b64 s[26:27], vcc
	s_xor_b64 s[94:95], exec, s[26:27]
	s_cbranch_execz .LBB2_779
; %bb.766:                              ;   in Loop: Header=BB2_133 Depth=3
	v_and_b32_e32 v3, 0x7fffffff, v2
	v_mov_b32_e32 v4, v29
	v_cmp_gt_u64_e32 vcc, s[78:79], v[3:4]
	v_and_b32_sdwa v19, v2, s96 dst_sel:DWORD dst_unused:UNUSED_PAD src0_sel:BYTE_3 src1_sel:DWORD
                                        ; implicit-def: $vgpr14
	s_and_saveexec_b64 s[26:27], vcc
	s_xor_b64 s[30:31], exec, s[26:27]
	s_cbranch_execz .LBB2_776
; %bb.767:                              ;   in Loop: Header=BB2_133 Depth=3
	v_mov_b32_e32 v14, 0
	v_cmp_ne_u32_e32 vcc, 0, v2
	s_and_saveexec_b64 s[34:35], vcc
	s_cbranch_execz .LBB2_775
; %bb.768:                              ;   in Loop: Header=BB2_133 Depth=3
	v_bfe_u32 v14, v2, 23, 8
	v_cmp_gt_u32_e64 s[26:27], s46, v14
	v_sub_u32_e32 v2, 0x71, v14
	v_cmp_eq_u32_e32 vcc, 0, v14
	v_cndmask_b32_e64 v2, 0, v2, s[26:27]
	v_mov_b32_e32 v4, 0x70
	v_cndmask_b32_e32 v31, v2, v4, vcc
	v_add_u32_e32 v4, 21, v31
	v_or_b32_e32 v3, 0x800000, v28
	v_lshlrev_b64 v[32:33], v4, -1
	v_cndmask_b32_e32 v2, v3, v28, vcc
	v_mov_b32_e32 v3, v29
	v_add_u32_e32 v4, 20, v31
	v_bfi_b32 v32, v32, 0, v2
	v_lshlrev_b64 v[38:39], v4, 1
	v_lshrrev_b64 v[2:3], v31, v[2:3]
	v_bfi_b32 v33, v33, 0, 0
	v_cmp_eq_u64_e64 s[26:27], v[32:33], v[38:39]
	v_mov_b32_e32 v4, v3
	v_mov_b32_e32 v3, v2
	s_and_saveexec_b64 s[36:37], s[26:27]
; %bb.769:                              ;   in Loop: Header=BB2_133 Depth=3
	v_bfe_u32 v3, v2, 21, 1
	v_add_co_u32_e64 v3, s[26:27], v2, v3
	v_add_co_u32_e64 v3, s[26:27], -1, v3
; %bb.770:                              ;   in Loop: Header=BB2_133 Depth=3
	s_or_b64 exec, exec, s[36:37]
	v_add_u32_e32 v4, 0xffffff81, v14
	v_cndmask_b32_e32 v4, v4, v1, vcc
	v_lshrrev_b32_e32 v14, 23, v2
	v_add3_u32 v31, v31, v4, v14
	v_add_u32_e32 v14, 14, v31
	v_and_b32_e32 v3, 0x1fffff, v3
	v_add_u32_e32 v28, v3, v2
	v_cmp_ne_u32_e32 vcc, 0, v14
                                        ; implicit-def: $vgpr2_vgpr3
                                        ; implicit-def: $vgpr4
	s_and_saveexec_b64 s[26:27], vcc
	s_xor_b64 s[26:27], exec, s[26:27]
; %bb.771:                              ;   in Loop: Header=BB2_133 Depth=3
	v_cmp_lt_u64_e32 vcc, s[88:89], v[28:29]
	v_add_u32_e32 v2, 15, v31
	v_cndmask_b32_e32 v4, v14, v2, vcc
	v_cndmask_b32_e64 v2, 0, 1, vcc
	v_lshrrev_b64 v[2:3], v2, v[28:29]
; %bb.772:                              ;   in Loop: Header=BB2_133 Depth=3
	s_andn2_saveexec_b64 s[26:27], s[26:27]
; %bb.773:                              ;   in Loop: Header=BB2_133 Depth=3
	v_mov_b32_e32 v2, v28
	v_mov_b32_e32 v3, v29
	v_bfe_u32 v4, v28, 23, 1
; %bb.774:                              ;   in Loop: Header=BB2_133 Depth=3
	s_or_b64 exec, exec, s[26:27]
	v_lshrrev_b64 v[2:3], 21, v[2:3]
	v_cmp_gt_i32_e32 vcc, 32, v4
	v_cndmask_b32_e32 v3, 0, v3, vcc
	v_cndmask_b32_e32 v2, 3, v2, vcc
	v_cmp_eq_u64_e64 s[26:27], 0, v[2:3]
	v_min_i32_e32 v3, 31, v4
	v_lshlrev_b32_e32 v3, 2, v3
	v_cmp_eq_u32_e32 vcc, 0, v4
	v_and_b32_e32 v3, 0xfc, v3
	v_and_or_b32 v2, v2, 3, v3
	s_and_b64 s[26:27], vcc, s[26:27]
	v_cndmask_b32_e64 v2, v2, 0, s[26:27]
	v_or_b32_e32 v14, v2, v19
.LBB2_775:                              ;   in Loop: Header=BB2_133 Depth=3
	s_or_b64 exec, exec, s[34:35]
                                        ; implicit-def: $vgpr19
.LBB2_776:                              ;   in Loop: Header=BB2_133 Depth=3
	s_andn2_saveexec_b64 s[26:27], s[30:31]
; %bb.777:                              ;   in Loop: Header=BB2_133 Depth=3
	v_or_b32_e32 v14, 0x7b, v19
; %bb.778:                              ;   in Loop: Header=BB2_133 Depth=3
	s_or_b64 exec, exec, s[26:27]
                                        ; implicit-def: $vgpr2
.LBB2_779:                              ;   in Loop: Header=BB2_133 Depth=3
	s_andn2_saveexec_b64 s[26:27], s[94:95]
	s_cbranch_execz .LBB2_785
; %bb.780:                              ;   in Loop: Header=BB2_133 Depth=3
	v_cmp_ne_u64_e32 vcc, 0, v[28:29]
                                        ; implicit-def: $vgpr14
	s_and_saveexec_b64 s[94:95], vcc
	s_xor_b64 s[94:95], exec, s[94:95]
; %bb.781:                              ;   in Loop: Header=BB2_133 Depth=3
	v_or_b32_sdwa v14, v2, s47 dst_sel:DWORD dst_unused:UNUSED_PAD src0_sel:BYTE_3 src1_sel:DWORD
                                        ; implicit-def: $vgpr2
; %bb.782:                              ;   in Loop: Header=BB2_133 Depth=3
	s_andn2_saveexec_b64 s[94:95], s[94:95]
; %bb.783:                              ;   in Loop: Header=BB2_133 Depth=3
	v_cmp_lt_i32_e32 vcc, -1, v2
	v_cndmask_b32_e32 v14, v6, v22, vcc
; %bb.784:                              ;   in Loop: Header=BB2_133 Depth=3
	s_or_b64 exec, exec, s[94:95]
.LBB2_785:                              ;   in Loop: Header=BB2_133 Depth=3
	s_or_b64 exec, exec, s[26:27]
	v_cmp_lt_u64_e32 vcc, s[56:57], v[8:9]
	v_mov_b32_e32 v3, 0
	s_and_saveexec_b64 s[26:27], vcc
	s_cbranch_execz .LBB2_793
; %bb.786:                              ;   in Loop: Header=BB2_133 Depth=3
	v_lshrrev_b32_e32 v2, 24, v9
	v_cmp_ne_u32_e32 vcc, s96, v2
	v_bfrev_b32_e32 v3, 1
	s_and_saveexec_b64 s[94:95], vcc
	s_cbranch_execz .LBB2_792
; %bb.787:                              ;   in Loop: Header=BB2_133 Depth=3
	v_and_b32_e32 v3, 0x7c000000, v9
	v_bfe_u32 v4, v9, 24, 2
	v_cmp_ne_u32_e32 vcc, s45, v3
                                        ; implicit-def: $vgpr3
	s_and_saveexec_b64 s[30:31], vcc
	s_xor_b64 s[30:31], exec, s[30:31]
	s_cbranch_execz .LBB2_789
; %bb.788:                              ;   in Loop: Header=BB2_133 Depth=3
	v_ffbh_u32_e32 v3, v4
	v_min_u32_e32 v28, 32, v3
	v_subrev_u32_e32 v3, 29, v28
	v_lshlrev_b64 v[2:3], v3, v[2:3]
	v_bfe_u32 v19, v9, 26, 5
	v_sub_u32_e32 v3, 30, v28
	v_and_b32_e32 v2, 3, v2
	v_cmp_eq_u32_e32 vcc, 0, v19
	v_cndmask_b32_e32 v3, v19, v3, vcc
	v_cndmask_b32_e32 v2, v4, v2, vcc
	v_and_b32_e32 v4, 0x80000000, v9
	v_lshl_add_u32 v3, v3, 23, v4
	v_lshl_or_b32 v2, v2, 21, v3
	v_add_u32_e32 v3, 0x38000000, v2
                                        ; implicit-def: $vgpr4
.LBB2_789:                              ;   in Loop: Header=BB2_133 Depth=3
	s_andn2_saveexec_b64 s[30:31], s[30:31]
; %bb.790:                              ;   in Loop: Header=BB2_133 Depth=3
	v_cmp_lt_i64_e32 vcc, -1, v[8:9]
	v_cndmask_b32_e32 v2, v7, v0, vcc
	v_cmp_eq_u32_e32 vcc, 0, v4
	v_cndmask_b32_e32 v3, v35, v2, vcc
; %bb.791:                              ;   in Loop: Header=BB2_133 Depth=3
	s_or_b64 exec, exec, s[30:31]
.LBB2_792:                              ;   in Loop: Header=BB2_133 Depth=3
	s_or_b64 exec, exec, s[94:95]
.LBB2_793:                              ;   in Loop: Header=BB2_133 Depth=3
	s_or_b64 exec, exec, s[26:27]
	v_mul_f32_e32 v2, v30, v3
	v_and_b32_e32 v3, 0x7f800000, v2
	v_mov_b32_e32 v4, v29
	v_cmp_ne_u64_e32 vcc, s[76:77], v[3:4]
	v_and_b32_e32 v28, 0x7fffff, v2
                                        ; implicit-def: $vgpr8
	s_and_saveexec_b64 s[26:27], vcc
	s_xor_b64 s[94:95], exec, s[26:27]
	s_cbranch_execz .LBB2_807
; %bb.794:                              ;   in Loop: Header=BB2_133 Depth=3
	v_and_b32_e32 v3, 0x7fffffff, v2
	v_mov_b32_e32 v4, v29
	v_cmp_gt_u64_e32 vcc, s[78:79], v[3:4]
	v_and_b32_sdwa v9, v2, s96 dst_sel:DWORD dst_unused:UNUSED_PAD src0_sel:BYTE_3 src1_sel:DWORD
                                        ; implicit-def: $vgpr8
	s_and_saveexec_b64 s[26:27], vcc
	s_xor_b64 s[30:31], exec, s[26:27]
	s_cbranch_execz .LBB2_804
; %bb.795:                              ;   in Loop: Header=BB2_133 Depth=3
	v_mov_b32_e32 v8, 0
	v_cmp_ne_u32_e32 vcc, 0, v2
	s_and_saveexec_b64 s[34:35], vcc
	s_cbranch_execz .LBB2_803
; %bb.796:                              ;   in Loop: Header=BB2_133 Depth=3
	v_bfe_u32 v8, v2, 23, 8
	v_cmp_gt_u32_e64 s[26:27], s46, v8
	v_sub_u32_e32 v2, 0x71, v8
	v_cmp_eq_u32_e32 vcc, 0, v8
	v_cndmask_b32_e64 v2, 0, v2, s[26:27]
	v_mov_b32_e32 v4, 0x70
	v_cndmask_b32_e32 v19, v2, v4, vcc
	v_add_u32_e32 v4, 21, v19
	v_or_b32_e32 v3, 0x800000, v28
	v_lshlrev_b64 v[31:32], v4, -1
	v_cndmask_b32_e32 v2, v3, v28, vcc
	v_mov_b32_e32 v3, v29
	v_add_u32_e32 v4, 20, v19
	v_bfi_b32 v31, v31, 0, v2
	v_lshlrev_b64 v[38:39], v4, 1
	v_lshrrev_b64 v[2:3], v19, v[2:3]
	v_bfi_b32 v32, v32, 0, 0
	v_cmp_eq_u64_e64 s[26:27], v[31:32], v[38:39]
	v_mov_b32_e32 v4, v3
	v_mov_b32_e32 v3, v2
	s_and_saveexec_b64 s[36:37], s[26:27]
; %bb.797:                              ;   in Loop: Header=BB2_133 Depth=3
	v_bfe_u32 v3, v2, 21, 1
	v_add_co_u32_e64 v3, s[26:27], v2, v3
	v_add_co_u32_e64 v3, s[26:27], -1, v3
; %bb.798:                              ;   in Loop: Header=BB2_133 Depth=3
	s_or_b64 exec, exec, s[36:37]
	v_add_u32_e32 v4, 0xffffff81, v8
	v_cndmask_b32_e32 v4, v4, v1, vcc
	v_lshrrev_b32_e32 v8, 23, v2
	v_add3_u32 v19, v19, v4, v8
	v_add_u32_e32 v8, 14, v19
	v_and_b32_e32 v3, 0x1fffff, v3
	v_add_u32_e32 v28, v3, v2
	v_cmp_ne_u32_e32 vcc, 0, v8
                                        ; implicit-def: $vgpr2_vgpr3
                                        ; implicit-def: $vgpr4
	s_and_saveexec_b64 s[26:27], vcc
	s_xor_b64 s[26:27], exec, s[26:27]
; %bb.799:                              ;   in Loop: Header=BB2_133 Depth=3
	v_cmp_lt_u64_e32 vcc, s[88:89], v[28:29]
	v_add_u32_e32 v2, 15, v19
	v_cndmask_b32_e32 v4, v8, v2, vcc
	v_cndmask_b32_e64 v2, 0, 1, vcc
	v_lshrrev_b64 v[2:3], v2, v[28:29]
; %bb.800:                              ;   in Loop: Header=BB2_133 Depth=3
	s_andn2_saveexec_b64 s[26:27], s[26:27]
; %bb.801:                              ;   in Loop: Header=BB2_133 Depth=3
	v_mov_b32_e32 v2, v28
	v_mov_b32_e32 v3, v29
	v_bfe_u32 v4, v28, 23, 1
; %bb.802:                              ;   in Loop: Header=BB2_133 Depth=3
	s_or_b64 exec, exec, s[26:27]
	v_lshrrev_b64 v[2:3], 21, v[2:3]
	v_cmp_gt_i32_e32 vcc, 32, v4
	v_cndmask_b32_e32 v3, 0, v3, vcc
	v_cndmask_b32_e32 v2, 3, v2, vcc
	v_cmp_eq_u64_e64 s[26:27], 0, v[2:3]
	v_min_i32_e32 v3, 31, v4
	v_lshlrev_b32_e32 v3, 2, v3
	v_cmp_eq_u32_e32 vcc, 0, v4
	v_and_b32_e32 v3, 0xfc, v3
	v_and_or_b32 v2, v2, 3, v3
	s_and_b64 s[26:27], vcc, s[26:27]
	v_cndmask_b32_e64 v2, v2, 0, s[26:27]
	v_or_b32_e32 v8, v2, v9
.LBB2_803:                              ;   in Loop: Header=BB2_133 Depth=3
	s_or_b64 exec, exec, s[34:35]
                                        ; implicit-def: $vgpr9
.LBB2_804:                              ;   in Loop: Header=BB2_133 Depth=3
	s_andn2_saveexec_b64 s[26:27], s[30:31]
; %bb.805:                              ;   in Loop: Header=BB2_133 Depth=3
	v_or_b32_e32 v8, 0x7b, v9
; %bb.806:                              ;   in Loop: Header=BB2_133 Depth=3
	s_or_b64 exec, exec, s[26:27]
                                        ; implicit-def: $vgpr2
.LBB2_807:                              ;   in Loop: Header=BB2_133 Depth=3
	s_andn2_saveexec_b64 s[26:27], s[94:95]
	s_cbranch_execz .LBB2_813
; %bb.808:                              ;   in Loop: Header=BB2_133 Depth=3
	v_cmp_ne_u64_e32 vcc, 0, v[28:29]
                                        ; implicit-def: $vgpr8
	s_and_saveexec_b64 s[94:95], vcc
	s_xor_b64 s[94:95], exec, s[94:95]
; %bb.809:                              ;   in Loop: Header=BB2_133 Depth=3
	v_or_b32_sdwa v8, v2, s47 dst_sel:DWORD dst_unused:UNUSED_PAD src0_sel:BYTE_3 src1_sel:DWORD
                                        ; implicit-def: $vgpr2
; %bb.810:                              ;   in Loop: Header=BB2_133 Depth=3
	s_andn2_saveexec_b64 s[94:95], s[94:95]
; %bb.811:                              ;   in Loop: Header=BB2_133 Depth=3
	v_cmp_lt_i32_e32 vcc, -1, v2
	v_cndmask_b32_e32 v8, v6, v22, vcc
; %bb.812:                              ;   in Loop: Header=BB2_133 Depth=3
	s_or_b64 exec, exec, s[94:95]
.LBB2_813:                              ;   in Loop: Header=BB2_133 Depth=3
	s_or_b64 exec, exec, s[26:27]
	v_cmp_ne_u16_sdwa s[94:95], v10, v29 src0_sel:BYTE_0 src1_sel:DWORD
	v_mov_b32_e32 v2, 0
	s_and_saveexec_b64 s[26:27], s[94:95]
	s_cbranch_execz .LBB2_821
; %bb.814:                              ;   in Loop: Header=BB2_133 Depth=3
	v_cmp_ne_u16_sdwa vcc, sext(v10), s97 src0_sel:BYTE_0 src1_sel:DWORD
	v_bfrev_b32_e32 v2, 1
	s_and_saveexec_b64 s[94:95], vcc
	s_cbranch_execz .LBB2_820
; %bb.815:                              ;   in Loop: Header=BB2_133 Depth=3
	v_and_b32_e32 v2, 0x7c, v10
	v_and_b32_e32 v3, 3, v10
	v_cmp_ne_u32_e32 vcc, s85, v2
                                        ; implicit-def: $vgpr2
	s_and_saveexec_b64 s[30:31], vcc
	s_xor_b64 s[30:31], exec, s[30:31]
	s_cbranch_execz .LBB2_817
; %bb.816:                              ;   in Loop: Header=BB2_133 Depth=3
	v_ffbh_u32_e32 v4, v3
	v_min_u32_e32 v4, 32, v4
	v_bfe_u32 v2, v10, 2, 5
	v_subrev_u32_e32 v9, 29, v4
	v_lshlrev_b64 v[31:32], v9, v[10:11]
	v_sub_u32_e32 v4, 30, v4
	v_cmp_eq_u32_e32 vcc, 0, v2
	v_cndmask_b32_e32 v2, v2, v4, vcc
	v_lshlrev_b32_e32 v4, 24, v10
	v_and_b32_e32 v9, 3, v31
	v_and_b32_e32 v4, 0x80000000, v4
	v_cndmask_b32_e32 v3, v3, v9, vcc
	v_lshl_add_u32 v2, v2, 23, v4
	v_lshl_or_b32 v2, v3, 21, v2
	v_add_u32_e32 v2, 0x38000000, v2
                                        ; implicit-def: $vgpr3
.LBB2_817:                              ;   in Loop: Header=BB2_133 Depth=3
	s_andn2_saveexec_b64 s[30:31], s[30:31]
; %bb.818:                              ;   in Loop: Header=BB2_133 Depth=3
	v_cmp_gt_i16_sdwa vcc, sext(v10), v48 src0_sel:BYTE_0 src1_sel:DWORD
	v_cndmask_b32_e32 v2, v7, v0, vcc
	v_cmp_eq_u32_e32 vcc, 0, v3
	v_cndmask_b32_e32 v2, v35, v2, vcc
; %bb.819:                              ;   in Loop: Header=BB2_133 Depth=3
	s_or_b64 exec, exec, s[30:31]
.LBB2_820:                              ;   in Loop: Header=BB2_133 Depth=3
	s_or_b64 exec, exec, s[94:95]
.LBB2_821:                              ;   in Loop: Header=BB2_133 Depth=3
	s_or_b64 exec, exec, s[26:27]
	v_mul_f32_e32 v2, v30, v2
	v_and_b32_e32 v3, 0x7f800000, v2
	v_mov_b32_e32 v4, v29
	v_cmp_ne_u64_e32 vcc, s[76:77], v[3:4]
	v_and_b32_e32 v28, 0x7fffff, v2
                                        ; implicit-def: $vgpr9
	s_and_saveexec_b64 s[26:27], vcc
	s_xor_b64 s[94:95], exec, s[26:27]
	s_cbranch_execz .LBB2_835
; %bb.822:                              ;   in Loop: Header=BB2_133 Depth=3
	v_and_b32_e32 v3, 0x7fffffff, v2
	v_mov_b32_e32 v4, v29
	v_cmp_gt_u64_e32 vcc, s[78:79], v[3:4]
	v_and_b32_sdwa v19, v2, s96 dst_sel:DWORD dst_unused:UNUSED_PAD src0_sel:BYTE_3 src1_sel:DWORD
                                        ; implicit-def: $vgpr9
	s_and_saveexec_b64 s[26:27], vcc
	s_xor_b64 s[30:31], exec, s[26:27]
	s_cbranch_execz .LBB2_832
; %bb.823:                              ;   in Loop: Header=BB2_133 Depth=3
	v_mov_b32_e32 v9, 0
	v_cmp_ne_u32_e32 vcc, 0, v2
	s_and_saveexec_b64 s[34:35], vcc
	s_cbranch_execz .LBB2_831
; %bb.824:                              ;   in Loop: Header=BB2_133 Depth=3
	v_bfe_u32 v9, v2, 23, 8
	v_cmp_gt_u32_e64 s[26:27], s46, v9
	v_sub_u32_e32 v2, 0x71, v9
	v_cmp_eq_u32_e32 vcc, 0, v9
	v_cndmask_b32_e64 v2, 0, v2, s[26:27]
	v_mov_b32_e32 v4, 0x70
	v_cndmask_b32_e32 v31, v2, v4, vcc
	v_add_u32_e32 v4, 21, v31
	v_or_b32_e32 v3, 0x800000, v28
	v_lshlrev_b64 v[32:33], v4, -1
	v_cndmask_b32_e32 v2, v3, v28, vcc
	v_mov_b32_e32 v3, v29
	v_add_u32_e32 v4, 20, v31
	v_bfi_b32 v32, v32, 0, v2
	v_lshlrev_b64 v[38:39], v4, 1
	v_lshrrev_b64 v[2:3], v31, v[2:3]
	v_bfi_b32 v33, v33, 0, 0
	v_cmp_eq_u64_e64 s[26:27], v[32:33], v[38:39]
	v_mov_b32_e32 v4, v3
	v_mov_b32_e32 v3, v2
	s_and_saveexec_b64 s[36:37], s[26:27]
; %bb.825:                              ;   in Loop: Header=BB2_133 Depth=3
	v_bfe_u32 v3, v2, 21, 1
	v_add_co_u32_e64 v3, s[26:27], v2, v3
	v_add_co_u32_e64 v3, s[26:27], -1, v3
; %bb.826:                              ;   in Loop: Header=BB2_133 Depth=3
	s_or_b64 exec, exec, s[36:37]
	v_add_u32_e32 v4, 0xffffff81, v9
	v_cndmask_b32_e32 v4, v4, v1, vcc
	v_lshrrev_b32_e32 v9, 23, v2
	v_add3_u32 v31, v31, v4, v9
	v_add_u32_e32 v9, 14, v31
	v_and_b32_e32 v3, 0x1fffff, v3
	v_add_u32_e32 v28, v3, v2
	v_cmp_ne_u32_e32 vcc, 0, v9
                                        ; implicit-def: $vgpr2_vgpr3
                                        ; implicit-def: $vgpr4
	s_and_saveexec_b64 s[26:27], vcc
	s_xor_b64 s[26:27], exec, s[26:27]
; %bb.827:                              ;   in Loop: Header=BB2_133 Depth=3
	v_cmp_lt_u64_e32 vcc, s[88:89], v[28:29]
	v_add_u32_e32 v2, 15, v31
	v_cndmask_b32_e32 v4, v9, v2, vcc
	v_cndmask_b32_e64 v2, 0, 1, vcc
	v_lshrrev_b64 v[2:3], v2, v[28:29]
; %bb.828:                              ;   in Loop: Header=BB2_133 Depth=3
	s_andn2_saveexec_b64 s[26:27], s[26:27]
; %bb.829:                              ;   in Loop: Header=BB2_133 Depth=3
	v_mov_b32_e32 v2, v28
	v_mov_b32_e32 v3, v29
	v_bfe_u32 v4, v28, 23, 1
; %bb.830:                              ;   in Loop: Header=BB2_133 Depth=3
	s_or_b64 exec, exec, s[26:27]
	v_lshrrev_b64 v[2:3], 21, v[2:3]
	v_cmp_gt_i32_e32 vcc, 32, v4
	v_cndmask_b32_e32 v3, 0, v3, vcc
	v_cndmask_b32_e32 v2, 3, v2, vcc
	v_cmp_eq_u64_e64 s[26:27], 0, v[2:3]
	v_min_i32_e32 v3, 31, v4
	v_lshlrev_b32_e32 v3, 2, v3
	v_cmp_eq_u32_e32 vcc, 0, v4
	v_and_b32_e32 v3, 0xfc, v3
	v_and_or_b32 v2, v2, 3, v3
	s_and_b64 s[26:27], vcc, s[26:27]
	v_cndmask_b32_e64 v2, v2, 0, s[26:27]
	v_or_b32_e32 v9, v2, v19
.LBB2_831:                              ;   in Loop: Header=BB2_133 Depth=3
	s_or_b64 exec, exec, s[34:35]
                                        ; implicit-def: $vgpr19
.LBB2_832:                              ;   in Loop: Header=BB2_133 Depth=3
	s_andn2_saveexec_b64 s[26:27], s[30:31]
; %bb.833:                              ;   in Loop: Header=BB2_133 Depth=3
	v_or_b32_e32 v9, 0x7b, v19
; %bb.834:                              ;   in Loop: Header=BB2_133 Depth=3
	s_or_b64 exec, exec, s[26:27]
                                        ; implicit-def: $vgpr2
.LBB2_835:                              ;   in Loop: Header=BB2_133 Depth=3
	s_andn2_saveexec_b64 s[26:27], s[94:95]
	s_cbranch_execz .LBB2_841
; %bb.836:                              ;   in Loop: Header=BB2_133 Depth=3
	v_cmp_ne_u64_e32 vcc, 0, v[28:29]
                                        ; implicit-def: $vgpr9
	s_and_saveexec_b64 s[94:95], vcc
	s_xor_b64 s[94:95], exec, s[94:95]
; %bb.837:                              ;   in Loop: Header=BB2_133 Depth=3
	v_or_b32_sdwa v9, v2, s47 dst_sel:DWORD dst_unused:UNUSED_PAD src0_sel:BYTE_3 src1_sel:DWORD
                                        ; implicit-def: $vgpr2
; %bb.838:                              ;   in Loop: Header=BB2_133 Depth=3
	s_andn2_saveexec_b64 s[94:95], s[94:95]
; %bb.839:                              ;   in Loop: Header=BB2_133 Depth=3
	v_cmp_lt_i32_e32 vcc, -1, v2
	v_cndmask_b32_e32 v9, v6, v22, vcc
; %bb.840:                              ;   in Loop: Header=BB2_133 Depth=3
	s_or_b64 exec, exec, s[94:95]
.LBB2_841:                              ;   in Loop: Header=BB2_133 Depth=3
	s_or_b64 exec, exec, s[26:27]
	v_lshrrev_b16_e32 v2, 8, v10
	v_cmp_ne_u16_e32 vcc, 0, v2
	v_mov_b32_e32 v3, 0
	s_and_saveexec_b64 s[26:27], vcc
	s_cbranch_execz .LBB2_849
; %bb.842:                              ;   in Loop: Header=BB2_133 Depth=3
	v_cmp_ne_u16_e32 vcc, s96, v2
	v_bfrev_b32_e32 v3, 1
	s_and_saveexec_b64 s[94:95], vcc
	s_cbranch_execz .LBB2_848
; %bb.843:                              ;   in Loop: Header=BB2_133 Depth=3
	v_and_b32_e32 v3, 0x7c, v2
	v_and_b32_e32 v4, 3, v2
	v_cmp_ne_u32_e32 vcc, s85, v3
                                        ; implicit-def: $vgpr3
	s_and_saveexec_b64 s[30:31], vcc
	s_xor_b64 s[30:31], exec, s[30:31]
	s_cbranch_execz .LBB2_845
; %bb.844:                              ;   in Loop: Header=BB2_133 Depth=3
	v_ffbh_u32_e32 v28, v4
	v_min_u32_e32 v28, 32, v28
	v_mov_b32_e32 v3, v29
	v_subrev_u32_e32 v31, 29, v28
	v_bfe_u32 v19, v2, 2, 5
	v_lshlrev_b64 v[2:3], v31, v[2:3]
	v_cmp_eq_u32_e32 vcc, 0, v19
	v_and_b32_e32 v2, 3, v2
	v_sub_u32_e32 v3, 30, v28
	v_cndmask_b32_e32 v2, v4, v2, vcc
	v_lshlrev_b32_e32 v4, 16, v10
	v_cndmask_b32_e32 v3, v19, v3, vcc
	v_and_b32_e32 v4, 0x80000000, v4
	v_lshl_add_u32 v3, v3, 23, v4
	v_lshl_or_b32 v2, v2, 21, v3
	v_add_u32_e32 v3, 0x38000000, v2
                                        ; implicit-def: $vgpr4
.LBB2_845:                              ;   in Loop: Header=BB2_133 Depth=3
	s_andn2_saveexec_b64 s[30:31], s[30:31]
; %bb.846:                              ;   in Loop: Header=BB2_133 Depth=3
	v_cmp_lt_i16_e32 vcc, -1, v10
	v_cndmask_b32_e32 v2, v7, v0, vcc
	v_cmp_eq_u32_e32 vcc, 0, v4
	v_cndmask_b32_e32 v3, v35, v2, vcc
; %bb.847:                              ;   in Loop: Header=BB2_133 Depth=3
	s_or_b64 exec, exec, s[30:31]
.LBB2_848:                              ;   in Loop: Header=BB2_133 Depth=3
	s_or_b64 exec, exec, s[94:95]
.LBB2_849:                              ;   in Loop: Header=BB2_133 Depth=3
	s_or_b64 exec, exec, s[26:27]
	v_mul_f32_e32 v2, v30, v3
	v_and_b32_e32 v3, 0x7f800000, v2
	v_mov_b32_e32 v4, v29
	v_cmp_ne_u64_e32 vcc, s[76:77], v[3:4]
	v_and_b32_e32 v28, 0x7fffff, v2
                                        ; implicit-def: $vgpr50
	s_and_saveexec_b64 s[26:27], vcc
	s_xor_b64 s[94:95], exec, s[26:27]
	s_cbranch_execz .LBB2_863
; %bb.850:                              ;   in Loop: Header=BB2_133 Depth=3
	v_and_b32_e32 v3, 0x7fffffff, v2
	v_mov_b32_e32 v4, v29
	v_cmp_gt_u64_e32 vcc, s[78:79], v[3:4]
	v_and_b32_sdwa v19, v2, s96 dst_sel:DWORD dst_unused:UNUSED_PAD src0_sel:BYTE_3 src1_sel:DWORD
                                        ; implicit-def: $vgpr50
	s_and_saveexec_b64 s[26:27], vcc
	s_xor_b64 s[30:31], exec, s[26:27]
	s_cbranch_execz .LBB2_860
; %bb.851:                              ;   in Loop: Header=BB2_133 Depth=3
	v_mov_b32_e32 v50, 0
	v_cmp_ne_u32_e32 vcc, 0, v2
	s_and_saveexec_b64 s[34:35], vcc
	s_cbranch_execz .LBB2_859
; %bb.852:                              ;   in Loop: Header=BB2_133 Depth=3
	v_bfe_u32 v31, v2, 23, 8
	v_cmp_gt_u32_e64 s[26:27], s46, v31
	v_sub_u32_e32 v2, 0x71, v31
	v_cmp_eq_u32_e32 vcc, 0, v31
	v_cndmask_b32_e64 v2, 0, v2, s[26:27]
	v_mov_b32_e32 v4, 0x70
	v_cndmask_b32_e32 v32, v2, v4, vcc
	v_add_u32_e32 v4, 21, v32
	v_or_b32_e32 v3, 0x800000, v28
	v_lshlrev_b64 v[38:39], v4, -1
	v_cndmask_b32_e32 v2, v3, v28, vcc
	v_mov_b32_e32 v3, v29
	v_add_u32_e32 v4, 20, v32
	v_bfi_b32 v38, v38, 0, v2
	v_lshlrev_b64 v[49:50], v4, 1
	v_lshrrev_b64 v[2:3], v32, v[2:3]
	v_bfi_b32 v39, v39, 0, 0
	v_cmp_eq_u64_e64 s[26:27], v[38:39], v[49:50]
	v_mov_b32_e32 v4, v3
	v_mov_b32_e32 v3, v2
	s_and_saveexec_b64 s[36:37], s[26:27]
; %bb.853:                              ;   in Loop: Header=BB2_133 Depth=3
	v_bfe_u32 v3, v2, 21, 1
	v_add_co_u32_e64 v3, s[26:27], v2, v3
	v_add_co_u32_e64 v3, s[26:27], -1, v3
; %bb.854:                              ;   in Loop: Header=BB2_133 Depth=3
	s_or_b64 exec, exec, s[36:37]
	v_add_u32_e32 v4, 0xffffff81, v31
	v_cndmask_b32_e32 v4, v4, v1, vcc
	v_lshrrev_b32_e32 v28, 23, v2
	v_add3_u32 v32, v32, v4, v28
	v_add_u32_e32 v31, 14, v32
	v_and_b32_e32 v3, 0x1fffff, v3
	v_add_u32_e32 v28, v3, v2
	v_cmp_ne_u32_e32 vcc, 0, v31
                                        ; implicit-def: $vgpr2_vgpr3
                                        ; implicit-def: $vgpr4
	s_and_saveexec_b64 s[26:27], vcc
	s_xor_b64 s[26:27], exec, s[26:27]
; %bb.855:                              ;   in Loop: Header=BB2_133 Depth=3
	v_cmp_lt_u64_e32 vcc, s[88:89], v[28:29]
	v_add_u32_e32 v2, 15, v32
	v_cndmask_b32_e32 v4, v31, v2, vcc
	v_cndmask_b32_e64 v2, 0, 1, vcc
	v_lshrrev_b64 v[2:3], v2, v[28:29]
; %bb.856:                              ;   in Loop: Header=BB2_133 Depth=3
	s_andn2_saveexec_b64 s[26:27], s[26:27]
; %bb.857:                              ;   in Loop: Header=BB2_133 Depth=3
	v_mov_b32_e32 v2, v28
	v_mov_b32_e32 v3, v29
	v_bfe_u32 v4, v28, 23, 1
; %bb.858:                              ;   in Loop: Header=BB2_133 Depth=3
	s_or_b64 exec, exec, s[26:27]
	v_lshrrev_b64 v[2:3], 21, v[2:3]
	v_cmp_gt_i32_e32 vcc, 32, v4
	v_cndmask_b32_e32 v3, 0, v3, vcc
	v_cndmask_b32_e32 v2, 3, v2, vcc
	v_cmp_eq_u64_e64 s[26:27], 0, v[2:3]
	v_min_i32_e32 v3, 31, v4
	v_lshlrev_b32_e32 v3, 2, v3
	v_cmp_eq_u32_e32 vcc, 0, v4
	v_and_b32_e32 v3, 0xfc, v3
	v_and_or_b32 v2, v2, 3, v3
	s_and_b64 s[26:27], vcc, s[26:27]
	v_cndmask_b32_e64 v2, v2, 0, s[26:27]
	v_or_b32_e32 v50, v2, v19
.LBB2_859:                              ;   in Loop: Header=BB2_133 Depth=3
	s_or_b64 exec, exec, s[34:35]
                                        ; implicit-def: $vgpr19
.LBB2_860:                              ;   in Loop: Header=BB2_133 Depth=3
	s_andn2_saveexec_b64 s[26:27], s[30:31]
; %bb.861:                              ;   in Loop: Header=BB2_133 Depth=3
	v_or_b32_e32 v50, 0x7b, v19
; %bb.862:                              ;   in Loop: Header=BB2_133 Depth=3
	s_or_b64 exec, exec, s[26:27]
                                        ; implicit-def: $vgpr2
.LBB2_863:                              ;   in Loop: Header=BB2_133 Depth=3
	s_andn2_saveexec_b64 s[26:27], s[94:95]
	s_cbranch_execz .LBB2_869
; %bb.864:                              ;   in Loop: Header=BB2_133 Depth=3
	v_cmp_ne_u64_e32 vcc, 0, v[28:29]
                                        ; implicit-def: $vgpr50
	s_and_saveexec_b64 s[94:95], vcc
	s_xor_b64 s[94:95], exec, s[94:95]
; %bb.865:                              ;   in Loop: Header=BB2_133 Depth=3
	v_or_b32_sdwa v50, v2, s47 dst_sel:DWORD dst_unused:UNUSED_PAD src0_sel:BYTE_3 src1_sel:DWORD
                                        ; implicit-def: $vgpr2
; %bb.866:                              ;   in Loop: Header=BB2_133 Depth=3
	s_andn2_saveexec_b64 s[94:95], s[94:95]
; %bb.867:                              ;   in Loop: Header=BB2_133 Depth=3
	v_cmp_lt_i32_e32 vcc, -1, v2
	v_cndmask_b32_e32 v50, v6, v22, vcc
; %bb.868:                              ;   in Loop: Header=BB2_133 Depth=3
	s_or_b64 exec, exec, s[94:95]
.LBB2_869:                              ;   in Loop: Header=BB2_133 Depth=3
	s_or_b64 exec, exec, s[26:27]
	v_lshrrev_b32_e32 v2, 16, v10
	v_cmp_ne_u16_sdwa s[94:95], v2, v29 src0_sel:BYTE_0 src1_sel:DWORD
	v_mov_b32_e32 v3, 0
	s_and_saveexec_b64 s[26:27], s[94:95]
	s_cbranch_execz .LBB2_877
; %bb.870:                              ;   in Loop: Header=BB2_133 Depth=3
	v_cmp_ne_u16_sdwa vcc, v2, s96 src0_sel:BYTE_0 src1_sel:DWORD
	v_bfrev_b32_e32 v3, 1
	s_and_saveexec_b64 s[94:95], vcc
	s_cbranch_execz .LBB2_876
; %bb.871:                              ;   in Loop: Header=BB2_133 Depth=3
	v_and_b32_e32 v3, 0x7c0000, v10
	v_bfe_u32 v4, v10, 16, 2
	v_cmp_ne_u32_e32 vcc, s44, v3
                                        ; implicit-def: $vgpr3
	s_and_saveexec_b64 s[30:31], vcc
	s_xor_b64 s[30:31], exec, s[30:31]
	s_cbranch_execz .LBB2_873
; %bb.872:                              ;   in Loop: Header=BB2_133 Depth=3
	v_ffbh_u32_e32 v3, v4
	v_min_u32_e32 v28, 32, v3
	v_subrev_u32_e32 v3, 29, v28
	v_lshlrev_b64 v[2:3], v3, v[2:3]
	v_bfe_u32 v19, v10, 18, 5
	v_and_b32_e32 v2, 3, v2
	v_cmp_eq_u32_e32 vcc, 0, v19
	v_sub_u32_e32 v3, 30, v28
	v_cndmask_b32_e32 v2, v4, v2, vcc
	v_lshlrev_b32_e32 v4, 8, v10
	v_cndmask_b32_e32 v3, v19, v3, vcc
	v_and_b32_e32 v4, 0x80000000, v4
	v_lshl_add_u32 v3, v3, 23, v4
	v_lshl_or_b32 v2, v2, 21, v3
	v_add_u32_e32 v3, 0x38000000, v2
                                        ; implicit-def: $vgpr4
                                        ; implicit-def: $vgpr2
.LBB2_873:                              ;   in Loop: Header=BB2_133 Depth=3
	s_andn2_saveexec_b64 s[30:31], s[30:31]
; %bb.874:                              ;   in Loop: Header=BB2_133 Depth=3
	v_cmp_gt_i16_sdwa vcc, sext(v2), v48 src0_sel:BYTE_0 src1_sel:DWORD
	v_cndmask_b32_e32 v2, v7, v0, vcc
	v_cmp_eq_u32_e32 vcc, 0, v4
	v_cndmask_b32_e32 v3, v35, v2, vcc
; %bb.875:                              ;   in Loop: Header=BB2_133 Depth=3
	s_or_b64 exec, exec, s[30:31]
.LBB2_876:                              ;   in Loop: Header=BB2_133 Depth=3
	s_or_b64 exec, exec, s[94:95]
.LBB2_877:                              ;   in Loop: Header=BB2_133 Depth=3
	s_or_b64 exec, exec, s[26:27]
	v_mul_f32_e32 v2, v30, v3
	v_and_b32_e32 v3, 0x7f800000, v2
	v_mov_b32_e32 v4, v29
	v_cmp_ne_u64_e32 vcc, s[76:77], v[3:4]
	v_and_b32_e32 v28, 0x7fffff, v2
                                        ; implicit-def: $vgpr19
	s_and_saveexec_b64 s[26:27], vcc
	s_xor_b64 s[94:95], exec, s[26:27]
	s_cbranch_execz .LBB2_891
; %bb.878:                              ;   in Loop: Header=BB2_133 Depth=3
	v_and_b32_e32 v3, 0x7fffffff, v2
	v_mov_b32_e32 v4, v29
	v_cmp_gt_u64_e32 vcc, s[78:79], v[3:4]
	v_and_b32_sdwa v31, v2, s96 dst_sel:DWORD dst_unused:UNUSED_PAD src0_sel:BYTE_3 src1_sel:DWORD
                                        ; implicit-def: $vgpr19
	s_and_saveexec_b64 s[26:27], vcc
	s_xor_b64 s[30:31], exec, s[26:27]
	s_cbranch_execz .LBB2_888
; %bb.879:                              ;   in Loop: Header=BB2_133 Depth=3
	v_mov_b32_e32 v19, 0
	v_cmp_ne_u32_e32 vcc, 0, v2
	s_and_saveexec_b64 s[34:35], vcc
	s_cbranch_execz .LBB2_887
; %bb.880:                              ;   in Loop: Header=BB2_133 Depth=3
	v_bfe_u32 v19, v2, 23, 8
	v_cmp_gt_u32_e64 s[26:27], s46, v19
	v_sub_u32_e32 v2, 0x71, v19
	v_cmp_eq_u32_e32 vcc, 0, v19
	v_cndmask_b32_e64 v2, 0, v2, s[26:27]
	v_mov_b32_e32 v4, 0x70
	v_cndmask_b32_e32 v32, v2, v4, vcc
	v_add_u32_e32 v4, 21, v32
	v_or_b32_e32 v3, 0x800000, v28
	v_lshlrev_b64 v[38:39], v4, -1
	v_cndmask_b32_e32 v2, v3, v28, vcc
	v_mov_b32_e32 v3, v29
	v_add_u32_e32 v4, 20, v32
	v_mov_b32_e32 v33, v56
	v_bfi_b32 v38, v38, 0, v2
	v_lshlrev_b64 v[56:57], v4, 1
	v_lshrrev_b64 v[2:3], v32, v[2:3]
	v_bfi_b32 v39, v39, 0, 0
	v_cmp_eq_u64_e64 s[26:27], v[38:39], v[56:57]
	v_mov_b32_e32 v4, v3
	v_mov_b32_e32 v3, v2
	s_and_saveexec_b64 s[36:37], s[26:27]
; %bb.881:                              ;   in Loop: Header=BB2_133 Depth=3
	v_bfe_u32 v3, v2, 21, 1
	v_add_co_u32_e64 v3, s[26:27], v2, v3
	v_add_co_u32_e64 v3, s[26:27], -1, v3
; %bb.882:                              ;   in Loop: Header=BB2_133 Depth=3
	s_or_b64 exec, exec, s[36:37]
	v_add_u32_e32 v4, 0xffffff81, v19
	v_cndmask_b32_e32 v4, v4, v1, vcc
	v_lshrrev_b32_e32 v19, 23, v2
	v_add3_u32 v32, v32, v4, v19
	v_add_u32_e32 v19, 14, v32
	v_and_b32_e32 v3, 0x1fffff, v3
	v_add_u32_e32 v28, v3, v2
	v_cmp_ne_u32_e32 vcc, 0, v19
                                        ; implicit-def: $vgpr2_vgpr3
                                        ; implicit-def: $vgpr4
	s_and_saveexec_b64 s[26:27], vcc
	s_xor_b64 s[26:27], exec, s[26:27]
; %bb.883:                              ;   in Loop: Header=BB2_133 Depth=3
	v_cmp_lt_u64_e32 vcc, s[88:89], v[28:29]
	v_add_u32_e32 v2, 15, v32
	v_cndmask_b32_e32 v4, v19, v2, vcc
	v_cndmask_b32_e64 v2, 0, 1, vcc
	v_lshrrev_b64 v[2:3], v2, v[28:29]
; %bb.884:                              ;   in Loop: Header=BB2_133 Depth=3
	s_or_saveexec_b64 s[26:27], s[26:27]
	v_mov_b32_e32 v56, v33
	s_xor_b64 exec, exec, s[26:27]
; %bb.885:                              ;   in Loop: Header=BB2_133 Depth=3
	v_mov_b32_e32 v2, v28
	v_mov_b32_e32 v3, v29
	v_bfe_u32 v4, v28, 23, 1
; %bb.886:                              ;   in Loop: Header=BB2_133 Depth=3
	s_or_b64 exec, exec, s[26:27]
	v_lshrrev_b64 v[2:3], 21, v[2:3]
	v_cmp_gt_i32_e32 vcc, 32, v4
	v_cndmask_b32_e32 v3, 0, v3, vcc
	v_cndmask_b32_e32 v2, 3, v2, vcc
	v_cmp_eq_u64_e64 s[26:27], 0, v[2:3]
	v_min_i32_e32 v3, 31, v4
	v_lshlrev_b32_e32 v3, 2, v3
	v_cmp_eq_u32_e32 vcc, 0, v4
	v_and_b32_e32 v3, 0xfc, v3
	v_and_or_b32 v2, v2, 3, v3
	s_and_b64 s[26:27], vcc, s[26:27]
	v_cndmask_b32_e64 v2, v2, 0, s[26:27]
	v_or_b32_e32 v19, v2, v31
.LBB2_887:                              ;   in Loop: Header=BB2_133 Depth=3
	s_or_b64 exec, exec, s[34:35]
                                        ; implicit-def: $vgpr31
.LBB2_888:                              ;   in Loop: Header=BB2_133 Depth=3
	s_andn2_saveexec_b64 s[26:27], s[30:31]
; %bb.889:                              ;   in Loop: Header=BB2_133 Depth=3
	v_or_b32_e32 v19, 0x7b, v31
; %bb.890:                              ;   in Loop: Header=BB2_133 Depth=3
	s_or_b64 exec, exec, s[26:27]
                                        ; implicit-def: $vgpr2
.LBB2_891:                              ;   in Loop: Header=BB2_133 Depth=3
	s_andn2_saveexec_b64 s[26:27], s[94:95]
	s_cbranch_execz .LBB2_897
; %bb.892:                              ;   in Loop: Header=BB2_133 Depth=3
	v_cmp_ne_u64_e32 vcc, 0, v[28:29]
                                        ; implicit-def: $vgpr19
	s_and_saveexec_b64 s[94:95], vcc
	s_xor_b64 s[94:95], exec, s[94:95]
; %bb.893:                              ;   in Loop: Header=BB2_133 Depth=3
	v_or_b32_sdwa v19, v2, s47 dst_sel:DWORD dst_unused:UNUSED_PAD src0_sel:BYTE_3 src1_sel:DWORD
                                        ; implicit-def: $vgpr2
; %bb.894:                              ;   in Loop: Header=BB2_133 Depth=3
	s_andn2_saveexec_b64 s[94:95], s[94:95]
; %bb.895:                              ;   in Loop: Header=BB2_133 Depth=3
	v_cmp_lt_i32_e32 vcc, -1, v2
	v_cndmask_b32_e32 v19, v6, v22, vcc
; %bb.896:                              ;   in Loop: Header=BB2_133 Depth=3
	s_or_b64 exec, exec, s[94:95]
.LBB2_897:                              ;   in Loop: Header=BB2_133 Depth=3
	s_or_b64 exec, exec, s[26:27]
	v_cmp_lt_u32_e32 vcc, s57, v10
	v_mov_b32_e32 v3, 0
	s_and_saveexec_b64 s[26:27], vcc
	s_cbranch_execz .LBB2_905
; %bb.898:                              ;   in Loop: Header=BB2_133 Depth=3
	v_lshrrev_b32_e32 v2, 24, v10
	v_cmp_ne_u32_e32 vcc, s96, v2
	v_bfrev_b32_e32 v3, 1
	s_and_saveexec_b64 s[94:95], vcc
	s_cbranch_execz .LBB2_904
; %bb.899:                              ;   in Loop: Header=BB2_133 Depth=3
	v_and_b32_e32 v3, 0x7c000000, v10
	v_bfe_u32 v4, v10, 24, 2
	v_cmp_ne_u32_e32 vcc, s45, v3
                                        ; implicit-def: $vgpr3
	s_and_saveexec_b64 s[30:31], vcc
	s_xor_b64 s[30:31], exec, s[30:31]
	s_cbranch_execz .LBB2_901
; %bb.900:                              ;   in Loop: Header=BB2_133 Depth=3
	v_ffbh_u32_e32 v3, v4
	v_min_u32_e32 v31, 32, v3
	v_subrev_u32_e32 v3, 29, v31
	v_lshlrev_b64 v[2:3], v3, v[2:3]
	v_bfe_u32 v28, v10, 26, 5
	v_sub_u32_e32 v3, 30, v31
	v_and_b32_e32 v2, 3, v2
	v_cmp_eq_u32_e32 vcc, 0, v28
	v_cndmask_b32_e32 v3, v28, v3, vcc
	v_cndmask_b32_e32 v2, v4, v2, vcc
	v_and_b32_e32 v4, 0x80000000, v10
	v_lshl_add_u32 v3, v3, 23, v4
	v_lshl_or_b32 v2, v2, 21, v3
	v_add_u32_e32 v3, 0x38000000, v2
                                        ; implicit-def: $vgpr4
.LBB2_901:                              ;   in Loop: Header=BB2_133 Depth=3
	s_andn2_saveexec_b64 s[30:31], s[30:31]
; %bb.902:                              ;   in Loop: Header=BB2_133 Depth=3
	v_cmp_lt_i32_e32 vcc, -1, v10
	v_cndmask_b32_e32 v2, v7, v0, vcc
	v_cmp_eq_u32_e32 vcc, 0, v4
	v_cndmask_b32_e32 v3, v35, v2, vcc
; %bb.903:                              ;   in Loop: Header=BB2_133 Depth=3
	s_or_b64 exec, exec, s[30:31]
.LBB2_904:                              ;   in Loop: Header=BB2_133 Depth=3
	s_or_b64 exec, exec, s[94:95]
.LBB2_905:                              ;   in Loop: Header=BB2_133 Depth=3
	s_or_b64 exec, exec, s[26:27]
	v_mul_f32_e32 v2, v30, v3
	v_and_b32_e32 v3, 0x7f800000, v2
	v_mov_b32_e32 v4, v29
	v_cmp_ne_u64_e32 vcc, s[76:77], v[3:4]
	v_and_b32_e32 v28, 0x7fffff, v2
                                        ; implicit-def: $vgpr31
	s_and_saveexec_b64 s[26:27], vcc
	s_xor_b64 s[94:95], exec, s[26:27]
	s_cbranch_execz .LBB2_919
; %bb.906:                              ;   in Loop: Header=BB2_133 Depth=3
	v_and_b32_e32 v3, 0x7fffffff, v2
	v_mov_b32_e32 v4, v29
	v_cmp_gt_u64_e32 vcc, s[78:79], v[3:4]
	v_and_b32_sdwa v32, v2, s96 dst_sel:DWORD dst_unused:UNUSED_PAD src0_sel:BYTE_3 src1_sel:DWORD
                                        ; implicit-def: $vgpr31
	s_and_saveexec_b64 s[26:27], vcc
	s_xor_b64 s[30:31], exec, s[26:27]
	s_cbranch_execz .LBB2_916
; %bb.907:                              ;   in Loop: Header=BB2_133 Depth=3
	v_mov_b32_e32 v31, 0
	v_cmp_ne_u32_e32 vcc, 0, v2
	s_and_saveexec_b64 s[34:35], vcc
	s_cbranch_execz .LBB2_915
; %bb.908:                              ;   in Loop: Header=BB2_133 Depth=3
	v_bfe_u32 v31, v2, 23, 8
	v_cmp_gt_u32_e64 s[26:27], s46, v31
	v_sub_u32_e32 v2, 0x71, v31
	v_cmp_eq_u32_e32 vcc, 0, v31
	v_cndmask_b32_e64 v2, 0, v2, s[26:27]
	v_mov_b32_e32 v4, 0x70
	v_cndmask_b32_e32 v33, v2, v4, vcc
	v_add_u32_e32 v4, 21, v33
	v_or_b32_e32 v3, 0x800000, v28
	v_lshlrev_b64 v[38:39], v4, -1
	v_cndmask_b32_e32 v2, v3, v28, vcc
	v_mov_b32_e32 v3, v29
	v_add_u32_e32 v4, 20, v33
	v_mov_b32_e32 v49, v56
	v_bfi_b32 v38, v38, 0, v2
	v_lshlrev_b64 v[56:57], v4, 1
	v_lshrrev_b64 v[2:3], v33, v[2:3]
	v_bfi_b32 v39, v39, 0, 0
	v_cmp_eq_u64_e64 s[26:27], v[38:39], v[56:57]
	v_mov_b32_e32 v4, v3
	v_mov_b32_e32 v3, v2
	s_and_saveexec_b64 s[36:37], s[26:27]
; %bb.909:                              ;   in Loop: Header=BB2_133 Depth=3
	v_bfe_u32 v3, v2, 21, 1
	v_add_co_u32_e64 v3, s[26:27], v2, v3
	v_add_co_u32_e64 v3, s[26:27], -1, v3
; %bb.910:                              ;   in Loop: Header=BB2_133 Depth=3
	s_or_b64 exec, exec, s[36:37]
	v_add_u32_e32 v4, 0xffffff81, v31
	v_cndmask_b32_e32 v4, v4, v1, vcc
	v_lshrrev_b32_e32 v28, 23, v2
	v_add3_u32 v33, v33, v4, v28
	v_add_u32_e32 v31, 14, v33
	v_and_b32_e32 v3, 0x1fffff, v3
	v_add_u32_e32 v28, v3, v2
	v_cmp_ne_u32_e32 vcc, 0, v31
                                        ; implicit-def: $vgpr2_vgpr3
                                        ; implicit-def: $vgpr4
	s_and_saveexec_b64 s[26:27], vcc
	s_xor_b64 s[26:27], exec, s[26:27]
; %bb.911:                              ;   in Loop: Header=BB2_133 Depth=3
	v_cmp_lt_u64_e32 vcc, s[88:89], v[28:29]
	v_add_u32_e32 v2, 15, v33
	v_cndmask_b32_e32 v4, v31, v2, vcc
	v_cndmask_b32_e64 v2, 0, 1, vcc
	v_lshrrev_b64 v[2:3], v2, v[28:29]
; %bb.912:                              ;   in Loop: Header=BB2_133 Depth=3
	s_or_saveexec_b64 s[26:27], s[26:27]
	v_mov_b32_e32 v56, v49
	s_xor_b64 exec, exec, s[26:27]
; %bb.913:                              ;   in Loop: Header=BB2_133 Depth=3
	v_mov_b32_e32 v2, v28
	v_mov_b32_e32 v3, v29
	v_bfe_u32 v4, v28, 23, 1
; %bb.914:                              ;   in Loop: Header=BB2_133 Depth=3
	s_or_b64 exec, exec, s[26:27]
	v_lshrrev_b64 v[2:3], 21, v[2:3]
	v_cmp_gt_i32_e32 vcc, 32, v4
	v_cndmask_b32_e32 v3, 0, v3, vcc
	v_cndmask_b32_e32 v2, 3, v2, vcc
	v_cmp_eq_u64_e64 s[26:27], 0, v[2:3]
	v_min_i32_e32 v3, 31, v4
	v_lshlrev_b32_e32 v3, 2, v3
	v_cmp_eq_u32_e32 vcc, 0, v4
	v_and_b32_e32 v3, 0xfc, v3
	v_and_or_b32 v2, v2, 3, v3
	s_and_b64 s[26:27], vcc, s[26:27]
	v_cndmask_b32_e64 v2, v2, 0, s[26:27]
	v_or_b32_e32 v31, v2, v32
.LBB2_915:                              ;   in Loop: Header=BB2_133 Depth=3
	s_or_b64 exec, exec, s[34:35]
                                        ; implicit-def: $vgpr32
.LBB2_916:                              ;   in Loop: Header=BB2_133 Depth=3
	s_andn2_saveexec_b64 s[26:27], s[30:31]
; %bb.917:                              ;   in Loop: Header=BB2_133 Depth=3
	v_or_b32_e32 v31, 0x7b, v32
; %bb.918:                              ;   in Loop: Header=BB2_133 Depth=3
	s_or_b64 exec, exec, s[26:27]
                                        ; implicit-def: $vgpr2
.LBB2_919:                              ;   in Loop: Header=BB2_133 Depth=3
	s_andn2_saveexec_b64 s[26:27], s[94:95]
	s_cbranch_execz .LBB2_925
; %bb.920:                              ;   in Loop: Header=BB2_133 Depth=3
	v_cmp_ne_u64_e32 vcc, 0, v[28:29]
                                        ; implicit-def: $vgpr31
	s_and_saveexec_b64 s[94:95], vcc
	s_xor_b64 s[94:95], exec, s[94:95]
; %bb.921:                              ;   in Loop: Header=BB2_133 Depth=3
	v_or_b32_sdwa v31, v2, s47 dst_sel:DWORD dst_unused:UNUSED_PAD src0_sel:BYTE_3 src1_sel:DWORD
                                        ; implicit-def: $vgpr2
; %bb.922:                              ;   in Loop: Header=BB2_133 Depth=3
	s_andn2_saveexec_b64 s[94:95], s[94:95]
; %bb.923:                              ;   in Loop: Header=BB2_133 Depth=3
	v_cmp_lt_i32_e32 vcc, -1, v2
	v_cndmask_b32_e32 v31, v6, v22, vcc
; %bb.924:                              ;   in Loop: Header=BB2_133 Depth=3
	s_or_b64 exec, exec, s[94:95]
.LBB2_925:                              ;   in Loop: Header=BB2_133 Depth=3
	s_or_b64 exec, exec, s[26:27]
	v_mov_b32_e32 v28, v11
	v_cmp_ne_u16_sdwa s[94:95], v11, v29 src0_sel:BYTE_0 src1_sel:DWORD
	v_mov_b32_e32 v2, 0
	s_and_saveexec_b64 s[26:27], s[94:95]
	s_cbranch_execz .LBB2_933
; %bb.926:                              ;   in Loop: Header=BB2_133 Depth=3
	v_cmp_ne_u16_sdwa vcc, v11, s96 src0_sel:BYTE_0 src1_sel:DWORD
	v_bfrev_b32_e32 v2, 1
	s_and_saveexec_b64 s[94:95], vcc
	s_cbranch_execz .LBB2_932
; %bb.927:                              ;   in Loop: Header=BB2_133 Depth=3
	v_and_b32_e32 v2, 0x7c, v11
	v_and_b32_e32 v3, 3, v11
	v_cmp_ne_u32_e32 vcc, s85, v2
                                        ; implicit-def: $vgpr2
	s_and_saveexec_b64 s[30:31], vcc
	s_xor_b64 s[30:31], exec, s[30:31]
	s_cbranch_execz .LBB2_929
; %bb.928:                              ;   in Loop: Header=BB2_133 Depth=3
	v_ffbh_u32_e32 v4, v3
	v_min_u32_e32 v4, 32, v4
	v_bfe_u32 v2, v11, 2, 5
	v_subrev_u32_e32 v32, 29, v4
	v_lshlrev_b64 v[32:33], v32, v[28:29]
	v_sub_u32_e32 v4, 30, v4
	v_cmp_eq_u32_e32 vcc, 0, v2
	v_cndmask_b32_e32 v2, v2, v4, vcc
	v_lshlrev_b32_e32 v4, 24, v11
	v_and_b32_e32 v32, 3, v32
	v_and_b32_e32 v4, 0x80000000, v4
	v_cndmask_b32_e32 v3, v3, v32, vcc
	v_lshl_add_u32 v2, v2, 23, v4
	v_lshl_or_b32 v2, v3, 21, v2
	v_add_u32_e32 v2, 0x38000000, v2
                                        ; implicit-def: $vgpr3
.LBB2_929:                              ;   in Loop: Header=BB2_133 Depth=3
	s_andn2_saveexec_b64 s[30:31], s[30:31]
; %bb.930:                              ;   in Loop: Header=BB2_133 Depth=3
	v_cmp_gt_i16_sdwa vcc, sext(v11), v48 src0_sel:BYTE_0 src1_sel:DWORD
	v_cndmask_b32_e32 v2, v7, v0, vcc
	v_cmp_eq_u32_e32 vcc, 0, v3
	v_cndmask_b32_e32 v2, v35, v2, vcc
; %bb.931:                              ;   in Loop: Header=BB2_133 Depth=3
	s_or_b64 exec, exec, s[30:31]
.LBB2_932:                              ;   in Loop: Header=BB2_133 Depth=3
	s_or_b64 exec, exec, s[94:95]
.LBB2_933:                              ;   in Loop: Header=BB2_133 Depth=3
	s_or_b64 exec, exec, s[26:27]
	v_mul_f32_e32 v4, v30, v2
	v_and_b32_e32 v32, 0x7f800000, v4
	v_mov_b32_e32 v33, v29
	v_cmp_ne_u64_e32 vcc, s[76:77], v[32:33]
	v_and_b32_e32 v2, 0x7fffff, v4
	v_mov_b32_e32 v3, v29
                                        ; implicit-def: $vgpr32
	s_and_saveexec_b64 s[26:27], vcc
	s_xor_b64 s[94:95], exec, s[26:27]
	s_cbranch_execz .LBB2_947
; %bb.934:                              ;   in Loop: Header=BB2_133 Depth=3
	v_and_b32_e32 v32, 0x7fffffff, v4
	v_mov_b32_e32 v33, v29
	v_cmp_gt_u64_e32 vcc, s[78:79], v[32:33]
	v_and_b32_sdwa v33, v4, s96 dst_sel:DWORD dst_unused:UNUSED_PAD src0_sel:BYTE_3 src1_sel:DWORD
                                        ; implicit-def: $vgpr32
	s_and_saveexec_b64 s[26:27], vcc
	s_xor_b64 s[30:31], exec, s[26:27]
	s_cbranch_execz .LBB2_944
; %bb.935:                              ;   in Loop: Header=BB2_133 Depth=3
	v_mov_b32_e32 v32, 0
	v_cmp_ne_u32_e32 vcc, 0, v4
	s_and_saveexec_b64 s[34:35], vcc
	s_cbranch_execz .LBB2_943
; %bb.936:                              ;   in Loop: Header=BB2_133 Depth=3
	v_bfe_u32 v32, v4, 23, 8
	v_cmp_gt_u32_e64 s[26:27], s46, v32
	v_sub_u32_e32 v4, 0x71, v32
	v_cmp_eq_u32_e32 vcc, 0, v32
	v_cndmask_b32_e64 v4, 0, v4, s[26:27]
	v_mov_b32_e32 v39, 0x70
	v_cndmask_b32_e32 v49, v4, v39, vcc
	v_or_b32_e32 v38, 0x800000, v2
	v_add_u32_e32 v4, 21, v49
	v_cndmask_b32_e32 v2, v38, v2, vcc
	v_lshlrev_b64 v[38:39], v4, -1
	v_add_u32_e32 v4, 20, v49
	v_mov_b32_e32 v51, v56
	v_bfi_b32 v38, v38, 0, v2
	v_lshlrev_b64 v[56:57], v4, 1
	v_lshrrev_b64 v[2:3], v49, v[2:3]
	v_bfi_b32 v39, v39, 0, 0
	v_cmp_eq_u64_e64 s[26:27], v[38:39], v[56:57]
	v_mov_b32_e32 v4, v3
	v_mov_b32_e32 v3, v2
	s_and_saveexec_b64 s[36:37], s[26:27]
; %bb.937:                              ;   in Loop: Header=BB2_133 Depth=3
	v_bfe_u32 v3, v2, 21, 1
	v_add_co_u32_e64 v3, s[26:27], v2, v3
	v_add_co_u32_e64 v3, s[26:27], -1, v3
; %bb.938:                              ;   in Loop: Header=BB2_133 Depth=3
	s_or_b64 exec, exec, s[36:37]
	v_add_u32_e32 v4, 0xffffff81, v32
	v_cndmask_b32_e32 v4, v4, v1, vcc
	v_lshrrev_b32_e32 v32, 23, v2
	v_add3_u32 v49, v49, v4, v32
	v_add_u32_e32 v32, 14, v49
	v_and_b32_e32 v3, 0x1fffff, v3
	v_add_u32_e32 v2, v3, v2
	v_mov_b32_e32 v3, v29
	v_cmp_ne_u32_e32 vcc, 0, v32
                                        ; implicit-def: $vgpr4
	s_and_saveexec_b64 s[26:27], vcc
	s_xor_b64 s[26:27], exec, s[26:27]
; %bb.939:                              ;   in Loop: Header=BB2_133 Depth=3
	v_cmp_lt_u64_e32 vcc, s[88:89], v[2:3]
	v_add_u32_e32 v4, 15, v49
	v_cndmask_b32_e32 v4, v32, v4, vcc
	v_cndmask_b32_e64 v32, 0, 1, vcc
	v_lshrrev_b64 v[2:3], v32, v[2:3]
; %bb.940:                              ;   in Loop: Header=BB2_133 Depth=3
	s_or_saveexec_b64 s[26:27], s[26:27]
	v_mov_b32_e32 v56, v51
	s_xor_b64 exec, exec, s[26:27]
; %bb.941:                              ;   in Loop: Header=BB2_133 Depth=3
	v_bfe_u32 v4, v2, 23, 1
; %bb.942:                              ;   in Loop: Header=BB2_133 Depth=3
	s_or_b64 exec, exec, s[26:27]
	v_lshrrev_b64 v[2:3], 21, v[2:3]
	v_cmp_gt_i32_e32 vcc, 32, v4
	v_cndmask_b32_e32 v3, 0, v3, vcc
	v_cndmask_b32_e32 v2, 3, v2, vcc
	v_cmp_eq_u64_e64 s[26:27], 0, v[2:3]
	v_min_i32_e32 v3, 31, v4
	v_lshlrev_b32_e32 v3, 2, v3
	v_cmp_eq_u32_e32 vcc, 0, v4
	v_and_b32_e32 v3, 0xfc, v3
	v_and_or_b32 v2, v2, 3, v3
	s_and_b64 s[26:27], vcc, s[26:27]
	v_cndmask_b32_e64 v2, v2, 0, s[26:27]
	v_or_b32_e32 v32, v2, v33
.LBB2_943:                              ;   in Loop: Header=BB2_133 Depth=3
	s_or_b64 exec, exec, s[34:35]
                                        ; implicit-def: $vgpr33
.LBB2_944:                              ;   in Loop: Header=BB2_133 Depth=3
	s_andn2_saveexec_b64 s[26:27], s[30:31]
; %bb.945:                              ;   in Loop: Header=BB2_133 Depth=3
	v_or_b32_e32 v32, 0x7b, v33
; %bb.946:                              ;   in Loop: Header=BB2_133 Depth=3
	s_or_b64 exec, exec, s[26:27]
                                        ; implicit-def: $vgpr4
                                        ; implicit-def: $vgpr2_vgpr3
.LBB2_947:                              ;   in Loop: Header=BB2_133 Depth=3
	s_andn2_saveexec_b64 s[26:27], s[94:95]
	s_cbranch_execz .LBB2_953
; %bb.948:                              ;   in Loop: Header=BB2_133 Depth=3
	v_cmp_ne_u64_e32 vcc, 0, v[2:3]
                                        ; implicit-def: $vgpr32
	s_and_saveexec_b64 s[94:95], vcc
	s_xor_b64 s[94:95], exec, s[94:95]
; %bb.949:                              ;   in Loop: Header=BB2_133 Depth=3
	v_or_b32_sdwa v32, v4, s47 dst_sel:DWORD dst_unused:UNUSED_PAD src0_sel:BYTE_3 src1_sel:DWORD
                                        ; implicit-def: $vgpr4
; %bb.950:                              ;   in Loop: Header=BB2_133 Depth=3
	s_andn2_saveexec_b64 s[94:95], s[94:95]
; %bb.951:                              ;   in Loop: Header=BB2_133 Depth=3
	v_cmp_lt_i32_e32 vcc, -1, v4
	v_cndmask_b32_e32 v32, v6, v22, vcc
; %bb.952:                              ;   in Loop: Header=BB2_133 Depth=3
	s_or_b64 exec, exec, s[94:95]
.LBB2_953:                              ;   in Loop: Header=BB2_133 Depth=3
	s_or_b64 exec, exec, s[26:27]
	v_lshrrev_b16_e32 v2, 8, v28
	v_cmp_ne_u16_e32 vcc, 0, v2
	v_mov_b32_e32 v3, 0
	s_and_saveexec_b64 s[26:27], vcc
	s_cbranch_execz .LBB2_961
; %bb.954:                              ;   in Loop: Header=BB2_133 Depth=3
	v_cmp_ne_u16_e32 vcc, s96, v2
	v_bfrev_b32_e32 v3, 1
	s_and_saveexec_b64 s[94:95], vcc
	s_cbranch_execz .LBB2_960
; %bb.955:                              ;   in Loop: Header=BB2_133 Depth=3
	v_and_b32_e32 v3, 0x7c, v2
	v_and_b32_e32 v4, 3, v2
	v_cmp_ne_u32_e32 vcc, s85, v3
                                        ; implicit-def: $vgpr3
	s_and_saveexec_b64 s[30:31], vcc
	s_xor_b64 s[30:31], exec, s[30:31]
	s_cbranch_execz .LBB2_957
; %bb.956:                              ;   in Loop: Header=BB2_133 Depth=3
	v_ffbh_u32_e32 v38, v4
	v_min_u32_e32 v38, 32, v38
	v_mov_b32_e32 v3, v29
	v_subrev_u32_e32 v39, 29, v38
	v_bfe_u32 v33, v2, 2, 5
	v_lshlrev_b64 v[2:3], v39, v[2:3]
	v_cmp_eq_u32_e32 vcc, 0, v33
	v_and_b32_e32 v2, 3, v2
	v_sub_u32_e32 v3, 30, v38
	v_cndmask_b32_e32 v2, v4, v2, vcc
	v_lshlrev_b32_e32 v4, 16, v28
	v_cndmask_b32_e32 v3, v33, v3, vcc
	v_and_b32_e32 v4, 0x80000000, v4
	v_lshl_add_u32 v3, v3, 23, v4
	v_lshl_or_b32 v2, v2, 21, v3
	v_add_u32_e32 v3, 0x38000000, v2
                                        ; implicit-def: $vgpr4
.LBB2_957:                              ;   in Loop: Header=BB2_133 Depth=3
	s_andn2_saveexec_b64 s[30:31], s[30:31]
; %bb.958:                              ;   in Loop: Header=BB2_133 Depth=3
	v_cmp_lt_i16_e32 vcc, -1, v28
	v_cndmask_b32_e32 v2, v7, v0, vcc
	v_cmp_eq_u32_e32 vcc, 0, v4
	v_cndmask_b32_e32 v3, v35, v2, vcc
; %bb.959:                              ;   in Loop: Header=BB2_133 Depth=3
	s_or_b64 exec, exec, s[30:31]
.LBB2_960:                              ;   in Loop: Header=BB2_133 Depth=3
	s_or_b64 exec, exec, s[94:95]
.LBB2_961:                              ;   in Loop: Header=BB2_133 Depth=3
	s_or_b64 exec, exec, s[26:27]
	v_mul_f32_e32 v2, v30, v3
	v_and_b32_e32 v3, 0x7f800000, v2
	v_mov_b32_e32 v4, v29
	v_cmp_ne_u64_e32 vcc, s[76:77], v[3:4]
	v_and_b32_e32 v28, 0x7fffff, v2
                                        ; implicit-def: $vgpr33
	s_and_saveexec_b64 s[26:27], vcc
	s_xor_b64 s[94:95], exec, s[26:27]
	s_cbranch_execz .LBB2_975
; %bb.962:                              ;   in Loop: Header=BB2_133 Depth=3
	v_and_b32_e32 v3, 0x7fffffff, v2
	v_mov_b32_e32 v4, v29
	v_cmp_gt_u64_e32 vcc, s[78:79], v[3:4]
	v_and_b32_sdwa v49, v2, s96 dst_sel:DWORD dst_unused:UNUSED_PAD src0_sel:BYTE_3 src1_sel:DWORD
                                        ; implicit-def: $vgpr33
	s_and_saveexec_b64 s[26:27], vcc
	s_xor_b64 s[30:31], exec, s[26:27]
	s_cbranch_execz .LBB2_972
; %bb.963:                              ;   in Loop: Header=BB2_133 Depth=3
	v_mov_b32_e32 v33, 0
	v_cmp_ne_u32_e32 vcc, 0, v2
	s_and_saveexec_b64 s[34:35], vcc
	s_cbranch_execz .LBB2_971
; %bb.964:                              ;   in Loop: Header=BB2_133 Depth=3
	v_bfe_u32 v33, v2, 23, 8
	v_cmp_gt_u32_e64 s[26:27], s46, v33
	v_sub_u32_e32 v2, 0x71, v33
	v_cmp_eq_u32_e32 vcc, 0, v33
	v_cndmask_b32_e64 v2, 0, v2, s[26:27]
	v_mov_b32_e32 v4, 0x70
	v_cndmask_b32_e32 v51, v2, v4, vcc
	v_add_u32_e32 v4, 21, v51
	v_or_b32_e32 v3, 0x800000, v28
	v_lshlrev_b64 v[38:39], v4, -1
	v_cndmask_b32_e32 v2, v3, v28, vcc
	v_mov_b32_e32 v3, v29
	v_add_u32_e32 v4, 20, v51
	v_mov_b32_e32 v58, v56
	v_bfi_b32 v38, v38, 0, v2
	v_lshlrev_b64 v[56:57], v4, 1
	v_lshrrev_b64 v[2:3], v51, v[2:3]
	v_bfi_b32 v39, v39, 0, 0
	v_cmp_eq_u64_e64 s[26:27], v[38:39], v[56:57]
	v_mov_b32_e32 v4, v3
	v_mov_b32_e32 v3, v2
	s_and_saveexec_b64 s[36:37], s[26:27]
; %bb.965:                              ;   in Loop: Header=BB2_133 Depth=3
	v_bfe_u32 v3, v2, 21, 1
	v_add_co_u32_e64 v3, s[26:27], v2, v3
	v_add_co_u32_e64 v3, s[26:27], -1, v3
; %bb.966:                              ;   in Loop: Header=BB2_133 Depth=3
	s_or_b64 exec, exec, s[36:37]
	v_add_u32_e32 v4, 0xffffff81, v33
	v_cndmask_b32_e32 v4, v4, v1, vcc
	v_lshrrev_b32_e32 v28, 23, v2
	v_add3_u32 v51, v51, v4, v28
	v_add_u32_e32 v33, 14, v51
	v_and_b32_e32 v3, 0x1fffff, v3
	v_add_u32_e32 v28, v3, v2
	v_cmp_ne_u32_e32 vcc, 0, v33
                                        ; implicit-def: $vgpr2_vgpr3
                                        ; implicit-def: $vgpr4
	s_and_saveexec_b64 s[26:27], vcc
	s_xor_b64 s[26:27], exec, s[26:27]
; %bb.967:                              ;   in Loop: Header=BB2_133 Depth=3
	v_cmp_lt_u64_e32 vcc, s[88:89], v[28:29]
	v_add_u32_e32 v2, 15, v51
	v_cndmask_b32_e32 v4, v33, v2, vcc
	v_cndmask_b32_e64 v2, 0, 1, vcc
	v_lshrrev_b64 v[2:3], v2, v[28:29]
; %bb.968:                              ;   in Loop: Header=BB2_133 Depth=3
	s_or_saveexec_b64 s[26:27], s[26:27]
	v_mov_b32_e32 v56, v58
	s_xor_b64 exec, exec, s[26:27]
; %bb.969:                              ;   in Loop: Header=BB2_133 Depth=3
	v_mov_b32_e32 v2, v28
	v_mov_b32_e32 v3, v29
	v_bfe_u32 v4, v28, 23, 1
; %bb.970:                              ;   in Loop: Header=BB2_133 Depth=3
	s_or_b64 exec, exec, s[26:27]
	v_lshrrev_b64 v[2:3], 21, v[2:3]
	v_cmp_gt_i32_e32 vcc, 32, v4
	v_cndmask_b32_e32 v3, 0, v3, vcc
	v_cndmask_b32_e32 v2, 3, v2, vcc
	v_cmp_eq_u64_e64 s[26:27], 0, v[2:3]
	v_min_i32_e32 v3, 31, v4
	v_lshlrev_b32_e32 v3, 2, v3
	v_cmp_eq_u32_e32 vcc, 0, v4
	v_and_b32_e32 v3, 0xfc, v3
	v_and_or_b32 v2, v2, 3, v3
	s_and_b64 s[26:27], vcc, s[26:27]
	v_cndmask_b32_e64 v2, v2, 0, s[26:27]
	v_or_b32_e32 v33, v2, v49
.LBB2_971:                              ;   in Loop: Header=BB2_133 Depth=3
	s_or_b64 exec, exec, s[34:35]
                                        ; implicit-def: $vgpr49
.LBB2_972:                              ;   in Loop: Header=BB2_133 Depth=3
	s_andn2_saveexec_b64 s[26:27], s[30:31]
; %bb.973:                              ;   in Loop: Header=BB2_133 Depth=3
	v_or_b32_e32 v33, 0x7b, v49
; %bb.974:                              ;   in Loop: Header=BB2_133 Depth=3
	s_or_b64 exec, exec, s[26:27]
                                        ; implicit-def: $vgpr2
.LBB2_975:                              ;   in Loop: Header=BB2_133 Depth=3
	s_andn2_saveexec_b64 s[26:27], s[94:95]
	s_cbranch_execz .LBB2_981
; %bb.976:                              ;   in Loop: Header=BB2_133 Depth=3
	v_cmp_ne_u64_e32 vcc, 0, v[28:29]
                                        ; implicit-def: $vgpr33
	s_and_saveexec_b64 s[94:95], vcc
	s_xor_b64 s[94:95], exec, s[94:95]
; %bb.977:                              ;   in Loop: Header=BB2_133 Depth=3
	v_or_b32_sdwa v33, v2, s47 dst_sel:DWORD dst_unused:UNUSED_PAD src0_sel:BYTE_3 src1_sel:DWORD
                                        ; implicit-def: $vgpr2
; %bb.978:                              ;   in Loop: Header=BB2_133 Depth=3
	s_andn2_saveexec_b64 s[94:95], s[94:95]
; %bb.979:                              ;   in Loop: Header=BB2_133 Depth=3
	v_cmp_lt_i32_e32 vcc, -1, v2
	v_cndmask_b32_e32 v33, v6, v22, vcc
; %bb.980:                              ;   in Loop: Header=BB2_133 Depth=3
	s_or_b64 exec, exec, s[94:95]
.LBB2_981:                              ;   in Loop: Header=BB2_133 Depth=3
	s_or_b64 exec, exec, s[26:27]
	v_lshrrev_b32_e32 v2, 16, v11
	v_cmp_ne_u16_sdwa s[94:95], v2, v29 src0_sel:BYTE_0 src1_sel:DWORD
	v_mov_b32_e32 v3, 0
	s_and_saveexec_b64 s[26:27], s[94:95]
	s_cbranch_execz .LBB2_989
; %bb.982:                              ;   in Loop: Header=BB2_133 Depth=3
	v_cmp_ne_u16_sdwa vcc, v2, s96 src0_sel:BYTE_0 src1_sel:DWORD
	v_bfrev_b32_e32 v3, 1
	s_and_saveexec_b64 s[94:95], vcc
	s_cbranch_execz .LBB2_988
; %bb.983:                              ;   in Loop: Header=BB2_133 Depth=3
	v_and_b32_e32 v3, 0x7c0000, v11
	v_bfe_u32 v4, v11, 16, 2
	v_cmp_ne_u32_e32 vcc, s44, v3
                                        ; implicit-def: $vgpr3
	s_and_saveexec_b64 s[30:31], vcc
	s_xor_b64 s[30:31], exec, s[30:31]
	s_cbranch_execz .LBB2_985
; %bb.984:                              ;   in Loop: Header=BB2_133 Depth=3
	v_ffbh_u32_e32 v3, v4
	v_min_u32_e32 v38, 32, v3
	v_subrev_u32_e32 v3, 29, v38
	v_lshlrev_b64 v[2:3], v3, v[2:3]
	v_bfe_u32 v28, v11, 18, 5
	v_and_b32_e32 v2, 3, v2
	v_cmp_eq_u32_e32 vcc, 0, v28
	v_sub_u32_e32 v3, 30, v38
	v_cndmask_b32_e32 v2, v4, v2, vcc
	v_lshlrev_b32_e32 v4, 8, v11
	v_cndmask_b32_e32 v3, v28, v3, vcc
	v_and_b32_e32 v4, 0x80000000, v4
	v_lshl_add_u32 v3, v3, 23, v4
	v_lshl_or_b32 v2, v2, 21, v3
	v_add_u32_e32 v3, 0x38000000, v2
                                        ; implicit-def: $vgpr4
                                        ; implicit-def: $vgpr2
.LBB2_985:                              ;   in Loop: Header=BB2_133 Depth=3
	s_andn2_saveexec_b64 s[30:31], s[30:31]
; %bb.986:                              ;   in Loop: Header=BB2_133 Depth=3
	v_cmp_gt_i16_sdwa vcc, sext(v2), v48 src0_sel:BYTE_0 src1_sel:DWORD
	v_cndmask_b32_e32 v2, v7, v0, vcc
	v_cmp_eq_u32_e32 vcc, 0, v4
	v_cndmask_b32_e32 v3, v35, v2, vcc
; %bb.987:                              ;   in Loop: Header=BB2_133 Depth=3
	s_or_b64 exec, exec, s[30:31]
.LBB2_988:                              ;   in Loop: Header=BB2_133 Depth=3
	s_or_b64 exec, exec, s[94:95]
.LBB2_989:                              ;   in Loop: Header=BB2_133 Depth=3
	s_or_b64 exec, exec, s[26:27]
	v_mul_f32_e32 v2, v30, v3
	v_and_b32_e32 v3, 0x7f800000, v2
	v_mov_b32_e32 v4, v29
	v_cmp_ne_u64_e32 vcc, s[76:77], v[3:4]
	v_and_b32_e32 v28, 0x7fffff, v2
                                        ; implicit-def: $vgpr49
	s_and_saveexec_b64 s[26:27], vcc
	s_xor_b64 s[94:95], exec, s[26:27]
	s_cbranch_execz .LBB2_1003
; %bb.990:                              ;   in Loop: Header=BB2_133 Depth=3
	v_and_b32_e32 v3, 0x7fffffff, v2
	v_mov_b32_e32 v4, v29
	v_cmp_gt_u64_e32 vcc, s[78:79], v[3:4]
	v_and_b32_sdwa v51, v2, s96 dst_sel:DWORD dst_unused:UNUSED_PAD src0_sel:BYTE_3 src1_sel:DWORD
                                        ; implicit-def: $vgpr49
	s_and_saveexec_b64 s[26:27], vcc
	s_xor_b64 s[30:31], exec, s[26:27]
	s_cbranch_execz .LBB2_1000
; %bb.991:                              ;   in Loop: Header=BB2_133 Depth=3
	v_mov_b32_e32 v49, 0
	v_cmp_ne_u32_e32 vcc, 0, v2
	s_and_saveexec_b64 s[34:35], vcc
	s_cbranch_execz .LBB2_999
; %bb.992:                              ;   in Loop: Header=BB2_133 Depth=3
	v_bfe_u32 v49, v2, 23, 8
	v_cmp_gt_u32_e64 s[26:27], s46, v49
	v_sub_u32_e32 v2, 0x71, v49
	v_cmp_eq_u32_e32 vcc, 0, v49
	v_cndmask_b32_e64 v2, 0, v2, s[26:27]
	v_mov_b32_e32 v4, 0x70
	v_mov_b32_e32 v58, v46
	v_cndmask_b32_e32 v46, v2, v4, vcc
	v_add_u32_e32 v4, 21, v46
	v_or_b32_e32 v3, 0x800000, v28
	v_lshlrev_b64 v[38:39], v4, -1
	v_cndmask_b32_e32 v2, v3, v28, vcc
	v_mov_b32_e32 v3, v29
	v_add_u32_e32 v4, 20, v46
	v_mov_b32_e32 v59, v56
	v_bfi_b32 v38, v38, 0, v2
	v_lshlrev_b64 v[56:57], v4, 1
	v_lshrrev_b64 v[2:3], v46, v[2:3]
	v_bfi_b32 v39, v39, 0, 0
	v_cmp_eq_u64_e64 s[26:27], v[38:39], v[56:57]
	v_mov_b32_e32 v4, v3
	v_mov_b32_e32 v3, v2
	s_and_saveexec_b64 s[36:37], s[26:27]
; %bb.993:                              ;   in Loop: Header=BB2_133 Depth=3
	v_bfe_u32 v3, v2, 21, 1
	v_add_co_u32_e64 v3, s[26:27], v2, v3
	v_add_co_u32_e64 v3, s[26:27], -1, v3
; %bb.994:                              ;   in Loop: Header=BB2_133 Depth=3
	s_or_b64 exec, exec, s[36:37]
	v_add_u32_e32 v4, 0xffffff81, v49
	v_cndmask_b32_e32 v4, v4, v1, vcc
	v_lshrrev_b32_e32 v28, 23, v2
	v_add3_u32 v46, v46, v4, v28
	v_add_u32_e32 v49, 14, v46
	v_and_b32_e32 v3, 0x1fffff, v3
	v_add_u32_e32 v28, v3, v2
	v_cmp_ne_u32_e32 vcc, 0, v49
                                        ; implicit-def: $vgpr2_vgpr3
                                        ; implicit-def: $vgpr4
	s_and_saveexec_b64 s[26:27], vcc
	s_xor_b64 s[26:27], exec, s[26:27]
; %bb.995:                              ;   in Loop: Header=BB2_133 Depth=3
	v_cmp_lt_u64_e32 vcc, s[88:89], v[28:29]
	v_add_u32_e32 v2, 15, v46
	v_cndmask_b32_e32 v4, v49, v2, vcc
	v_cndmask_b32_e64 v2, 0, 1, vcc
	v_lshrrev_b64 v[2:3], v2, v[28:29]
; %bb.996:                              ;   in Loop: Header=BB2_133 Depth=3
	s_or_saveexec_b64 s[26:27], s[26:27]
	v_mov_b32_e32 v46, v58
	v_mov_b32_e32 v56, v59
	s_xor_b64 exec, exec, s[26:27]
; %bb.997:                              ;   in Loop: Header=BB2_133 Depth=3
	v_mov_b32_e32 v2, v28
	v_mov_b32_e32 v3, v29
	v_bfe_u32 v4, v28, 23, 1
; %bb.998:                              ;   in Loop: Header=BB2_133 Depth=3
	s_or_b64 exec, exec, s[26:27]
	v_lshrrev_b64 v[2:3], 21, v[2:3]
	v_cmp_gt_i32_e32 vcc, 32, v4
	v_cndmask_b32_e32 v3, 0, v3, vcc
	v_cndmask_b32_e32 v2, 3, v2, vcc
	v_cmp_eq_u64_e64 s[26:27], 0, v[2:3]
	v_min_i32_e32 v3, 31, v4
	v_lshlrev_b32_e32 v3, 2, v3
	v_cmp_eq_u32_e32 vcc, 0, v4
	v_and_b32_e32 v3, 0xfc, v3
	v_and_or_b32 v2, v2, 3, v3
	s_and_b64 s[26:27], vcc, s[26:27]
	v_cndmask_b32_e64 v2, v2, 0, s[26:27]
	v_or_b32_e32 v49, v2, v51
.LBB2_999:                              ;   in Loop: Header=BB2_133 Depth=3
	s_or_b64 exec, exec, s[34:35]
                                        ; implicit-def: $vgpr51
.LBB2_1000:                             ;   in Loop: Header=BB2_133 Depth=3
	s_andn2_saveexec_b64 s[26:27], s[30:31]
; %bb.1001:                             ;   in Loop: Header=BB2_133 Depth=3
	v_or_b32_e32 v49, 0x7b, v51
; %bb.1002:                             ;   in Loop: Header=BB2_133 Depth=3
	s_or_b64 exec, exec, s[26:27]
                                        ; implicit-def: $vgpr2
.LBB2_1003:                             ;   in Loop: Header=BB2_133 Depth=3
	s_andn2_saveexec_b64 s[26:27], s[94:95]
	s_cbranch_execz .LBB2_1009
; %bb.1004:                             ;   in Loop: Header=BB2_133 Depth=3
	v_cmp_ne_u64_e32 vcc, 0, v[28:29]
                                        ; implicit-def: $vgpr49
	s_and_saveexec_b64 s[94:95], vcc
	s_xor_b64 s[94:95], exec, s[94:95]
; %bb.1005:                             ;   in Loop: Header=BB2_133 Depth=3
	v_or_b32_sdwa v49, v2, s47 dst_sel:DWORD dst_unused:UNUSED_PAD src0_sel:BYTE_3 src1_sel:DWORD
                                        ; implicit-def: $vgpr2
; %bb.1006:                             ;   in Loop: Header=BB2_133 Depth=3
	s_andn2_saveexec_b64 s[94:95], s[94:95]
; %bb.1007:                             ;   in Loop: Header=BB2_133 Depth=3
	v_cmp_lt_i32_e32 vcc, -1, v2
	v_cndmask_b32_e32 v49, v6, v22, vcc
; %bb.1008:                             ;   in Loop: Header=BB2_133 Depth=3
	s_or_b64 exec, exec, s[94:95]
.LBB2_1009:                             ;   in Loop: Header=BB2_133 Depth=3
	s_or_b64 exec, exec, s[26:27]
	v_cmp_lt_u64_e32 vcc, s[56:57], v[10:11]
	v_mov_b32_e32 v3, 0
	s_and_saveexec_b64 s[26:27], vcc
	s_cbranch_execz .LBB2_1017
; %bb.1010:                             ;   in Loop: Header=BB2_133 Depth=3
	v_lshrrev_b32_e32 v2, 24, v11
	v_cmp_ne_u32_e32 vcc, s96, v2
	v_bfrev_b32_e32 v3, 1
	s_and_saveexec_b64 s[94:95], vcc
	s_cbranch_execz .LBB2_1016
; %bb.1011:                             ;   in Loop: Header=BB2_133 Depth=3
	v_and_b32_e32 v3, 0x7c000000, v11
	v_bfe_u32 v4, v11, 24, 2
	v_cmp_ne_u32_e32 vcc, s45, v3
                                        ; implicit-def: $vgpr3
	s_and_saveexec_b64 s[30:31], vcc
	s_xor_b64 s[30:31], exec, s[30:31]
	s_cbranch_execz .LBB2_1013
; %bb.1012:                             ;   in Loop: Header=BB2_133 Depth=3
	v_ffbh_u32_e32 v3, v4
	v_min_u32_e32 v28, 32, v3
	v_subrev_u32_e32 v3, 29, v28
	v_lshlrev_b64 v[2:3], v3, v[2:3]
	v_bfe_u32 v10, v11, 26, 5
	v_sub_u32_e32 v3, 30, v28
	v_and_b32_e32 v2, 3, v2
	v_cmp_eq_u32_e32 vcc, 0, v10
	v_cndmask_b32_e32 v3, v10, v3, vcc
	v_cndmask_b32_e32 v2, v4, v2, vcc
	v_and_b32_e32 v4, 0x80000000, v11
	v_lshl_add_u32 v3, v3, 23, v4
	v_lshl_or_b32 v2, v2, 21, v3
	v_add_u32_e32 v3, 0x38000000, v2
                                        ; implicit-def: $vgpr4
                                        ; implicit-def: $vgpr10_vgpr11
.LBB2_1013:                             ;   in Loop: Header=BB2_133 Depth=3
	s_andn2_saveexec_b64 s[30:31], s[30:31]
; %bb.1014:                             ;   in Loop: Header=BB2_133 Depth=3
	v_cmp_lt_i64_e32 vcc, -1, v[10:11]
	v_cndmask_b32_e32 v2, v7, v0, vcc
	v_cmp_eq_u32_e32 vcc, 0, v4
	v_cndmask_b32_e32 v3, v35, v2, vcc
; %bb.1015:                             ;   in Loop: Header=BB2_133 Depth=3
	s_or_b64 exec, exec, s[30:31]
.LBB2_1016:                             ;   in Loop: Header=BB2_133 Depth=3
	s_or_b64 exec, exec, s[94:95]
.LBB2_1017:                             ;   in Loop: Header=BB2_133 Depth=3
	s_or_b64 exec, exec, s[26:27]
	v_mul_f32_e32 v3, v30, v3
	v_and_b32_e32 v10, 0x7f800000, v3
	v_mov_b32_e32 v11, v29
	v_cmp_ne_u64_e32 vcc, s[76:77], v[10:11]
	v_and_b32_e32 v28, 0x7fffff, v3
                                        ; implicit-def: $vgpr2
	s_and_saveexec_b64 s[26:27], vcc
	s_xor_b64 s[94:95], exec, s[26:27]
	s_cbranch_execz .LBB2_1031
; %bb.1018:                             ;   in Loop: Header=BB2_133 Depth=3
	v_and_b32_e32 v10, 0x7fffffff, v3
	v_mov_b32_e32 v11, v29
	v_cmp_gt_u64_e32 vcc, s[78:79], v[10:11]
	v_and_b32_sdwa v10, v3, s96 dst_sel:DWORD dst_unused:UNUSED_PAD src0_sel:BYTE_3 src1_sel:DWORD
                                        ; implicit-def: $vgpr2
	s_and_saveexec_b64 s[26:27], vcc
	s_xor_b64 s[30:31], exec, s[26:27]
	s_cbranch_execz .LBB2_1028
; %bb.1019:                             ;   in Loop: Header=BB2_133 Depth=3
	v_mov_b32_e32 v2, 0
	v_cmp_ne_u32_e32 vcc, 0, v3
	s_and_saveexec_b64 s[34:35], vcc
	s_cbranch_execz .LBB2_1027
; %bb.1020:                             ;   in Loop: Header=BB2_133 Depth=3
	v_bfe_u32 v11, v3, 23, 8
	v_cmp_gt_u32_e64 s[26:27], s46, v11
	v_sub_u32_e32 v2, 0x71, v11
	v_cmp_eq_u32_e32 vcc, 0, v11
	v_cndmask_b32_e64 v2, 0, v2, s[26:27]
	v_mov_b32_e32 v4, 0x70
	v_cndmask_b32_e32 v30, v2, v4, vcc
	v_add_u32_e32 v4, 21, v30
	v_or_b32_e32 v3, 0x800000, v28
	v_lshlrev_b64 v[38:39], v4, -1
	v_cndmask_b32_e32 v2, v3, v28, vcc
	v_mov_b32_e32 v3, v29
	v_add_u32_e32 v4, 20, v30
	v_mov_b32_e32 v51, v56
	v_bfi_b32 v38, v38, 0, v2
	v_lshlrev_b64 v[56:57], v4, 1
	v_lshrrev_b64 v[2:3], v30, v[2:3]
	v_bfi_b32 v39, v39, 0, 0
	v_cmp_eq_u64_e64 s[26:27], v[38:39], v[56:57]
	v_mov_b32_e32 v4, v3
	v_mov_b32_e32 v3, v2
	s_and_saveexec_b64 s[36:37], s[26:27]
; %bb.1021:                             ;   in Loop: Header=BB2_133 Depth=3
	v_bfe_u32 v3, v2, 21, 1
	v_add_co_u32_e64 v3, s[26:27], v2, v3
	v_add_co_u32_e64 v3, s[26:27], -1, v3
; %bb.1022:                             ;   in Loop: Header=BB2_133 Depth=3
	s_or_b64 exec, exec, s[36:37]
	v_add_u32_e32 v4, 0xffffff81, v11
	v_cndmask_b32_e32 v4, v4, v1, vcc
	v_lshrrev_b32_e32 v11, 23, v2
	v_add3_u32 v30, v30, v4, v11
	v_add_u32_e32 v11, 14, v30
	v_and_b32_e32 v3, 0x1fffff, v3
	v_add_u32_e32 v28, v3, v2
	v_cmp_ne_u32_e32 vcc, 0, v11
                                        ; implicit-def: $vgpr2_vgpr3
                                        ; implicit-def: $vgpr4
	s_and_saveexec_b64 s[26:27], vcc
	s_xor_b64 s[26:27], exec, s[26:27]
; %bb.1023:                             ;   in Loop: Header=BB2_133 Depth=3
	v_cmp_lt_u64_e32 vcc, s[88:89], v[28:29]
	v_add_u32_e32 v2, 15, v30
	v_cndmask_b32_e32 v4, v11, v2, vcc
	v_cndmask_b32_e64 v2, 0, 1, vcc
	v_lshrrev_b64 v[2:3], v2, v[28:29]
; %bb.1024:                             ;   in Loop: Header=BB2_133 Depth=3
	s_or_saveexec_b64 s[26:27], s[26:27]
	v_mov_b32_e32 v56, v51
	s_xor_b64 exec, exec, s[26:27]
; %bb.1025:                             ;   in Loop: Header=BB2_133 Depth=3
	v_mov_b32_e32 v2, v28
	v_mov_b32_e32 v3, v29
	v_bfe_u32 v4, v28, 23, 1
; %bb.1026:                             ;   in Loop: Header=BB2_133 Depth=3
	s_or_b64 exec, exec, s[26:27]
	v_lshrrev_b64 v[2:3], 21, v[2:3]
	v_cmp_gt_i32_e32 vcc, 32, v4
	v_cndmask_b32_e32 v3, 0, v3, vcc
	v_cndmask_b32_e32 v2, 3, v2, vcc
	v_cmp_eq_u64_e64 s[26:27], 0, v[2:3]
	v_min_i32_e32 v3, 31, v4
	v_lshlrev_b32_e32 v3, 2, v3
	v_cmp_eq_u32_e32 vcc, 0, v4
	v_and_b32_e32 v3, 0xfc, v3
	v_and_or_b32 v2, v2, 3, v3
	s_and_b64 s[26:27], vcc, s[26:27]
	v_cndmask_b32_e64 v2, v2, 0, s[26:27]
	v_or_b32_e32 v2, v2, v10
.LBB2_1027:                             ;   in Loop: Header=BB2_133 Depth=3
	s_or_b64 exec, exec, s[34:35]
                                        ; implicit-def: $vgpr10
.LBB2_1028:                             ;   in Loop: Header=BB2_133 Depth=3
	s_andn2_saveexec_b64 s[26:27], s[30:31]
; %bb.1029:                             ;   in Loop: Header=BB2_133 Depth=3
	v_or_b32_e32 v2, 0x7b, v10
; %bb.1030:                             ;   in Loop: Header=BB2_133 Depth=3
	s_or_b64 exec, exec, s[26:27]
                                        ; implicit-def: $vgpr3
.LBB2_1031:                             ;   in Loop: Header=BB2_133 Depth=3
	s_andn2_saveexec_b64 s[26:27], s[94:95]
	s_cbranch_execz .LBB2_132
; %bb.1032:                             ;   in Loop: Header=BB2_133 Depth=3
	v_cmp_ne_u64_e32 vcc, 0, v[28:29]
                                        ; implicit-def: $vgpr2
	s_and_saveexec_b64 s[94:95], vcc
	s_xor_b64 s[94:95], exec, s[94:95]
; %bb.1033:                             ;   in Loop: Header=BB2_133 Depth=3
	v_or_b32_sdwa v2, v3, s47 dst_sel:DWORD dst_unused:UNUSED_PAD src0_sel:BYTE_3 src1_sel:DWORD
                                        ; implicit-def: $vgpr3
; %bb.1034:                             ;   in Loop: Header=BB2_133 Depth=3
	s_andn2_saveexec_b64 s[94:95], s[94:95]
	s_cbranch_execz .LBB2_131
; %bb.1035:                             ;   in Loop: Header=BB2_133 Depth=3
	v_cmp_lt_i32_e32 vcc, -1, v3
	v_cndmask_b32_e32 v2, v6, v22, vcc
	s_branch .LBB2_131
.LBB2_1036:                             ;   in Loop: Header=BB2_57 Depth=2
	s_or_b64 exec, exec, s[28:29]
	buffer_load_dword v3, off, s[0:3], s33 offset:280 ; 4-byte Folded Reload
.LBB2_1037:                             ;   in Loop: Header=BB2_57 Depth=2
	s_or_b64 exec, exec, s[40:41]
	buffer_load_dword v2, off, s[0:3], s33 offset:248 ; 4-byte Folded Reload
	s_waitcnt vmcnt(1)
	v_lshlrev_b32_e32 v17, 11, v3
	s_mov_b64 s[26:27], 0
	v_mov_b32_e32 v10, 0
                                        ; implicit-def: $vgpr11
                                        ; implicit-def: $vgpr14
	s_waitcnt vmcnt(0)
	v_cmp_ne_u32_e32 vcc, v2, v17
	s_and_saveexec_b64 s[94:95], vcc
	s_cbranch_execz .LBB2_1499
; %bb.1038:                             ;   in Loop: Header=BB2_57 Depth=2
	buffer_load_dword v2, off, s[0:3], s33 offset:248 ; 4-byte Folded Reload
	buffer_load_dword v4, off, s[0:3], s33 offset:216 ; 4-byte Folded Reload
	s_waitcnt vmcnt(1)
	v_sub_u32_e32 v3, v2, v17
	v_lshlrev_b32_e32 v2, 6, v5
	s_waitcnt vmcnt(0)
	v_sub_u32_e32 v2, v4, v2
	v_ashrrev_i32_e32 v4, 31, v2
	v_lshrrev_b32_e32 v4, 26, v4
	v_add_u32_e32 v4, v2, v4
	v_ashrrev_i32_e32 v8, 6, v4
	v_and_b32_e32 v4, 0xffffffc0, v4
	v_sub_u32_e32 v5, v2, v4
	v_ashrrev_i32_e32 v4, 31, v3
	v_lshrrev_b32_e32 v4, 22, v4
	v_add_u32_e32 v4, v3, v4
	v_and_b32_e32 v18, 0xfffffc00, v4
	v_lshlrev_b32_e32 v2, 4, v5
	v_sub_u32_e32 v19, v3, v18
	v_lshl_add_u32 v2, v8, 10, v2
	v_ashrrev_i32_e32 v9, 10, v4
	v_cmp_lt_i32_e64 s[26:27], 15, v19
	v_sub_u32_e32 v30, v3, v2
	v_addc_co_u32_e64 v3, vcc, 0, v9, s[26:27]
	v_sub_u32_e32 v23, v3, v8
	v_cmp_lt_i32_e32 vcc, 15, v30
	s_and_saveexec_b64 s[30:31], vcc
	s_cbranch_execz .LBB2_1498
; %bb.1039:                             ;   in Loop: Header=BB2_57 Depth=2
	s_trap 2
	ds_read_b64 v[3:4], v0
	v_add_u32_e32 v31, v2, v17
	v_ashrrev_i32_e32 v32, 31, v31
	s_waitcnt lgkmcnt(0)
	v_readfirstlane_b32 s40, v3
	s_bfe_i32 s34, s40, 0x80000
	s_and_b32 s41, s40, 3
	s_bfe_u32 s28, s40, 0x50002
	s_and_b32 s29, s40, 0x7c
	s_cmpk_eq_i32 s29, 0x7c
	s_flbit_i32_b32 s29, s41
	s_cselect_b64 vcc, -1, 0
	s_min_u32 s29, s29, 32
	s_sub_i32 s35, s29, 29
	v_lshlrev_b64 v[2:3], s35, v[3:4]
	s_sub_i32 s29, 30, s29
	s_cmp_eq_u32 s28, 0
	v_and_b32_e32 v2, 3, v2
	s_cselect_b32 s35, s29, s28
	v_mov_b32_e32 v3, s41
	s_cselect_b64 s[28:29], -1, 0
	v_cndmask_b32_e64 v2, v3, v2, s[28:29]
	s_lshl_b32 s28, s40, 24
	s_and_b32 s28, s28, 0x80000000
	s_lshl_b32 s29, s35, 23
	s_add_i32 s29, s29, s28
	v_lshlrev_b32_e32 v2, 21, v2
	s_cmp_eq_u32 s41, 0
	s_sext_i32_i8 s40, s40
	v_or_b32_e32 v2, s29, v2
	s_cselect_b64 s[28:29], -1, 0
	s_cmp_gt_i32 s40, -1
	s_cselect_b64 s[40:41], -1, 0
	v_cndmask_b32_e64 v3, v7, v0, s[40:41]
	v_add_u32_e32 v2, 0x38000000, v2
	v_cndmask_b32_e64 v3, v35, v3, s[28:29]
	v_cndmask_b32_e32 v33, v2, v3, vcc
	s_mov_b64 s[40:41], 0
	s_and_b32 s50, s34, 0xff
	s_branch .LBB2_1042
.LBB2_1040:                             ;   in Loop: Header=BB2_1042 Depth=3
	s_or_b64 exec, exec, s[34:35]
.LBB2_1041:                             ;   in Loop: Header=BB2_1042 Depth=3
	s_or_b64 exec, exec, s[28:29]
	v_lshl_or_b32 v10, v16, 8, v53
	v_lshlrev_b32_e32 v11, 16, v44
	v_lshlrev_b32_e32 v8, 24, v8
	v_or3_b32 v44, v10, v11, v8
	v_lshl_or_b32 v8, v42, 8, v37
	v_lshlrev_b32_e32 v10, 16, v43
	v_lshlrev_b32_e32 v11, 24, v52
	v_or3_b32 v43, v8, v10, v11
	;; [unrolled: 4-line block ×3, first 2 shown]
	v_lshlrev_b32_e32 v2, 24, v2
	v_lshlrev_b32_e32 v8, 16, v49
	v_lshl_or_b32 v9, v47, 8, v46
	v_or3_b32 v46, v9, v8, v2
	buffer_load_dword v2, off, s[0:3], s33 offset:56 ; 4-byte Folded Reload
	v_add_co_u32_e32 v3, vcc, v40, v31
	v_addc_co_u32_e32 v4, vcc, v41, v32, vcc
	v_sub_u32_e32 v23, v23, v36
	global_store_dwordx4 v[3:4], v[43:46], off glc slc
	s_waitcnt vmcnt(1)
	v_sub_u32_e32 v30, v30, v2
	v_cmp_gt_i32_e32 vcc, 16, v30
	s_or_b64 s[40:41], vcc, s[40:41]
	v_add_co_u32_e32 v31, vcc, v31, v2
	v_addc_co_u32_e32 v32, vcc, 0, v32, vcc
	s_andn2_b64 exec, exec, s[40:41]
	s_cbranch_execz .LBB2_1497
.LBB2_1042:                             ;   Parent Loop BB2_47 Depth=1
                                        ;     Parent Loop BB2_57 Depth=2
                                        ; =>    This Inner Loop Header: Depth=3
	s_cmpk_lt_i32 s50, 0x80
	s_cbranch_scc1 .LBB2_1046
; %bb.1043:                             ;   in Loop: Header=BB2_1042 Depth=3
	s_and_b32 vcc_lo, 0xffff, s50
	s_mov_b64 s[28:29], -1
	s_cmpk_eq_i32 vcc_lo, 0x80
	s_cbranch_scc0 .LBB2_1045
; %bb.1044:                             ;   in Loop: Header=BB2_1042 Depth=3
	s_mov_b64 s[28:29], 0
.LBB2_1045:                             ;   in Loop: Header=BB2_1042 Depth=3
	s_brev_b32 s34, 1
	s_branch .LBB2_1048
.LBB2_1046:                             ;   in Loop: Header=BB2_1042 Depth=3
	s_mov_b64 s[28:29], 0
	s_brev_b32 s34, 1
	s_cbranch_execz .LBB2_1048
; %bb.1047:                             ;   in Loop: Header=BB2_1042 Depth=3
	s_and_b32 s28, 0xffff, s50
	s_cmp_lg_u32 s28, 0
	s_mov_b32 s34, 0
	s_cselect_b64 s[28:29], -1, 0
.LBB2_1048:                             ;   in Loop: Header=BB2_1042 Depth=3
	s_andn2_b64 vcc, exec, s[28:29]
	v_mov_b32_e32 v51, s34
	s_cbranch_vccnz .LBB2_1050
; %bb.1049:                             ;   in Loop: Header=BB2_1042 Depth=3
	v_mov_b32_e32 v51, v33
.LBB2_1050:                             ;   in Loop: Header=BB2_1042 Depth=3
	v_add_co_u32_e32 v2, vcc, v54, v31
	v_addc_co_u32_e32 v3, vcc, v55, v32, vcc
	global_load_dwordx4 v[8:11], v[2:3], off glc slc
	v_mov_b32_e32 v2, 0
	s_waitcnt vmcnt(0)
	v_cmp_ne_u16_sdwa vcc, v8, v29 src0_sel:BYTE_0 src1_sel:DWORD
	s_and_saveexec_b64 s[28:29], vcc
	s_cbranch_execz .LBB2_1058
; %bb.1051:                             ;   in Loop: Header=BB2_1042 Depth=3
	v_cmp_ne_u16_sdwa vcc, sext(v8), s97 src0_sel:BYTE_0 src1_sel:DWORD
	v_bfrev_b32_e32 v2, 1
	s_and_saveexec_b64 s[34:35], vcc
	s_cbranch_execz .LBB2_1057
; %bb.1052:                             ;   in Loop: Header=BB2_1042 Depth=3
	v_and_b32_e32 v2, 0x7c, v8
	v_and_b32_e32 v3, 3, v8
	v_cmp_ne_u32_e32 vcc, s85, v2
                                        ; implicit-def: $vgpr2
	s_and_saveexec_b64 s[36:37], vcc
	s_xor_b64 s[36:37], exec, s[36:37]
	s_cbranch_execz .LBB2_1054
; %bb.1053:                             ;   in Loop: Header=BB2_1042 Depth=3
	v_ffbh_u32_e32 v4, v3
	v_min_u32_e32 v4, 32, v4
	v_bfe_u32 v2, v8, 2, 5
	v_subrev_u32_e32 v14, 29, v4
	v_lshlrev_b64 v[37:38], v14, v[8:9]
	v_sub_u32_e32 v4, 30, v4
	v_cmp_eq_u32_e32 vcc, 0, v2
	v_cndmask_b32_e32 v2, v2, v4, vcc
	v_lshlrev_b32_e32 v4, 24, v8
	v_and_b32_e32 v14, 3, v37
	v_and_b32_e32 v4, 0x80000000, v4
	v_cndmask_b32_e32 v3, v3, v14, vcc
	v_lshl_add_u32 v2, v2, 23, v4
	v_lshl_or_b32 v2, v3, 21, v2
	v_add_u32_e32 v2, 0x38000000, v2
                                        ; implicit-def: $vgpr3
.LBB2_1054:                             ;   in Loop: Header=BB2_1042 Depth=3
	s_andn2_saveexec_b64 s[36:37], s[36:37]
; %bb.1055:                             ;   in Loop: Header=BB2_1042 Depth=3
	v_cmp_gt_i16_sdwa vcc, sext(v8), v48 src0_sel:BYTE_0 src1_sel:DWORD
	v_cndmask_b32_e32 v2, v7, v0, vcc
	v_cmp_eq_u32_e32 vcc, 0, v3
	v_cndmask_b32_e32 v2, v35, v2, vcc
; %bb.1056:                             ;   in Loop: Header=BB2_1042 Depth=3
	s_or_b64 exec, exec, s[36:37]
.LBB2_1057:                             ;   in Loop: Header=BB2_1042 Depth=3
	s_or_b64 exec, exec, s[34:35]
.LBB2_1058:                             ;   in Loop: Header=BB2_1042 Depth=3
	s_or_b64 exec, exec, s[28:29]
	v_mul_f32_e32 v2, v51, v2
	v_and_b32_e32 v3, 0x7f800000, v2
	v_mov_b32_e32 v4, v29
	v_cmp_ne_u64_e32 vcc, s[76:77], v[3:4]
	v_and_b32_e32 v28, 0x7fffff, v2
                                        ; implicit-def: $vgpr37
	s_and_saveexec_b64 s[28:29], vcc
	s_xor_b64 s[34:35], exec, s[28:29]
	s_cbranch_execz .LBB2_1072
; %bb.1059:                             ;   in Loop: Header=BB2_1042 Depth=3
	v_and_b32_e32 v3, 0x7fffffff, v2
	v_mov_b32_e32 v4, v29
	v_cmp_gt_u64_e32 vcc, s[78:79], v[3:4]
	v_and_b32_sdwa v14, v2, s96 dst_sel:DWORD dst_unused:UNUSED_PAD src0_sel:BYTE_3 src1_sel:DWORD
                                        ; implicit-def: $vgpr37
	s_and_saveexec_b64 s[28:29], vcc
	s_xor_b64 s[36:37], exec, s[28:29]
	s_cbranch_execz .LBB2_1069
; %bb.1060:                             ;   in Loop: Header=BB2_1042 Depth=3
	v_mov_b32_e32 v37, 0
	v_cmp_ne_u32_e32 vcc, 0, v2
	s_and_saveexec_b64 s[38:39], vcc
	s_cbranch_execz .LBB2_1068
; %bb.1061:                             ;   in Loop: Header=BB2_1042 Depth=3
	v_bfe_u32 v16, v2, 23, 8
	v_cmp_gt_u32_e64 s[28:29], s46, v16
	v_sub_u32_e32 v2, 0x71, v16
	v_cmp_eq_u32_e32 vcc, 0, v16
	v_cndmask_b32_e64 v2, 0, v2, s[28:29]
	v_mov_b32_e32 v4, 0x70
	v_cndmask_b32_e32 v37, v2, v4, vcc
	v_add_u32_e32 v4, 21, v37
	v_or_b32_e32 v3, 0x800000, v28
	v_lshlrev_b64 v[38:39], v4, -1
	v_cndmask_b32_e32 v2, v3, v28, vcc
	v_mov_b32_e32 v3, v29
	v_add_u32_e32 v4, 20, v37
	v_bfi_b32 v38, v38, 0, v2
	v_lshlrev_b64 v[49:50], v4, 1
	v_lshrrev_b64 v[2:3], v37, v[2:3]
	v_bfi_b32 v39, v39, 0, 0
	v_cmp_eq_u64_e64 s[28:29], v[38:39], v[49:50]
	v_mov_b32_e32 v4, v3
	v_mov_b32_e32 v3, v2
	s_and_saveexec_b64 s[48:49], s[28:29]
; %bb.1062:                             ;   in Loop: Header=BB2_1042 Depth=3
	v_bfe_u32 v3, v2, 21, 1
	v_add_co_u32_e64 v3, s[28:29], v2, v3
	v_add_co_u32_e64 v3, s[28:29], -1, v3
; %bb.1063:                             ;   in Loop: Header=BB2_1042 Depth=3
	s_or_b64 exec, exec, s[48:49]
	v_add_u32_e32 v4, 0xffffff81, v16
	v_cndmask_b32_e32 v4, v4, v1, vcc
	v_lshrrev_b32_e32 v16, 23, v2
	v_add3_u32 v37, v37, v4, v16
	v_add_u32_e32 v16, 14, v37
	v_and_b32_e32 v3, 0x1fffff, v3
	v_add_u32_e32 v28, v3, v2
	v_cmp_ne_u32_e32 vcc, 0, v16
                                        ; implicit-def: $vgpr2_vgpr3
                                        ; implicit-def: $vgpr4
	s_and_saveexec_b64 s[28:29], vcc
	s_xor_b64 s[28:29], exec, s[28:29]
; %bb.1064:                             ;   in Loop: Header=BB2_1042 Depth=3
	v_cmp_lt_u64_e32 vcc, s[88:89], v[28:29]
	v_add_u32_e32 v2, 15, v37
	v_cndmask_b32_e32 v4, v16, v2, vcc
	v_cndmask_b32_e64 v2, 0, 1, vcc
	v_lshrrev_b64 v[2:3], v2, v[28:29]
; %bb.1065:                             ;   in Loop: Header=BB2_1042 Depth=3
	s_andn2_saveexec_b64 s[28:29], s[28:29]
; %bb.1066:                             ;   in Loop: Header=BB2_1042 Depth=3
	v_mov_b32_e32 v2, v28
	v_mov_b32_e32 v3, v29
	v_bfe_u32 v4, v28, 23, 1
; %bb.1067:                             ;   in Loop: Header=BB2_1042 Depth=3
	s_or_b64 exec, exec, s[28:29]
	v_lshrrev_b64 v[2:3], 21, v[2:3]
	v_cmp_gt_i32_e32 vcc, 32, v4
	v_cndmask_b32_e32 v3, 0, v3, vcc
	v_cndmask_b32_e32 v2, 3, v2, vcc
	v_cmp_eq_u64_e64 s[28:29], 0, v[2:3]
	v_min_i32_e32 v3, 31, v4
	v_lshlrev_b32_e32 v3, 2, v3
	v_cmp_eq_u32_e32 vcc, 0, v4
	v_and_b32_e32 v3, 0xfc, v3
	v_and_or_b32 v2, v2, 3, v3
	s_and_b64 s[28:29], vcc, s[28:29]
	v_cndmask_b32_e64 v2, v2, 0, s[28:29]
	v_or_b32_e32 v37, v2, v14
.LBB2_1068:                             ;   in Loop: Header=BB2_1042 Depth=3
	s_or_b64 exec, exec, s[38:39]
                                        ; implicit-def: $vgpr14
.LBB2_1069:                             ;   in Loop: Header=BB2_1042 Depth=3
	s_andn2_saveexec_b64 s[28:29], s[36:37]
; %bb.1070:                             ;   in Loop: Header=BB2_1042 Depth=3
	v_or_b32_e32 v37, 0x7b, v14
; %bb.1071:                             ;   in Loop: Header=BB2_1042 Depth=3
	s_or_b64 exec, exec, s[28:29]
                                        ; implicit-def: $vgpr2
.LBB2_1072:                             ;   in Loop: Header=BB2_1042 Depth=3
	s_andn2_saveexec_b64 s[28:29], s[34:35]
	s_cbranch_execz .LBB2_1078
; %bb.1073:                             ;   in Loop: Header=BB2_1042 Depth=3
	v_cmp_ne_u64_e32 vcc, 0, v[28:29]
                                        ; implicit-def: $vgpr37
	s_and_saveexec_b64 s[34:35], vcc
	s_xor_b64 vcc, exec, s[34:35]
; %bb.1074:                             ;   in Loop: Header=BB2_1042 Depth=3
	v_or_b32_sdwa v37, v2, s47 dst_sel:DWORD dst_unused:UNUSED_PAD src0_sel:BYTE_3 src1_sel:DWORD
                                        ; implicit-def: $vgpr2
; %bb.1075:                             ;   in Loop: Header=BB2_1042 Depth=3
	s_andn2_saveexec_b64 s[34:35], vcc
; %bb.1076:                             ;   in Loop: Header=BB2_1042 Depth=3
	v_cmp_lt_i32_e32 vcc, -1, v2
	v_cndmask_b32_e32 v37, v6, v22, vcc
; %bb.1077:                             ;   in Loop: Header=BB2_1042 Depth=3
	s_or_b64 exec, exec, s[34:35]
.LBB2_1078:                             ;   in Loop: Header=BB2_1042 Depth=3
	s_or_b64 exec, exec, s[28:29]
	v_lshrrev_b16_e32 v2, 8, v8
	v_cmp_ne_u16_e32 vcc, 0, v2
	v_mov_b32_e32 v3, 0
	s_and_saveexec_b64 s[28:29], vcc
	s_cbranch_execz .LBB2_1086
; %bb.1079:                             ;   in Loop: Header=BB2_1042 Depth=3
	v_cmp_ne_u16_e32 vcc, s96, v2
	v_bfrev_b32_e32 v3, 1
	s_and_saveexec_b64 s[34:35], vcc
	s_cbranch_execz .LBB2_1085
; %bb.1080:                             ;   in Loop: Header=BB2_1042 Depth=3
	v_and_b32_e32 v3, 0x7c, v2
	v_and_b32_e32 v4, 3, v2
	v_cmp_ne_u32_e32 vcc, s85, v3
                                        ; implicit-def: $vgpr3
	s_and_saveexec_b64 s[36:37], vcc
	s_xor_b64 s[36:37], exec, s[36:37]
	s_cbranch_execz .LBB2_1082
; %bb.1081:                             ;   in Loop: Header=BB2_1042 Depth=3
	v_ffbh_u32_e32 v16, v4
	v_min_u32_e32 v16, 32, v16
	v_mov_b32_e32 v3, v29
	v_subrev_u32_e32 v28, 29, v16
	v_bfe_u32 v14, v2, 2, 5
	v_lshlrev_b64 v[2:3], v28, v[2:3]
	v_cmp_eq_u32_e32 vcc, 0, v14
	v_and_b32_e32 v2, 3, v2
	v_sub_u32_e32 v3, 30, v16
	v_cndmask_b32_e32 v2, v4, v2, vcc
	v_lshlrev_b32_e32 v4, 16, v8
	v_cndmask_b32_e32 v3, v14, v3, vcc
	v_and_b32_e32 v4, 0x80000000, v4
	v_lshl_add_u32 v3, v3, 23, v4
	v_lshl_or_b32 v2, v2, 21, v3
	v_add_u32_e32 v3, 0x38000000, v2
                                        ; implicit-def: $vgpr4
.LBB2_1082:                             ;   in Loop: Header=BB2_1042 Depth=3
	s_andn2_saveexec_b64 s[36:37], s[36:37]
; %bb.1083:                             ;   in Loop: Header=BB2_1042 Depth=3
	v_cmp_lt_i16_e32 vcc, -1, v8
	v_cndmask_b32_e32 v2, v7, v0, vcc
	v_cmp_eq_u32_e32 vcc, 0, v4
	v_cndmask_b32_e32 v3, v35, v2, vcc
; %bb.1084:                             ;   in Loop: Header=BB2_1042 Depth=3
	s_or_b64 exec, exec, s[36:37]
.LBB2_1085:                             ;   in Loop: Header=BB2_1042 Depth=3
	s_or_b64 exec, exec, s[34:35]
.LBB2_1086:                             ;   in Loop: Header=BB2_1042 Depth=3
	s_or_b64 exec, exec, s[28:29]
	v_mul_f32_e32 v2, v51, v3
	v_and_b32_e32 v3, 0x7f800000, v2
	v_mov_b32_e32 v4, v29
	v_cmp_ne_u64_e32 vcc, s[76:77], v[3:4]
	v_and_b32_e32 v28, 0x7fffff, v2
                                        ; implicit-def: $vgpr42
	s_and_saveexec_b64 s[28:29], vcc
	s_xor_b64 s[34:35], exec, s[28:29]
	s_cbranch_execz .LBB2_1100
; %bb.1087:                             ;   in Loop: Header=BB2_1042 Depth=3
	v_and_b32_e32 v3, 0x7fffffff, v2
	v_mov_b32_e32 v4, v29
	v_cmp_gt_u64_e32 vcc, s[78:79], v[3:4]
	v_and_b32_sdwa v14, v2, s96 dst_sel:DWORD dst_unused:UNUSED_PAD src0_sel:BYTE_3 src1_sel:DWORD
                                        ; implicit-def: $vgpr42
	s_and_saveexec_b64 s[28:29], vcc
	s_xor_b64 s[36:37], exec, s[28:29]
	s_cbranch_execz .LBB2_1097
; %bb.1088:                             ;   in Loop: Header=BB2_1042 Depth=3
	v_mov_b32_e32 v42, 0
	v_cmp_ne_u32_e32 vcc, 0, v2
	s_and_saveexec_b64 s[38:39], vcc
	s_cbranch_execz .LBB2_1096
; %bb.1089:                             ;   in Loop: Header=BB2_1042 Depth=3
	v_bfe_u32 v16, v2, 23, 8
	v_cmp_gt_u32_e64 s[28:29], s46, v16
	v_sub_u32_e32 v2, 0x71, v16
	v_cmp_eq_u32_e32 vcc, 0, v16
	v_cndmask_b32_e64 v2, 0, v2, s[28:29]
	v_mov_b32_e32 v4, 0x70
	v_cndmask_b32_e32 v49, v2, v4, vcc
	v_add_u32_e32 v4, 21, v49
	v_or_b32_e32 v3, 0x800000, v28
	v_lshlrev_b64 v[38:39], v4, -1
	v_cndmask_b32_e32 v2, v3, v28, vcc
	v_mov_b32_e32 v3, v29
	v_add_u32_e32 v4, 20, v49
	v_bfi_b32 v38, v38, 0, v2
	v_lshlrev_b64 v[52:53], v4, 1
	v_lshrrev_b64 v[2:3], v49, v[2:3]
	v_bfi_b32 v39, v39, 0, 0
	v_cmp_eq_u64_e64 s[28:29], v[38:39], v[52:53]
	v_mov_b32_e32 v4, v3
	v_mov_b32_e32 v3, v2
	s_and_saveexec_b64 s[48:49], s[28:29]
; %bb.1090:                             ;   in Loop: Header=BB2_1042 Depth=3
	v_bfe_u32 v3, v2, 21, 1
	v_add_co_u32_e64 v3, s[28:29], v2, v3
	v_add_co_u32_e64 v3, s[28:29], -1, v3
; %bb.1091:                             ;   in Loop: Header=BB2_1042 Depth=3
	s_or_b64 exec, exec, s[48:49]
	v_add_u32_e32 v4, 0xffffff81, v16
	v_cndmask_b32_e32 v4, v4, v1, vcc
	v_lshrrev_b32_e32 v16, 23, v2
	v_add3_u32 v49, v49, v4, v16
	v_add_u32_e32 v16, 14, v49
	v_and_b32_e32 v3, 0x1fffff, v3
	v_add_u32_e32 v28, v3, v2
	v_cmp_ne_u32_e32 vcc, 0, v16
                                        ; implicit-def: $vgpr2_vgpr3
                                        ; implicit-def: $vgpr4
	s_and_saveexec_b64 s[28:29], vcc
	s_xor_b64 s[28:29], exec, s[28:29]
; %bb.1092:                             ;   in Loop: Header=BB2_1042 Depth=3
	v_cmp_lt_u64_e32 vcc, s[88:89], v[28:29]
	v_add_u32_e32 v2, 15, v49
	v_cndmask_b32_e32 v4, v16, v2, vcc
	v_cndmask_b32_e64 v2, 0, 1, vcc
	v_lshrrev_b64 v[2:3], v2, v[28:29]
; %bb.1093:                             ;   in Loop: Header=BB2_1042 Depth=3
	s_andn2_saveexec_b64 s[28:29], s[28:29]
; %bb.1094:                             ;   in Loop: Header=BB2_1042 Depth=3
	v_mov_b32_e32 v2, v28
	v_mov_b32_e32 v3, v29
	v_bfe_u32 v4, v28, 23, 1
; %bb.1095:                             ;   in Loop: Header=BB2_1042 Depth=3
	s_or_b64 exec, exec, s[28:29]
	v_lshrrev_b64 v[2:3], 21, v[2:3]
	v_cmp_gt_i32_e32 vcc, 32, v4
	v_cndmask_b32_e32 v3, 0, v3, vcc
	v_cndmask_b32_e32 v2, 3, v2, vcc
	v_cmp_eq_u64_e64 s[28:29], 0, v[2:3]
	v_min_i32_e32 v3, 31, v4
	v_lshlrev_b32_e32 v3, 2, v3
	v_cmp_eq_u32_e32 vcc, 0, v4
	v_and_b32_e32 v3, 0xfc, v3
	v_and_or_b32 v2, v2, 3, v3
	s_and_b64 s[28:29], vcc, s[28:29]
	v_cndmask_b32_e64 v2, v2, 0, s[28:29]
	v_or_b32_e32 v42, v2, v14
.LBB2_1096:                             ;   in Loop: Header=BB2_1042 Depth=3
	s_or_b64 exec, exec, s[38:39]
                                        ; implicit-def: $vgpr14
.LBB2_1097:                             ;   in Loop: Header=BB2_1042 Depth=3
	s_andn2_saveexec_b64 s[28:29], s[36:37]
; %bb.1098:                             ;   in Loop: Header=BB2_1042 Depth=3
	v_or_b32_e32 v42, 0x7b, v14
; %bb.1099:                             ;   in Loop: Header=BB2_1042 Depth=3
	s_or_b64 exec, exec, s[28:29]
                                        ; implicit-def: $vgpr2
.LBB2_1100:                             ;   in Loop: Header=BB2_1042 Depth=3
	s_andn2_saveexec_b64 s[28:29], s[34:35]
	s_cbranch_execz .LBB2_1106
; %bb.1101:                             ;   in Loop: Header=BB2_1042 Depth=3
	v_cmp_ne_u64_e32 vcc, 0, v[28:29]
                                        ; implicit-def: $vgpr42
	s_and_saveexec_b64 s[34:35], vcc
	s_xor_b64 vcc, exec, s[34:35]
; %bb.1102:                             ;   in Loop: Header=BB2_1042 Depth=3
	v_or_b32_sdwa v42, v2, s47 dst_sel:DWORD dst_unused:UNUSED_PAD src0_sel:BYTE_3 src1_sel:DWORD
                                        ; implicit-def: $vgpr2
; %bb.1103:                             ;   in Loop: Header=BB2_1042 Depth=3
	s_andn2_saveexec_b64 s[34:35], vcc
; %bb.1104:                             ;   in Loop: Header=BB2_1042 Depth=3
	v_cmp_lt_i32_e32 vcc, -1, v2
	v_cndmask_b32_e32 v42, v6, v22, vcc
; %bb.1105:                             ;   in Loop: Header=BB2_1042 Depth=3
	s_or_b64 exec, exec, s[34:35]
.LBB2_1106:                             ;   in Loop: Header=BB2_1042 Depth=3
	s_or_b64 exec, exec, s[28:29]
	v_lshrrev_b32_e32 v2, 16, v8
	v_cmp_ne_u16_sdwa vcc, v2, v29 src0_sel:BYTE_0 src1_sel:DWORD
	v_mov_b32_e32 v3, 0
	s_and_saveexec_b64 s[28:29], vcc
	s_cbranch_execz .LBB2_1114
; %bb.1107:                             ;   in Loop: Header=BB2_1042 Depth=3
	v_cmp_ne_u16_sdwa vcc, v2, s96 src0_sel:BYTE_0 src1_sel:DWORD
	v_bfrev_b32_e32 v3, 1
	s_and_saveexec_b64 s[34:35], vcc
	s_cbranch_execz .LBB2_1113
; %bb.1108:                             ;   in Loop: Header=BB2_1042 Depth=3
	v_and_b32_e32 v3, 0x7c0000, v8
	v_bfe_u32 v4, v8, 16, 2
	v_cmp_ne_u32_e32 vcc, s44, v3
                                        ; implicit-def: $vgpr3
	s_and_saveexec_b64 s[36:37], vcc
	s_xor_b64 s[36:37], exec, s[36:37]
	s_cbranch_execz .LBB2_1110
; %bb.1109:                             ;   in Loop: Header=BB2_1042 Depth=3
	v_ffbh_u32_e32 v3, v4
	v_min_u32_e32 v16, 32, v3
	v_subrev_u32_e32 v3, 29, v16
	v_lshlrev_b64 v[2:3], v3, v[2:3]
	v_bfe_u32 v14, v8, 18, 5
	v_and_b32_e32 v2, 3, v2
	v_cmp_eq_u32_e32 vcc, 0, v14
	v_sub_u32_e32 v3, 30, v16
	v_cndmask_b32_e32 v2, v4, v2, vcc
	v_lshlrev_b32_e32 v4, 8, v8
	v_cndmask_b32_e32 v3, v14, v3, vcc
	v_and_b32_e32 v4, 0x80000000, v4
	v_lshl_add_u32 v3, v3, 23, v4
	v_lshl_or_b32 v2, v2, 21, v3
	v_add_u32_e32 v3, 0x38000000, v2
                                        ; implicit-def: $vgpr4
                                        ; implicit-def: $vgpr2
.LBB2_1110:                             ;   in Loop: Header=BB2_1042 Depth=3
	s_andn2_saveexec_b64 s[36:37], s[36:37]
; %bb.1111:                             ;   in Loop: Header=BB2_1042 Depth=3
	v_cmp_gt_i16_sdwa vcc, sext(v2), v48 src0_sel:BYTE_0 src1_sel:DWORD
	v_cndmask_b32_e32 v2, v7, v0, vcc
	v_cmp_eq_u32_e32 vcc, 0, v4
	v_cndmask_b32_e32 v3, v35, v2, vcc
; %bb.1112:                             ;   in Loop: Header=BB2_1042 Depth=3
	s_or_b64 exec, exec, s[36:37]
.LBB2_1113:                             ;   in Loop: Header=BB2_1042 Depth=3
	s_or_b64 exec, exec, s[34:35]
.LBB2_1114:                             ;   in Loop: Header=BB2_1042 Depth=3
	s_or_b64 exec, exec, s[28:29]
	v_mul_f32_e32 v2, v51, v3
	v_and_b32_e32 v3, 0x7f800000, v2
	v_mov_b32_e32 v4, v29
	v_cmp_ne_u64_e32 vcc, s[76:77], v[3:4]
	v_and_b32_e32 v28, 0x7fffff, v2
                                        ; implicit-def: $vgpr43
	s_and_saveexec_b64 s[28:29], vcc
	s_xor_b64 s[34:35], exec, s[28:29]
	s_cbranch_execz .LBB2_1128
; %bb.1115:                             ;   in Loop: Header=BB2_1042 Depth=3
	v_and_b32_e32 v3, 0x7fffffff, v2
	v_mov_b32_e32 v4, v29
	v_cmp_gt_u64_e32 vcc, s[78:79], v[3:4]
	v_and_b32_sdwa v14, v2, s96 dst_sel:DWORD dst_unused:UNUSED_PAD src0_sel:BYTE_3 src1_sel:DWORD
                                        ; implicit-def: $vgpr43
	s_and_saveexec_b64 s[28:29], vcc
	s_xor_b64 s[36:37], exec, s[28:29]
	s_cbranch_execz .LBB2_1125
; %bb.1116:                             ;   in Loop: Header=BB2_1042 Depth=3
	v_mov_b32_e32 v43, 0
	v_cmp_ne_u32_e32 vcc, 0, v2
	s_and_saveexec_b64 s[38:39], vcc
	s_cbranch_execz .LBB2_1124
; %bb.1117:                             ;   in Loop: Header=BB2_1042 Depth=3
	v_bfe_u32 v16, v2, 23, 8
	v_cmp_gt_u32_e64 s[28:29], s46, v16
	v_sub_u32_e32 v2, 0x71, v16
	v_cmp_eq_u32_e32 vcc, 0, v16
	v_cndmask_b32_e64 v2, 0, v2, s[28:29]
	v_mov_b32_e32 v4, 0x70
	v_cndmask_b32_e32 v49, v2, v4, vcc
	v_add_u32_e32 v4, 21, v49
	v_or_b32_e32 v3, 0x800000, v28
	v_lshlrev_b64 v[38:39], v4, -1
	v_cndmask_b32_e32 v2, v3, v28, vcc
	v_mov_b32_e32 v3, v29
	v_add_u32_e32 v4, 20, v49
	v_bfi_b32 v38, v38, 0, v2
	v_lshlrev_b64 v[52:53], v4, 1
	v_lshrrev_b64 v[2:3], v49, v[2:3]
	v_bfi_b32 v39, v39, 0, 0
	v_cmp_eq_u64_e64 s[28:29], v[38:39], v[52:53]
	v_mov_b32_e32 v4, v3
	v_mov_b32_e32 v3, v2
	s_and_saveexec_b64 s[48:49], s[28:29]
; %bb.1118:                             ;   in Loop: Header=BB2_1042 Depth=3
	v_bfe_u32 v3, v2, 21, 1
	v_add_co_u32_e64 v3, s[28:29], v2, v3
	v_add_co_u32_e64 v3, s[28:29], -1, v3
; %bb.1119:                             ;   in Loop: Header=BB2_1042 Depth=3
	s_or_b64 exec, exec, s[48:49]
	v_add_u32_e32 v4, 0xffffff81, v16
	v_cndmask_b32_e32 v4, v4, v1, vcc
	v_lshrrev_b32_e32 v16, 23, v2
	v_add3_u32 v49, v49, v4, v16
	v_add_u32_e32 v16, 14, v49
	v_and_b32_e32 v3, 0x1fffff, v3
	v_add_u32_e32 v28, v3, v2
	v_cmp_ne_u32_e32 vcc, 0, v16
                                        ; implicit-def: $vgpr2_vgpr3
                                        ; implicit-def: $vgpr4
	s_and_saveexec_b64 s[28:29], vcc
	s_xor_b64 s[28:29], exec, s[28:29]
; %bb.1120:                             ;   in Loop: Header=BB2_1042 Depth=3
	v_cmp_lt_u64_e32 vcc, s[88:89], v[28:29]
	v_add_u32_e32 v2, 15, v49
	v_cndmask_b32_e32 v4, v16, v2, vcc
	v_cndmask_b32_e64 v2, 0, 1, vcc
	v_lshrrev_b64 v[2:3], v2, v[28:29]
; %bb.1121:                             ;   in Loop: Header=BB2_1042 Depth=3
	s_andn2_saveexec_b64 s[28:29], s[28:29]
; %bb.1122:                             ;   in Loop: Header=BB2_1042 Depth=3
	v_mov_b32_e32 v2, v28
	v_mov_b32_e32 v3, v29
	v_bfe_u32 v4, v28, 23, 1
; %bb.1123:                             ;   in Loop: Header=BB2_1042 Depth=3
	s_or_b64 exec, exec, s[28:29]
	v_lshrrev_b64 v[2:3], 21, v[2:3]
	v_cmp_gt_i32_e32 vcc, 32, v4
	v_cndmask_b32_e32 v3, 0, v3, vcc
	v_cndmask_b32_e32 v2, 3, v2, vcc
	v_cmp_eq_u64_e64 s[28:29], 0, v[2:3]
	v_min_i32_e32 v3, 31, v4
	v_lshlrev_b32_e32 v3, 2, v3
	v_cmp_eq_u32_e32 vcc, 0, v4
	v_and_b32_e32 v3, 0xfc, v3
	v_and_or_b32 v2, v2, 3, v3
	s_and_b64 s[28:29], vcc, s[28:29]
	v_cndmask_b32_e64 v2, v2, 0, s[28:29]
	v_or_b32_e32 v43, v2, v14
.LBB2_1124:                             ;   in Loop: Header=BB2_1042 Depth=3
	s_or_b64 exec, exec, s[38:39]
                                        ; implicit-def: $vgpr14
.LBB2_1125:                             ;   in Loop: Header=BB2_1042 Depth=3
	s_andn2_saveexec_b64 s[28:29], s[36:37]
; %bb.1126:                             ;   in Loop: Header=BB2_1042 Depth=3
	v_or_b32_e32 v43, 0x7b, v14
; %bb.1127:                             ;   in Loop: Header=BB2_1042 Depth=3
	s_or_b64 exec, exec, s[28:29]
                                        ; implicit-def: $vgpr2
.LBB2_1128:                             ;   in Loop: Header=BB2_1042 Depth=3
	s_andn2_saveexec_b64 s[28:29], s[34:35]
	s_cbranch_execz .LBB2_1134
; %bb.1129:                             ;   in Loop: Header=BB2_1042 Depth=3
	v_cmp_ne_u64_e32 vcc, 0, v[28:29]
                                        ; implicit-def: $vgpr43
	s_and_saveexec_b64 s[34:35], vcc
	s_xor_b64 vcc, exec, s[34:35]
; %bb.1130:                             ;   in Loop: Header=BB2_1042 Depth=3
	v_or_b32_sdwa v43, v2, s47 dst_sel:DWORD dst_unused:UNUSED_PAD src0_sel:BYTE_3 src1_sel:DWORD
                                        ; implicit-def: $vgpr2
; %bb.1131:                             ;   in Loop: Header=BB2_1042 Depth=3
	s_andn2_saveexec_b64 s[34:35], vcc
; %bb.1132:                             ;   in Loop: Header=BB2_1042 Depth=3
	v_cmp_lt_i32_e32 vcc, -1, v2
	v_cndmask_b32_e32 v43, v6, v22, vcc
; %bb.1133:                             ;   in Loop: Header=BB2_1042 Depth=3
	s_or_b64 exec, exec, s[34:35]
.LBB2_1134:                             ;   in Loop: Header=BB2_1042 Depth=3
	s_or_b64 exec, exec, s[28:29]
	v_cmp_lt_u32_e32 vcc, s57, v8
	v_mov_b32_e32 v3, 0
	s_and_saveexec_b64 s[28:29], vcc
	s_cbranch_execz .LBB2_1142
; %bb.1135:                             ;   in Loop: Header=BB2_1042 Depth=3
	v_lshrrev_b32_e32 v2, 24, v8
	v_cmp_ne_u32_e32 vcc, s96, v2
	v_bfrev_b32_e32 v3, 1
	s_and_saveexec_b64 s[34:35], vcc
	s_cbranch_execz .LBB2_1141
; %bb.1136:                             ;   in Loop: Header=BB2_1042 Depth=3
	v_and_b32_e32 v3, 0x7c000000, v8
	v_bfe_u32 v4, v8, 24, 2
	v_cmp_ne_u32_e32 vcc, s45, v3
                                        ; implicit-def: $vgpr3
	s_and_saveexec_b64 s[36:37], vcc
	s_xor_b64 s[36:37], exec, s[36:37]
	s_cbranch_execz .LBB2_1138
; %bb.1137:                             ;   in Loop: Header=BB2_1042 Depth=3
	v_ffbh_u32_e32 v3, v4
	v_min_u32_e32 v16, 32, v3
	v_subrev_u32_e32 v3, 29, v16
	v_lshlrev_b64 v[2:3], v3, v[2:3]
	v_bfe_u32 v14, v8, 26, 5
	v_sub_u32_e32 v3, 30, v16
	v_and_b32_e32 v2, 3, v2
	v_cmp_eq_u32_e32 vcc, 0, v14
	v_cndmask_b32_e32 v3, v14, v3, vcc
	v_cndmask_b32_e32 v2, v4, v2, vcc
	v_and_b32_e32 v4, 0x80000000, v8
	v_lshl_add_u32 v3, v3, 23, v4
	v_lshl_or_b32 v2, v2, 21, v3
	v_add_u32_e32 v3, 0x38000000, v2
                                        ; implicit-def: $vgpr4
.LBB2_1138:                             ;   in Loop: Header=BB2_1042 Depth=3
	s_andn2_saveexec_b64 s[36:37], s[36:37]
; %bb.1139:                             ;   in Loop: Header=BB2_1042 Depth=3
	v_cmp_lt_i32_e32 vcc, -1, v8
	v_cndmask_b32_e32 v2, v7, v0, vcc
	v_cmp_eq_u32_e32 vcc, 0, v4
	v_cndmask_b32_e32 v3, v35, v2, vcc
; %bb.1140:                             ;   in Loop: Header=BB2_1042 Depth=3
	s_or_b64 exec, exec, s[36:37]
.LBB2_1141:                             ;   in Loop: Header=BB2_1042 Depth=3
	s_or_b64 exec, exec, s[34:35]
.LBB2_1142:                             ;   in Loop: Header=BB2_1042 Depth=3
	s_or_b64 exec, exec, s[28:29]
	v_mul_f32_e32 v2, v51, v3
	v_and_b32_e32 v3, 0x7f800000, v2
	v_mov_b32_e32 v4, v29
	v_cmp_ne_u64_e32 vcc, s[76:77], v[3:4]
	v_and_b32_e32 v28, 0x7fffff, v2
                                        ; implicit-def: $vgpr52
	s_and_saveexec_b64 s[28:29], vcc
	s_xor_b64 s[34:35], exec, s[28:29]
	s_cbranch_execz .LBB2_1156
; %bb.1143:                             ;   in Loop: Header=BB2_1042 Depth=3
	v_and_b32_e32 v3, 0x7fffffff, v2
	v_mov_b32_e32 v4, v29
	v_cmp_gt_u64_e32 vcc, s[78:79], v[3:4]
	v_and_b32_sdwa v14, v2, s96 dst_sel:DWORD dst_unused:UNUSED_PAD src0_sel:BYTE_3 src1_sel:DWORD
                                        ; implicit-def: $vgpr52
	s_and_saveexec_b64 s[28:29], vcc
	s_xor_b64 s[36:37], exec, s[28:29]
	s_cbranch_execz .LBB2_1153
; %bb.1144:                             ;   in Loop: Header=BB2_1042 Depth=3
	v_mov_b32_e32 v52, 0
	v_cmp_ne_u32_e32 vcc, 0, v2
	s_and_saveexec_b64 s[38:39], vcc
	s_cbranch_execz .LBB2_1152
; %bb.1145:                             ;   in Loop: Header=BB2_1042 Depth=3
	v_bfe_u32 v16, v2, 23, 8
	v_cmp_gt_u32_e64 s[28:29], s46, v16
	v_sub_u32_e32 v2, 0x71, v16
	v_cmp_eq_u32_e32 vcc, 0, v16
	v_cndmask_b32_e64 v2, 0, v2, s[28:29]
	v_mov_b32_e32 v4, 0x70
	v_cndmask_b32_e32 v49, v2, v4, vcc
	v_add_u32_e32 v4, 21, v49
	v_or_b32_e32 v3, 0x800000, v28
	v_lshlrev_b64 v[38:39], v4, -1
	v_cndmask_b32_e32 v2, v3, v28, vcc
	v_mov_b32_e32 v3, v29
	v_add_u32_e32 v4, 20, v49
	v_bfi_b32 v38, v38, 0, v2
	v_lshlrev_b64 v[52:53], v4, 1
	v_lshrrev_b64 v[2:3], v49, v[2:3]
	v_bfi_b32 v39, v39, 0, 0
	v_cmp_eq_u64_e64 s[28:29], v[38:39], v[52:53]
	v_mov_b32_e32 v4, v3
	v_mov_b32_e32 v3, v2
	s_and_saveexec_b64 s[48:49], s[28:29]
; %bb.1146:                             ;   in Loop: Header=BB2_1042 Depth=3
	v_bfe_u32 v3, v2, 21, 1
	v_add_co_u32_e64 v3, s[28:29], v2, v3
	v_add_co_u32_e64 v3, s[28:29], -1, v3
; %bb.1147:                             ;   in Loop: Header=BB2_1042 Depth=3
	s_or_b64 exec, exec, s[48:49]
	v_add_u32_e32 v4, 0xffffff81, v16
	v_cndmask_b32_e32 v4, v4, v1, vcc
	v_lshrrev_b32_e32 v16, 23, v2
	v_add3_u32 v49, v49, v4, v16
	v_add_u32_e32 v16, 14, v49
	v_and_b32_e32 v3, 0x1fffff, v3
	v_add_u32_e32 v28, v3, v2
	v_cmp_ne_u32_e32 vcc, 0, v16
                                        ; implicit-def: $vgpr2_vgpr3
                                        ; implicit-def: $vgpr4
	s_and_saveexec_b64 s[28:29], vcc
	s_xor_b64 s[28:29], exec, s[28:29]
; %bb.1148:                             ;   in Loop: Header=BB2_1042 Depth=3
	v_cmp_lt_u64_e32 vcc, s[88:89], v[28:29]
	v_add_u32_e32 v2, 15, v49
	v_cndmask_b32_e32 v4, v16, v2, vcc
	v_cndmask_b32_e64 v2, 0, 1, vcc
	v_lshrrev_b64 v[2:3], v2, v[28:29]
; %bb.1149:                             ;   in Loop: Header=BB2_1042 Depth=3
	s_andn2_saveexec_b64 s[28:29], s[28:29]
; %bb.1150:                             ;   in Loop: Header=BB2_1042 Depth=3
	v_mov_b32_e32 v2, v28
	v_mov_b32_e32 v3, v29
	v_bfe_u32 v4, v28, 23, 1
; %bb.1151:                             ;   in Loop: Header=BB2_1042 Depth=3
	s_or_b64 exec, exec, s[28:29]
	v_lshrrev_b64 v[2:3], 21, v[2:3]
	v_cmp_gt_i32_e32 vcc, 32, v4
	v_cndmask_b32_e32 v3, 0, v3, vcc
	v_cndmask_b32_e32 v2, 3, v2, vcc
	v_cmp_eq_u64_e64 s[28:29], 0, v[2:3]
	v_min_i32_e32 v3, 31, v4
	v_lshlrev_b32_e32 v3, 2, v3
	v_cmp_eq_u32_e32 vcc, 0, v4
	v_and_b32_e32 v3, 0xfc, v3
	v_and_or_b32 v2, v2, 3, v3
	s_and_b64 s[28:29], vcc, s[28:29]
	v_cndmask_b32_e64 v2, v2, 0, s[28:29]
	v_or_b32_e32 v52, v2, v14
.LBB2_1152:                             ;   in Loop: Header=BB2_1042 Depth=3
	s_or_b64 exec, exec, s[38:39]
                                        ; implicit-def: $vgpr14
.LBB2_1153:                             ;   in Loop: Header=BB2_1042 Depth=3
	s_andn2_saveexec_b64 s[28:29], s[36:37]
; %bb.1154:                             ;   in Loop: Header=BB2_1042 Depth=3
	v_or_b32_e32 v52, 0x7b, v14
; %bb.1155:                             ;   in Loop: Header=BB2_1042 Depth=3
	s_or_b64 exec, exec, s[28:29]
                                        ; implicit-def: $vgpr2
.LBB2_1156:                             ;   in Loop: Header=BB2_1042 Depth=3
	s_andn2_saveexec_b64 s[28:29], s[34:35]
	s_cbranch_execz .LBB2_1162
; %bb.1157:                             ;   in Loop: Header=BB2_1042 Depth=3
	v_cmp_ne_u64_e32 vcc, 0, v[28:29]
                                        ; implicit-def: $vgpr52
	s_and_saveexec_b64 s[34:35], vcc
	s_xor_b64 vcc, exec, s[34:35]
; %bb.1158:                             ;   in Loop: Header=BB2_1042 Depth=3
	v_or_b32_sdwa v52, v2, s47 dst_sel:DWORD dst_unused:UNUSED_PAD src0_sel:BYTE_3 src1_sel:DWORD
                                        ; implicit-def: $vgpr2
; %bb.1159:                             ;   in Loop: Header=BB2_1042 Depth=3
	s_andn2_saveexec_b64 s[34:35], vcc
; %bb.1160:                             ;   in Loop: Header=BB2_1042 Depth=3
	v_cmp_lt_i32_e32 vcc, -1, v2
	v_cndmask_b32_e32 v52, v6, v22, vcc
; %bb.1161:                             ;   in Loop: Header=BB2_1042 Depth=3
	s_or_b64 exec, exec, s[34:35]
.LBB2_1162:                             ;   in Loop: Header=BB2_1042 Depth=3
	s_or_b64 exec, exec, s[28:29]
	v_mov_b32_e32 v28, v9
	v_cmp_ne_u16_sdwa vcc, v9, v29 src0_sel:BYTE_0 src1_sel:DWORD
	v_mov_b32_e32 v2, 0
	s_and_saveexec_b64 s[28:29], vcc
	s_cbranch_execz .LBB2_1170
; %bb.1163:                             ;   in Loop: Header=BB2_1042 Depth=3
	v_cmp_ne_u16_sdwa vcc, v9, s96 src0_sel:BYTE_0 src1_sel:DWORD
	v_bfrev_b32_e32 v2, 1
	s_and_saveexec_b64 s[34:35], vcc
	s_cbranch_execz .LBB2_1169
; %bb.1164:                             ;   in Loop: Header=BB2_1042 Depth=3
	v_and_b32_e32 v2, 0x7c, v9
	v_and_b32_e32 v3, 3, v9
	v_cmp_ne_u32_e32 vcc, s85, v2
                                        ; implicit-def: $vgpr2
	s_and_saveexec_b64 s[36:37], vcc
	s_xor_b64 s[36:37], exec, s[36:37]
	s_cbranch_execz .LBB2_1166
; %bb.1165:                             ;   in Loop: Header=BB2_1042 Depth=3
	v_ffbh_u32_e32 v4, v3
	v_min_u32_e32 v4, 32, v4
	v_bfe_u32 v2, v9, 2, 5
	v_subrev_u32_e32 v14, 29, v4
	v_lshlrev_b64 v[38:39], v14, v[28:29]
	v_sub_u32_e32 v4, 30, v4
	v_cmp_eq_u32_e32 vcc, 0, v2
	v_cndmask_b32_e32 v2, v2, v4, vcc
	v_lshlrev_b32_e32 v4, 24, v9
	v_and_b32_e32 v14, 3, v38
	v_and_b32_e32 v4, 0x80000000, v4
	v_cndmask_b32_e32 v3, v3, v14, vcc
	v_lshl_add_u32 v2, v2, 23, v4
	v_lshl_or_b32 v2, v3, 21, v2
	v_add_u32_e32 v2, 0x38000000, v2
                                        ; implicit-def: $vgpr3
.LBB2_1166:                             ;   in Loop: Header=BB2_1042 Depth=3
	s_andn2_saveexec_b64 s[36:37], s[36:37]
; %bb.1167:                             ;   in Loop: Header=BB2_1042 Depth=3
	v_cmp_gt_i16_sdwa vcc, sext(v9), v48 src0_sel:BYTE_0 src1_sel:DWORD
	v_cndmask_b32_e32 v2, v7, v0, vcc
	v_cmp_eq_u32_e32 vcc, 0, v3
	v_cndmask_b32_e32 v2, v35, v2, vcc
; %bb.1168:                             ;   in Loop: Header=BB2_1042 Depth=3
	s_or_b64 exec, exec, s[36:37]
.LBB2_1169:                             ;   in Loop: Header=BB2_1042 Depth=3
	s_or_b64 exec, exec, s[34:35]
.LBB2_1170:                             ;   in Loop: Header=BB2_1042 Depth=3
	s_or_b64 exec, exec, s[28:29]
	v_mul_f32_e32 v4, v51, v2
	v_and_b32_e32 v38, 0x7f800000, v4
	v_mov_b32_e32 v39, v29
	v_cmp_ne_u64_e32 vcc, s[76:77], v[38:39]
	v_and_b32_e32 v2, 0x7fffff, v4
	v_mov_b32_e32 v3, v29
                                        ; implicit-def: $vgpr53
	s_and_saveexec_b64 s[28:29], vcc
	s_xor_b64 s[34:35], exec, s[28:29]
	s_cbranch_execz .LBB2_1184
; %bb.1171:                             ;   in Loop: Header=BB2_1042 Depth=3
	v_and_b32_e32 v38, 0x7fffffff, v4
	v_mov_b32_e32 v39, v29
	v_cmp_gt_u64_e32 vcc, s[78:79], v[38:39]
	v_and_b32_sdwa v14, v4, s96 dst_sel:DWORD dst_unused:UNUSED_PAD src0_sel:BYTE_3 src1_sel:DWORD
                                        ; implicit-def: $vgpr53
	s_and_saveexec_b64 s[28:29], vcc
	s_xor_b64 s[36:37], exec, s[28:29]
	s_cbranch_execz .LBB2_1181
; %bb.1172:                             ;   in Loop: Header=BB2_1042 Depth=3
	v_mov_b32_e32 v53, 0
	v_cmp_ne_u32_e32 vcc, 0, v4
	s_and_saveexec_b64 s[38:39], vcc
	s_cbranch_execz .LBB2_1180
; %bb.1173:                             ;   in Loop: Header=BB2_1042 Depth=3
	v_bfe_u32 v16, v4, 23, 8
	v_cmp_gt_u32_e64 s[28:29], s46, v16
	v_sub_u32_e32 v4, 0x71, v16
	v_cmp_eq_u32_e32 vcc, 0, v16
	v_cndmask_b32_e64 v4, 0, v4, s[28:29]
	v_mov_b32_e32 v39, 0x70
	v_cndmask_b32_e32 v49, v4, v39, vcc
	v_or_b32_e32 v38, 0x800000, v2
	v_add_u32_e32 v4, 21, v49
	v_cndmask_b32_e32 v2, v38, v2, vcc
	v_lshlrev_b64 v[38:39], v4, -1
	v_add_u32_e32 v4, 20, v49
	v_bfi_b32 v38, v38, 0, v2
	v_lshlrev_b64 v[44:45], v4, 1
	v_lshrrev_b64 v[2:3], v49, v[2:3]
	v_bfi_b32 v39, v39, 0, 0
	v_cmp_eq_u64_e64 s[28:29], v[38:39], v[44:45]
	v_mov_b32_e32 v4, v3
	v_mov_b32_e32 v3, v2
	s_and_saveexec_b64 s[48:49], s[28:29]
; %bb.1174:                             ;   in Loop: Header=BB2_1042 Depth=3
	v_bfe_u32 v3, v2, 21, 1
	v_add_co_u32_e64 v3, s[28:29], v2, v3
	v_add_co_u32_e64 v3, s[28:29], -1, v3
; %bb.1175:                             ;   in Loop: Header=BB2_1042 Depth=3
	s_or_b64 exec, exec, s[48:49]
	v_add_u32_e32 v4, 0xffffff81, v16
	v_cndmask_b32_e32 v4, v4, v1, vcc
	v_lshrrev_b32_e32 v16, 23, v2
	v_add3_u32 v49, v49, v4, v16
	v_add_u32_e32 v16, 14, v49
	v_and_b32_e32 v3, 0x1fffff, v3
	v_add_u32_e32 v2, v3, v2
	v_mov_b32_e32 v3, v29
	v_cmp_ne_u32_e32 vcc, 0, v16
                                        ; implicit-def: $vgpr4
	s_and_saveexec_b64 s[28:29], vcc
	s_xor_b64 s[28:29], exec, s[28:29]
; %bb.1176:                             ;   in Loop: Header=BB2_1042 Depth=3
	v_cmp_lt_u64_e32 vcc, s[88:89], v[2:3]
	v_add_u32_e32 v4, 15, v49
	v_cndmask_b32_e32 v4, v16, v4, vcc
	v_cndmask_b32_e64 v16, 0, 1, vcc
	v_lshrrev_b64 v[2:3], v16, v[2:3]
; %bb.1177:                             ;   in Loop: Header=BB2_1042 Depth=3
	s_andn2_saveexec_b64 s[28:29], s[28:29]
; %bb.1178:                             ;   in Loop: Header=BB2_1042 Depth=3
	v_bfe_u32 v4, v2, 23, 1
; %bb.1179:                             ;   in Loop: Header=BB2_1042 Depth=3
	s_or_b64 exec, exec, s[28:29]
	v_lshrrev_b64 v[2:3], 21, v[2:3]
	v_cmp_gt_i32_e32 vcc, 32, v4
	v_cndmask_b32_e32 v3, 0, v3, vcc
	v_cndmask_b32_e32 v2, 3, v2, vcc
	v_cmp_eq_u64_e64 s[28:29], 0, v[2:3]
	v_min_i32_e32 v3, 31, v4
	v_lshlrev_b32_e32 v3, 2, v3
	v_cmp_eq_u32_e32 vcc, 0, v4
	v_and_b32_e32 v3, 0xfc, v3
	v_and_or_b32 v2, v2, 3, v3
	s_and_b64 s[28:29], vcc, s[28:29]
	v_cndmask_b32_e64 v2, v2, 0, s[28:29]
	v_or_b32_e32 v53, v2, v14
.LBB2_1180:                             ;   in Loop: Header=BB2_1042 Depth=3
	s_or_b64 exec, exec, s[38:39]
                                        ; implicit-def: $vgpr14
.LBB2_1181:                             ;   in Loop: Header=BB2_1042 Depth=3
	s_andn2_saveexec_b64 s[28:29], s[36:37]
; %bb.1182:                             ;   in Loop: Header=BB2_1042 Depth=3
	v_or_b32_e32 v53, 0x7b, v14
; %bb.1183:                             ;   in Loop: Header=BB2_1042 Depth=3
	s_or_b64 exec, exec, s[28:29]
                                        ; implicit-def: $vgpr4
                                        ; implicit-def: $vgpr2_vgpr3
.LBB2_1184:                             ;   in Loop: Header=BB2_1042 Depth=3
	s_andn2_saveexec_b64 s[28:29], s[34:35]
	s_cbranch_execz .LBB2_1190
; %bb.1185:                             ;   in Loop: Header=BB2_1042 Depth=3
	v_cmp_ne_u64_e32 vcc, 0, v[2:3]
                                        ; implicit-def: $vgpr53
	s_and_saveexec_b64 s[34:35], vcc
	s_xor_b64 vcc, exec, s[34:35]
; %bb.1186:                             ;   in Loop: Header=BB2_1042 Depth=3
	v_or_b32_sdwa v53, v4, s47 dst_sel:DWORD dst_unused:UNUSED_PAD src0_sel:BYTE_3 src1_sel:DWORD
                                        ; implicit-def: $vgpr4
; %bb.1187:                             ;   in Loop: Header=BB2_1042 Depth=3
	s_andn2_saveexec_b64 s[34:35], vcc
; %bb.1188:                             ;   in Loop: Header=BB2_1042 Depth=3
	v_cmp_lt_i32_e32 vcc, -1, v4
	v_cndmask_b32_e32 v53, v6, v22, vcc
; %bb.1189:                             ;   in Loop: Header=BB2_1042 Depth=3
	s_or_b64 exec, exec, s[34:35]
.LBB2_1190:                             ;   in Loop: Header=BB2_1042 Depth=3
	s_or_b64 exec, exec, s[28:29]
	v_lshrrev_b16_e32 v2, 8, v28
	v_cmp_ne_u16_e32 vcc, 0, v2
	v_mov_b32_e32 v3, 0
	s_and_saveexec_b64 s[28:29], vcc
	s_cbranch_execz .LBB2_1198
; %bb.1191:                             ;   in Loop: Header=BB2_1042 Depth=3
	v_cmp_ne_u16_e32 vcc, s96, v2
	v_bfrev_b32_e32 v3, 1
	s_and_saveexec_b64 s[34:35], vcc
	s_cbranch_execz .LBB2_1197
; %bb.1192:                             ;   in Loop: Header=BB2_1042 Depth=3
	v_and_b32_e32 v3, 0x7c, v2
	v_and_b32_e32 v4, 3, v2
	v_cmp_ne_u32_e32 vcc, s85, v3
                                        ; implicit-def: $vgpr3
	s_and_saveexec_b64 s[36:37], vcc
	s_xor_b64 s[36:37], exec, s[36:37]
	s_cbranch_execz .LBB2_1194
; %bb.1193:                             ;   in Loop: Header=BB2_1042 Depth=3
	v_ffbh_u32_e32 v16, v4
	v_min_u32_e32 v16, 32, v16
	v_mov_b32_e32 v3, v29
	v_subrev_u32_e32 v38, 29, v16
	v_bfe_u32 v14, v2, 2, 5
	v_lshlrev_b64 v[2:3], v38, v[2:3]
	v_cmp_eq_u32_e32 vcc, 0, v14
	v_and_b32_e32 v2, 3, v2
	v_sub_u32_e32 v3, 30, v16
	v_cndmask_b32_e32 v2, v4, v2, vcc
	v_lshlrev_b32_e32 v4, 16, v28
	v_cndmask_b32_e32 v3, v14, v3, vcc
	v_and_b32_e32 v4, 0x80000000, v4
	v_lshl_add_u32 v3, v3, 23, v4
	v_lshl_or_b32 v2, v2, 21, v3
	v_add_u32_e32 v3, 0x38000000, v2
                                        ; implicit-def: $vgpr4
.LBB2_1194:                             ;   in Loop: Header=BB2_1042 Depth=3
	s_andn2_saveexec_b64 s[36:37], s[36:37]
; %bb.1195:                             ;   in Loop: Header=BB2_1042 Depth=3
	v_cmp_lt_i16_e32 vcc, -1, v28
	v_cndmask_b32_e32 v2, v7, v0, vcc
	v_cmp_eq_u32_e32 vcc, 0, v4
	v_cndmask_b32_e32 v3, v35, v2, vcc
; %bb.1196:                             ;   in Loop: Header=BB2_1042 Depth=3
	s_or_b64 exec, exec, s[36:37]
.LBB2_1197:                             ;   in Loop: Header=BB2_1042 Depth=3
	s_or_b64 exec, exec, s[34:35]
.LBB2_1198:                             ;   in Loop: Header=BB2_1042 Depth=3
	s_or_b64 exec, exec, s[28:29]
	v_mul_f32_e32 v2, v51, v3
	v_and_b32_e32 v3, 0x7f800000, v2
	v_mov_b32_e32 v4, v29
	v_cmp_ne_u64_e32 vcc, s[76:77], v[3:4]
	v_and_b32_e32 v28, 0x7fffff, v2
                                        ; implicit-def: $vgpr16
	s_and_saveexec_b64 s[28:29], vcc
	s_xor_b64 s[34:35], exec, s[28:29]
	s_cbranch_execz .LBB2_1212
; %bb.1199:                             ;   in Loop: Header=BB2_1042 Depth=3
	v_and_b32_e32 v3, 0x7fffffff, v2
	v_mov_b32_e32 v4, v29
	v_cmp_gt_u64_e32 vcc, s[78:79], v[3:4]
	v_and_b32_sdwa v14, v2, s96 dst_sel:DWORD dst_unused:UNUSED_PAD src0_sel:BYTE_3 src1_sel:DWORD
                                        ; implicit-def: $vgpr16
	s_and_saveexec_b64 s[28:29], vcc
	s_xor_b64 s[36:37], exec, s[28:29]
	s_cbranch_execz .LBB2_1209
; %bb.1200:                             ;   in Loop: Header=BB2_1042 Depth=3
	v_mov_b32_e32 v16, 0
	v_cmp_ne_u32_e32 vcc, 0, v2
	s_and_saveexec_b64 s[38:39], vcc
	s_cbranch_execz .LBB2_1208
; %bb.1201:                             ;   in Loop: Header=BB2_1042 Depth=3
	v_bfe_u32 v16, v2, 23, 8
	v_cmp_gt_u32_e64 s[28:29], s46, v16
	v_sub_u32_e32 v2, 0x71, v16
	v_cmp_eq_u32_e32 vcc, 0, v16
	v_cndmask_b32_e64 v2, 0, v2, s[28:29]
	v_mov_b32_e32 v4, 0x70
	v_cndmask_b32_e32 v49, v2, v4, vcc
	v_add_u32_e32 v4, 21, v49
	v_or_b32_e32 v3, 0x800000, v28
	v_lshlrev_b64 v[38:39], v4, -1
	v_cndmask_b32_e32 v2, v3, v28, vcc
	v_mov_b32_e32 v3, v29
	v_add_u32_e32 v4, 20, v49
	v_bfi_b32 v38, v38, 0, v2
	v_lshlrev_b64 v[44:45], v4, 1
	v_lshrrev_b64 v[2:3], v49, v[2:3]
	v_bfi_b32 v39, v39, 0, 0
	v_cmp_eq_u64_e64 s[28:29], v[38:39], v[44:45]
	v_mov_b32_e32 v4, v3
	v_mov_b32_e32 v3, v2
	s_and_saveexec_b64 s[48:49], s[28:29]
; %bb.1202:                             ;   in Loop: Header=BB2_1042 Depth=3
	v_bfe_u32 v3, v2, 21, 1
	v_add_co_u32_e64 v3, s[28:29], v2, v3
	v_add_co_u32_e64 v3, s[28:29], -1, v3
; %bb.1203:                             ;   in Loop: Header=BB2_1042 Depth=3
	s_or_b64 exec, exec, s[48:49]
	v_add_u32_e32 v4, 0xffffff81, v16
	v_cndmask_b32_e32 v4, v4, v1, vcc
	v_lshrrev_b32_e32 v16, 23, v2
	v_add3_u32 v49, v49, v4, v16
	v_add_u32_e32 v16, 14, v49
	v_and_b32_e32 v3, 0x1fffff, v3
	v_add_u32_e32 v28, v3, v2
	v_cmp_ne_u32_e32 vcc, 0, v16
                                        ; implicit-def: $vgpr2_vgpr3
                                        ; implicit-def: $vgpr4
	s_and_saveexec_b64 s[28:29], vcc
	s_xor_b64 s[28:29], exec, s[28:29]
; %bb.1204:                             ;   in Loop: Header=BB2_1042 Depth=3
	v_cmp_lt_u64_e32 vcc, s[88:89], v[28:29]
	v_add_u32_e32 v2, 15, v49
	v_cndmask_b32_e32 v4, v16, v2, vcc
	v_cndmask_b32_e64 v2, 0, 1, vcc
	v_lshrrev_b64 v[2:3], v2, v[28:29]
; %bb.1205:                             ;   in Loop: Header=BB2_1042 Depth=3
	s_andn2_saveexec_b64 s[28:29], s[28:29]
; %bb.1206:                             ;   in Loop: Header=BB2_1042 Depth=3
	v_mov_b32_e32 v2, v28
	v_mov_b32_e32 v3, v29
	v_bfe_u32 v4, v28, 23, 1
; %bb.1207:                             ;   in Loop: Header=BB2_1042 Depth=3
	s_or_b64 exec, exec, s[28:29]
	v_lshrrev_b64 v[2:3], 21, v[2:3]
	v_cmp_gt_i32_e32 vcc, 32, v4
	v_cndmask_b32_e32 v3, 0, v3, vcc
	v_cndmask_b32_e32 v2, 3, v2, vcc
	v_cmp_eq_u64_e64 s[28:29], 0, v[2:3]
	v_min_i32_e32 v3, 31, v4
	v_lshlrev_b32_e32 v3, 2, v3
	v_cmp_eq_u32_e32 vcc, 0, v4
	v_and_b32_e32 v3, 0xfc, v3
	v_and_or_b32 v2, v2, 3, v3
	s_and_b64 s[28:29], vcc, s[28:29]
	v_cndmask_b32_e64 v2, v2, 0, s[28:29]
	v_or_b32_e32 v16, v2, v14
.LBB2_1208:                             ;   in Loop: Header=BB2_1042 Depth=3
	s_or_b64 exec, exec, s[38:39]
                                        ; implicit-def: $vgpr14
.LBB2_1209:                             ;   in Loop: Header=BB2_1042 Depth=3
	s_andn2_saveexec_b64 s[28:29], s[36:37]
; %bb.1210:                             ;   in Loop: Header=BB2_1042 Depth=3
	v_or_b32_e32 v16, 0x7b, v14
; %bb.1211:                             ;   in Loop: Header=BB2_1042 Depth=3
	s_or_b64 exec, exec, s[28:29]
                                        ; implicit-def: $vgpr2
.LBB2_1212:                             ;   in Loop: Header=BB2_1042 Depth=3
	s_andn2_saveexec_b64 s[28:29], s[34:35]
	s_cbranch_execz .LBB2_1218
; %bb.1213:                             ;   in Loop: Header=BB2_1042 Depth=3
	v_cmp_ne_u64_e32 vcc, 0, v[28:29]
                                        ; implicit-def: $vgpr16
	s_and_saveexec_b64 s[34:35], vcc
	s_xor_b64 vcc, exec, s[34:35]
; %bb.1214:                             ;   in Loop: Header=BB2_1042 Depth=3
	v_or_b32_sdwa v16, v2, s47 dst_sel:DWORD dst_unused:UNUSED_PAD src0_sel:BYTE_3 src1_sel:DWORD
                                        ; implicit-def: $vgpr2
; %bb.1215:                             ;   in Loop: Header=BB2_1042 Depth=3
	s_andn2_saveexec_b64 s[34:35], vcc
; %bb.1216:                             ;   in Loop: Header=BB2_1042 Depth=3
	v_cmp_lt_i32_e32 vcc, -1, v2
	v_cndmask_b32_e32 v16, v6, v22, vcc
; %bb.1217:                             ;   in Loop: Header=BB2_1042 Depth=3
	s_or_b64 exec, exec, s[34:35]
.LBB2_1218:                             ;   in Loop: Header=BB2_1042 Depth=3
	s_or_b64 exec, exec, s[28:29]
	v_lshrrev_b32_e32 v2, 16, v9
	v_cmp_ne_u16_sdwa vcc, v2, v29 src0_sel:BYTE_0 src1_sel:DWORD
	v_mov_b32_e32 v3, 0
	s_and_saveexec_b64 s[28:29], vcc
	s_cbranch_execz .LBB2_1226
; %bb.1219:                             ;   in Loop: Header=BB2_1042 Depth=3
	v_cmp_ne_u16_sdwa vcc, v2, s96 src0_sel:BYTE_0 src1_sel:DWORD
	v_bfrev_b32_e32 v3, 1
	s_and_saveexec_b64 s[34:35], vcc
	s_cbranch_execz .LBB2_1225
; %bb.1220:                             ;   in Loop: Header=BB2_1042 Depth=3
	v_and_b32_e32 v3, 0x7c0000, v9
	v_bfe_u32 v4, v9, 16, 2
	v_cmp_ne_u32_e32 vcc, s44, v3
                                        ; implicit-def: $vgpr3
	s_and_saveexec_b64 s[36:37], vcc
	s_xor_b64 s[36:37], exec, s[36:37]
	s_cbranch_execz .LBB2_1222
; %bb.1221:                             ;   in Loop: Header=BB2_1042 Depth=3
	v_ffbh_u32_e32 v3, v4
	v_min_u32_e32 v28, 32, v3
	v_subrev_u32_e32 v3, 29, v28
	v_lshlrev_b64 v[2:3], v3, v[2:3]
	v_bfe_u32 v14, v9, 18, 5
	v_and_b32_e32 v2, 3, v2
	v_cmp_eq_u32_e32 vcc, 0, v14
	v_sub_u32_e32 v3, 30, v28
	v_cndmask_b32_e32 v2, v4, v2, vcc
	v_lshlrev_b32_e32 v4, 8, v9
	v_cndmask_b32_e32 v3, v14, v3, vcc
	v_and_b32_e32 v4, 0x80000000, v4
	v_lshl_add_u32 v3, v3, 23, v4
	v_lshl_or_b32 v2, v2, 21, v3
	v_add_u32_e32 v3, 0x38000000, v2
                                        ; implicit-def: $vgpr4
                                        ; implicit-def: $vgpr2
.LBB2_1222:                             ;   in Loop: Header=BB2_1042 Depth=3
	s_andn2_saveexec_b64 s[36:37], s[36:37]
; %bb.1223:                             ;   in Loop: Header=BB2_1042 Depth=3
	v_cmp_gt_i16_sdwa vcc, sext(v2), v48 src0_sel:BYTE_0 src1_sel:DWORD
	v_cndmask_b32_e32 v2, v7, v0, vcc
	v_cmp_eq_u32_e32 vcc, 0, v4
	v_cndmask_b32_e32 v3, v35, v2, vcc
; %bb.1224:                             ;   in Loop: Header=BB2_1042 Depth=3
	s_or_b64 exec, exec, s[36:37]
.LBB2_1225:                             ;   in Loop: Header=BB2_1042 Depth=3
	s_or_b64 exec, exec, s[34:35]
.LBB2_1226:                             ;   in Loop: Header=BB2_1042 Depth=3
	s_or_b64 exec, exec, s[28:29]
	v_mul_f32_e32 v2, v51, v3
	v_and_b32_e32 v3, 0x7f800000, v2
	v_mov_b32_e32 v4, v29
	v_cmp_ne_u64_e32 vcc, s[76:77], v[3:4]
	v_and_b32_e32 v28, 0x7fffff, v2
                                        ; implicit-def: $vgpr44
	s_and_saveexec_b64 s[28:29], vcc
	s_xor_b64 s[34:35], exec, s[28:29]
	s_cbranch_execz .LBB2_1240
; %bb.1227:                             ;   in Loop: Header=BB2_1042 Depth=3
	v_and_b32_e32 v3, 0x7fffffff, v2
	v_mov_b32_e32 v4, v29
	v_cmp_gt_u64_e32 vcc, s[78:79], v[3:4]
	v_and_b32_sdwa v14, v2, s96 dst_sel:DWORD dst_unused:UNUSED_PAD src0_sel:BYTE_3 src1_sel:DWORD
                                        ; implicit-def: $vgpr44
	s_and_saveexec_b64 s[28:29], vcc
	s_xor_b64 s[36:37], exec, s[28:29]
	s_cbranch_execz .LBB2_1237
; %bb.1228:                             ;   in Loop: Header=BB2_1042 Depth=3
	v_mov_b32_e32 v44, 0
	v_cmp_ne_u32_e32 vcc, 0, v2
	s_and_saveexec_b64 s[38:39], vcc
	s_cbranch_execz .LBB2_1236
; %bb.1229:                             ;   in Loop: Header=BB2_1042 Depth=3
	v_bfe_u32 v49, v2, 23, 8
	v_cmp_gt_u32_e64 s[28:29], s46, v49
	v_sub_u32_e32 v2, 0x71, v49
	v_cmp_eq_u32_e32 vcc, 0, v49
	v_cndmask_b32_e64 v2, 0, v2, s[28:29]
	v_mov_b32_e32 v4, 0x70
	v_cndmask_b32_e32 v50, v2, v4, vcc
	v_add_u32_e32 v4, 21, v50
	v_or_b32_e32 v3, 0x800000, v28
	v_lshlrev_b64 v[38:39], v4, -1
	v_cndmask_b32_e32 v2, v3, v28, vcc
	v_mov_b32_e32 v3, v29
	v_add_u32_e32 v4, 20, v50
	v_bfi_b32 v38, v38, 0, v2
	v_lshlrev_b64 v[44:45], v4, 1
	v_lshrrev_b64 v[2:3], v50, v[2:3]
	v_bfi_b32 v39, v39, 0, 0
	v_cmp_eq_u64_e64 s[28:29], v[38:39], v[44:45]
	v_mov_b32_e32 v4, v3
	v_mov_b32_e32 v3, v2
	s_and_saveexec_b64 s[48:49], s[28:29]
; %bb.1230:                             ;   in Loop: Header=BB2_1042 Depth=3
	v_bfe_u32 v3, v2, 21, 1
	v_add_co_u32_e64 v3, s[28:29], v2, v3
	v_add_co_u32_e64 v3, s[28:29], -1, v3
; %bb.1231:                             ;   in Loop: Header=BB2_1042 Depth=3
	s_or_b64 exec, exec, s[48:49]
	v_add_u32_e32 v4, 0xffffff81, v49
	v_cndmask_b32_e32 v4, v4, v1, vcc
	v_lshrrev_b32_e32 v28, 23, v2
	v_add3_u32 v50, v50, v4, v28
	v_add_u32_e32 v49, 14, v50
	v_and_b32_e32 v3, 0x1fffff, v3
	v_add_u32_e32 v28, v3, v2
	v_cmp_ne_u32_e32 vcc, 0, v49
                                        ; implicit-def: $vgpr2_vgpr3
                                        ; implicit-def: $vgpr4
	s_and_saveexec_b64 s[28:29], vcc
	s_xor_b64 s[28:29], exec, s[28:29]
; %bb.1232:                             ;   in Loop: Header=BB2_1042 Depth=3
	v_cmp_lt_u64_e32 vcc, s[88:89], v[28:29]
	v_add_u32_e32 v2, 15, v50
	v_cndmask_b32_e32 v4, v49, v2, vcc
	v_cndmask_b32_e64 v2, 0, 1, vcc
	v_lshrrev_b64 v[2:3], v2, v[28:29]
; %bb.1233:                             ;   in Loop: Header=BB2_1042 Depth=3
	s_andn2_saveexec_b64 s[28:29], s[28:29]
; %bb.1234:                             ;   in Loop: Header=BB2_1042 Depth=3
	v_mov_b32_e32 v2, v28
	v_mov_b32_e32 v3, v29
	v_bfe_u32 v4, v28, 23, 1
; %bb.1235:                             ;   in Loop: Header=BB2_1042 Depth=3
	s_or_b64 exec, exec, s[28:29]
	v_lshrrev_b64 v[2:3], 21, v[2:3]
	v_cmp_gt_i32_e32 vcc, 32, v4
	v_cndmask_b32_e32 v3, 0, v3, vcc
	v_cndmask_b32_e32 v2, 3, v2, vcc
	v_cmp_eq_u64_e64 s[28:29], 0, v[2:3]
	v_min_i32_e32 v3, 31, v4
	v_lshlrev_b32_e32 v3, 2, v3
	v_cmp_eq_u32_e32 vcc, 0, v4
	v_and_b32_e32 v3, 0xfc, v3
	v_and_or_b32 v2, v2, 3, v3
	s_and_b64 s[28:29], vcc, s[28:29]
	v_cndmask_b32_e64 v2, v2, 0, s[28:29]
	v_or_b32_e32 v44, v2, v14
.LBB2_1236:                             ;   in Loop: Header=BB2_1042 Depth=3
	s_or_b64 exec, exec, s[38:39]
                                        ; implicit-def: $vgpr14
.LBB2_1237:                             ;   in Loop: Header=BB2_1042 Depth=3
	s_andn2_saveexec_b64 s[28:29], s[36:37]
; %bb.1238:                             ;   in Loop: Header=BB2_1042 Depth=3
	v_or_b32_e32 v44, 0x7b, v14
; %bb.1239:                             ;   in Loop: Header=BB2_1042 Depth=3
	s_or_b64 exec, exec, s[28:29]
                                        ; implicit-def: $vgpr2
.LBB2_1240:                             ;   in Loop: Header=BB2_1042 Depth=3
	s_andn2_saveexec_b64 s[28:29], s[34:35]
	s_cbranch_execz .LBB2_1246
; %bb.1241:                             ;   in Loop: Header=BB2_1042 Depth=3
	v_cmp_ne_u64_e32 vcc, 0, v[28:29]
                                        ; implicit-def: $vgpr44
	s_and_saveexec_b64 s[34:35], vcc
	s_xor_b64 vcc, exec, s[34:35]
; %bb.1242:                             ;   in Loop: Header=BB2_1042 Depth=3
	v_or_b32_sdwa v44, v2, s47 dst_sel:DWORD dst_unused:UNUSED_PAD src0_sel:BYTE_3 src1_sel:DWORD
                                        ; implicit-def: $vgpr2
; %bb.1243:                             ;   in Loop: Header=BB2_1042 Depth=3
	s_andn2_saveexec_b64 s[34:35], vcc
; %bb.1244:                             ;   in Loop: Header=BB2_1042 Depth=3
	v_cmp_lt_i32_e32 vcc, -1, v2
	v_cndmask_b32_e32 v44, v6, v22, vcc
; %bb.1245:                             ;   in Loop: Header=BB2_1042 Depth=3
	s_or_b64 exec, exec, s[34:35]
.LBB2_1246:                             ;   in Loop: Header=BB2_1042 Depth=3
	s_or_b64 exec, exec, s[28:29]
	v_cmp_lt_u64_e32 vcc, s[56:57], v[8:9]
	v_mov_b32_e32 v3, 0
	s_and_saveexec_b64 s[28:29], vcc
	s_cbranch_execz .LBB2_1254
; %bb.1247:                             ;   in Loop: Header=BB2_1042 Depth=3
	v_lshrrev_b32_e32 v2, 24, v9
	v_cmp_ne_u32_e32 vcc, s96, v2
	v_bfrev_b32_e32 v3, 1
	s_and_saveexec_b64 s[34:35], vcc
	s_cbranch_execz .LBB2_1253
; %bb.1248:                             ;   in Loop: Header=BB2_1042 Depth=3
	v_and_b32_e32 v3, 0x7c000000, v9
	v_bfe_u32 v4, v9, 24, 2
	v_cmp_ne_u32_e32 vcc, s45, v3
                                        ; implicit-def: $vgpr3
	s_and_saveexec_b64 s[36:37], vcc
	s_xor_b64 s[36:37], exec, s[36:37]
	s_cbranch_execz .LBB2_1250
; %bb.1249:                             ;   in Loop: Header=BB2_1042 Depth=3
	v_ffbh_u32_e32 v3, v4
	v_min_u32_e32 v28, 32, v3
	v_subrev_u32_e32 v3, 29, v28
	v_lshlrev_b64 v[2:3], v3, v[2:3]
	v_bfe_u32 v14, v9, 26, 5
	v_sub_u32_e32 v3, 30, v28
	v_and_b32_e32 v2, 3, v2
	v_cmp_eq_u32_e32 vcc, 0, v14
	v_cndmask_b32_e32 v3, v14, v3, vcc
	v_cndmask_b32_e32 v2, v4, v2, vcc
	v_and_b32_e32 v4, 0x80000000, v9
	v_lshl_add_u32 v3, v3, 23, v4
	v_lshl_or_b32 v2, v2, 21, v3
	v_add_u32_e32 v3, 0x38000000, v2
                                        ; implicit-def: $vgpr4
.LBB2_1250:                             ;   in Loop: Header=BB2_1042 Depth=3
	s_andn2_saveexec_b64 s[36:37], s[36:37]
; %bb.1251:                             ;   in Loop: Header=BB2_1042 Depth=3
	v_cmp_lt_i64_e32 vcc, -1, v[8:9]
	v_cndmask_b32_e32 v2, v7, v0, vcc
	v_cmp_eq_u32_e32 vcc, 0, v4
	v_cndmask_b32_e32 v3, v35, v2, vcc
; %bb.1252:                             ;   in Loop: Header=BB2_1042 Depth=3
	s_or_b64 exec, exec, s[36:37]
.LBB2_1253:                             ;   in Loop: Header=BB2_1042 Depth=3
	s_or_b64 exec, exec, s[34:35]
.LBB2_1254:                             ;   in Loop: Header=BB2_1042 Depth=3
	s_or_b64 exec, exec, s[28:29]
	v_mul_f32_e32 v2, v51, v3
	v_and_b32_e32 v3, 0x7f800000, v2
	v_mov_b32_e32 v4, v29
	v_cmp_ne_u64_e32 vcc, s[76:77], v[3:4]
	v_and_b32_e32 v28, 0x7fffff, v2
                                        ; implicit-def: $vgpr8
	s_and_saveexec_b64 s[28:29], vcc
	s_xor_b64 s[34:35], exec, s[28:29]
	s_cbranch_execz .LBB2_1268
; %bb.1255:                             ;   in Loop: Header=BB2_1042 Depth=3
	v_and_b32_e32 v3, 0x7fffffff, v2
	v_mov_b32_e32 v4, v29
	v_cmp_gt_u64_e32 vcc, s[78:79], v[3:4]
	v_and_b32_sdwa v9, v2, s96 dst_sel:DWORD dst_unused:UNUSED_PAD src0_sel:BYTE_3 src1_sel:DWORD
                                        ; implicit-def: $vgpr8
	s_and_saveexec_b64 s[28:29], vcc
	s_xor_b64 s[36:37], exec, s[28:29]
	s_cbranch_execz .LBB2_1265
; %bb.1256:                             ;   in Loop: Header=BB2_1042 Depth=3
	v_mov_b32_e32 v8, 0
	v_cmp_ne_u32_e32 vcc, 0, v2
	s_and_saveexec_b64 s[38:39], vcc
	s_cbranch_execz .LBB2_1264
; %bb.1257:                             ;   in Loop: Header=BB2_1042 Depth=3
	v_bfe_u32 v8, v2, 23, 8
	v_cmp_gt_u32_e64 s[28:29], s46, v8
	v_sub_u32_e32 v2, 0x71, v8
	v_cmp_eq_u32_e32 vcc, 0, v8
	v_cndmask_b32_e64 v2, 0, v2, s[28:29]
	v_mov_b32_e32 v4, 0x70
	v_cndmask_b32_e32 v14, v2, v4, vcc
	v_add_u32_e32 v4, 21, v14
	v_or_b32_e32 v3, 0x800000, v28
	v_lshlrev_b64 v[38:39], v4, -1
	v_cndmask_b32_e32 v2, v3, v28, vcc
	v_mov_b32_e32 v3, v29
	v_add_u32_e32 v4, 20, v14
	v_bfi_b32 v38, v38, 0, v2
	v_lshlrev_b64 v[49:50], v4, 1
	v_lshrrev_b64 v[2:3], v14, v[2:3]
	v_bfi_b32 v39, v39, 0, 0
	v_cmp_eq_u64_e64 s[28:29], v[38:39], v[49:50]
	v_mov_b32_e32 v4, v3
	v_mov_b32_e32 v3, v2
	s_and_saveexec_b64 s[48:49], s[28:29]
; %bb.1258:                             ;   in Loop: Header=BB2_1042 Depth=3
	v_bfe_u32 v3, v2, 21, 1
	v_add_co_u32_e64 v3, s[28:29], v2, v3
	v_add_co_u32_e64 v3, s[28:29], -1, v3
; %bb.1259:                             ;   in Loop: Header=BB2_1042 Depth=3
	s_or_b64 exec, exec, s[48:49]
	v_add_u32_e32 v4, 0xffffff81, v8
	v_cndmask_b32_e32 v4, v4, v1, vcc
	v_lshrrev_b32_e32 v8, 23, v2
	v_add3_u32 v14, v14, v4, v8
	v_add_u32_e32 v8, 14, v14
	v_and_b32_e32 v3, 0x1fffff, v3
	v_add_u32_e32 v28, v3, v2
	v_cmp_ne_u32_e32 vcc, 0, v8
                                        ; implicit-def: $vgpr2_vgpr3
                                        ; implicit-def: $vgpr4
	s_and_saveexec_b64 s[28:29], vcc
	s_xor_b64 s[28:29], exec, s[28:29]
; %bb.1260:                             ;   in Loop: Header=BB2_1042 Depth=3
	v_cmp_lt_u64_e32 vcc, s[88:89], v[28:29]
	v_add_u32_e32 v2, 15, v14
	v_cndmask_b32_e32 v4, v8, v2, vcc
	v_cndmask_b32_e64 v2, 0, 1, vcc
	v_lshrrev_b64 v[2:3], v2, v[28:29]
; %bb.1261:                             ;   in Loop: Header=BB2_1042 Depth=3
	s_andn2_saveexec_b64 s[28:29], s[28:29]
; %bb.1262:                             ;   in Loop: Header=BB2_1042 Depth=3
	v_mov_b32_e32 v2, v28
	v_mov_b32_e32 v3, v29
	v_bfe_u32 v4, v28, 23, 1
; %bb.1263:                             ;   in Loop: Header=BB2_1042 Depth=3
	s_or_b64 exec, exec, s[28:29]
	v_lshrrev_b64 v[2:3], 21, v[2:3]
	v_cmp_gt_i32_e32 vcc, 32, v4
	v_cndmask_b32_e32 v3, 0, v3, vcc
	v_cndmask_b32_e32 v2, 3, v2, vcc
	v_cmp_eq_u64_e64 s[28:29], 0, v[2:3]
	v_min_i32_e32 v3, 31, v4
	v_lshlrev_b32_e32 v3, 2, v3
	v_cmp_eq_u32_e32 vcc, 0, v4
	v_and_b32_e32 v3, 0xfc, v3
	v_and_or_b32 v2, v2, 3, v3
	s_and_b64 s[28:29], vcc, s[28:29]
	v_cndmask_b32_e64 v2, v2, 0, s[28:29]
	v_or_b32_e32 v8, v2, v9
.LBB2_1264:                             ;   in Loop: Header=BB2_1042 Depth=3
	s_or_b64 exec, exec, s[38:39]
                                        ; implicit-def: $vgpr9
.LBB2_1265:                             ;   in Loop: Header=BB2_1042 Depth=3
	s_andn2_saveexec_b64 s[28:29], s[36:37]
; %bb.1266:                             ;   in Loop: Header=BB2_1042 Depth=3
	v_or_b32_e32 v8, 0x7b, v9
; %bb.1267:                             ;   in Loop: Header=BB2_1042 Depth=3
	s_or_b64 exec, exec, s[28:29]
                                        ; implicit-def: $vgpr2
.LBB2_1268:                             ;   in Loop: Header=BB2_1042 Depth=3
	s_andn2_saveexec_b64 s[28:29], s[34:35]
	s_cbranch_execz .LBB2_1274
; %bb.1269:                             ;   in Loop: Header=BB2_1042 Depth=3
	v_cmp_ne_u64_e32 vcc, 0, v[28:29]
                                        ; implicit-def: $vgpr8
	s_and_saveexec_b64 s[34:35], vcc
	s_xor_b64 vcc, exec, s[34:35]
; %bb.1270:                             ;   in Loop: Header=BB2_1042 Depth=3
	v_or_b32_sdwa v8, v2, s47 dst_sel:DWORD dst_unused:UNUSED_PAD src0_sel:BYTE_3 src1_sel:DWORD
                                        ; implicit-def: $vgpr2
; %bb.1271:                             ;   in Loop: Header=BB2_1042 Depth=3
	s_andn2_saveexec_b64 s[34:35], vcc
; %bb.1272:                             ;   in Loop: Header=BB2_1042 Depth=3
	v_cmp_lt_i32_e32 vcc, -1, v2
	v_cndmask_b32_e32 v8, v6, v22, vcc
; %bb.1273:                             ;   in Loop: Header=BB2_1042 Depth=3
	s_or_b64 exec, exec, s[34:35]
.LBB2_1274:                             ;   in Loop: Header=BB2_1042 Depth=3
	s_or_b64 exec, exec, s[28:29]
	v_cmp_ne_u16_sdwa vcc, v10, v29 src0_sel:BYTE_0 src1_sel:DWORD
	v_mov_b32_e32 v2, 0
	s_and_saveexec_b64 s[28:29], vcc
	s_cbranch_execz .LBB2_1282
; %bb.1275:                             ;   in Loop: Header=BB2_1042 Depth=3
	v_cmp_ne_u16_sdwa vcc, sext(v10), s97 src0_sel:BYTE_0 src1_sel:DWORD
	v_bfrev_b32_e32 v2, 1
	s_and_saveexec_b64 s[34:35], vcc
	s_cbranch_execz .LBB2_1281
; %bb.1276:                             ;   in Loop: Header=BB2_1042 Depth=3
	v_and_b32_e32 v2, 0x7c, v10
	v_and_b32_e32 v3, 3, v10
	v_cmp_ne_u32_e32 vcc, s85, v2
                                        ; implicit-def: $vgpr2
	s_and_saveexec_b64 s[36:37], vcc
	s_xor_b64 s[36:37], exec, s[36:37]
	s_cbranch_execz .LBB2_1278
; %bb.1277:                             ;   in Loop: Header=BB2_1042 Depth=3
	v_ffbh_u32_e32 v4, v3
	v_min_u32_e32 v4, 32, v4
	v_bfe_u32 v2, v10, 2, 5
	v_subrev_u32_e32 v9, 29, v4
	v_lshlrev_b64 v[38:39], v9, v[10:11]
	v_sub_u32_e32 v4, 30, v4
	v_cmp_eq_u32_e32 vcc, 0, v2
	v_cndmask_b32_e32 v2, v2, v4, vcc
	v_lshlrev_b32_e32 v4, 24, v10
	v_and_b32_e32 v9, 3, v38
	v_and_b32_e32 v4, 0x80000000, v4
	v_cndmask_b32_e32 v3, v3, v9, vcc
	v_lshl_add_u32 v2, v2, 23, v4
	v_lshl_or_b32 v2, v3, 21, v2
	v_add_u32_e32 v2, 0x38000000, v2
                                        ; implicit-def: $vgpr3
.LBB2_1278:                             ;   in Loop: Header=BB2_1042 Depth=3
	s_andn2_saveexec_b64 s[36:37], s[36:37]
; %bb.1279:                             ;   in Loop: Header=BB2_1042 Depth=3
	v_cmp_gt_i16_sdwa vcc, sext(v10), v48 src0_sel:BYTE_0 src1_sel:DWORD
	v_cndmask_b32_e32 v2, v7, v0, vcc
	v_cmp_eq_u32_e32 vcc, 0, v3
	v_cndmask_b32_e32 v2, v35, v2, vcc
; %bb.1280:                             ;   in Loop: Header=BB2_1042 Depth=3
	s_or_b64 exec, exec, s[36:37]
.LBB2_1281:                             ;   in Loop: Header=BB2_1042 Depth=3
	s_or_b64 exec, exec, s[34:35]
.LBB2_1282:                             ;   in Loop: Header=BB2_1042 Depth=3
	s_or_b64 exec, exec, s[28:29]
	v_mul_f32_e32 v2, v51, v2
	v_and_b32_e32 v3, 0x7f800000, v2
	v_mov_b32_e32 v4, v29
	v_cmp_ne_u64_e32 vcc, s[76:77], v[3:4]
	v_and_b32_e32 v28, 0x7fffff, v2
                                        ; implicit-def: $vgpr9
	s_and_saveexec_b64 s[28:29], vcc
	s_xor_b64 s[34:35], exec, s[28:29]
	s_cbranch_execz .LBB2_1296
; %bb.1283:                             ;   in Loop: Header=BB2_1042 Depth=3
	v_and_b32_e32 v3, 0x7fffffff, v2
	v_mov_b32_e32 v4, v29
	v_cmp_gt_u64_e32 vcc, s[78:79], v[3:4]
	v_and_b32_sdwa v14, v2, s96 dst_sel:DWORD dst_unused:UNUSED_PAD src0_sel:BYTE_3 src1_sel:DWORD
                                        ; implicit-def: $vgpr9
	s_and_saveexec_b64 s[28:29], vcc
	s_xor_b64 s[36:37], exec, s[28:29]
	s_cbranch_execz .LBB2_1293
; %bb.1284:                             ;   in Loop: Header=BB2_1042 Depth=3
	v_mov_b32_e32 v9, 0
	v_cmp_ne_u32_e32 vcc, 0, v2
	s_and_saveexec_b64 s[38:39], vcc
	s_cbranch_execz .LBB2_1292
; %bb.1285:                             ;   in Loop: Header=BB2_1042 Depth=3
	v_bfe_u32 v9, v2, 23, 8
	v_cmp_gt_u32_e64 s[28:29], s46, v9
	v_sub_u32_e32 v2, 0x71, v9
	v_cmp_eq_u32_e32 vcc, 0, v9
	v_cndmask_b32_e64 v2, 0, v2, s[28:29]
	v_mov_b32_e32 v4, 0x70
	v_cndmask_b32_e32 v49, v2, v4, vcc
	v_add_u32_e32 v4, 21, v49
	v_or_b32_e32 v3, 0x800000, v28
	v_lshlrev_b64 v[38:39], v4, -1
	v_cndmask_b32_e32 v2, v3, v28, vcc
	v_mov_b32_e32 v3, v29
	v_add_u32_e32 v4, 20, v49
	v_bfi_b32 v38, v38, 0, v2
	v_lshlrev_b64 v[45:46], v4, 1
	v_lshrrev_b64 v[2:3], v49, v[2:3]
	v_bfi_b32 v39, v39, 0, 0
	v_cmp_eq_u64_e64 s[28:29], v[38:39], v[45:46]
	v_mov_b32_e32 v4, v3
	v_mov_b32_e32 v3, v2
	s_and_saveexec_b64 s[48:49], s[28:29]
; %bb.1286:                             ;   in Loop: Header=BB2_1042 Depth=3
	v_bfe_u32 v3, v2, 21, 1
	v_add_co_u32_e64 v3, s[28:29], v2, v3
	v_add_co_u32_e64 v3, s[28:29], -1, v3
; %bb.1287:                             ;   in Loop: Header=BB2_1042 Depth=3
	s_or_b64 exec, exec, s[48:49]
	v_add_u32_e32 v4, 0xffffff81, v9
	v_cndmask_b32_e32 v4, v4, v1, vcc
	v_lshrrev_b32_e32 v9, 23, v2
	v_add3_u32 v49, v49, v4, v9
	v_add_u32_e32 v9, 14, v49
	v_and_b32_e32 v3, 0x1fffff, v3
	v_add_u32_e32 v28, v3, v2
	v_cmp_ne_u32_e32 vcc, 0, v9
                                        ; implicit-def: $vgpr2_vgpr3
                                        ; implicit-def: $vgpr4
	s_and_saveexec_b64 s[28:29], vcc
	s_xor_b64 s[28:29], exec, s[28:29]
; %bb.1288:                             ;   in Loop: Header=BB2_1042 Depth=3
	v_cmp_lt_u64_e32 vcc, s[88:89], v[28:29]
	v_add_u32_e32 v2, 15, v49
	v_cndmask_b32_e32 v4, v9, v2, vcc
	v_cndmask_b32_e64 v2, 0, 1, vcc
	v_lshrrev_b64 v[2:3], v2, v[28:29]
; %bb.1289:                             ;   in Loop: Header=BB2_1042 Depth=3
	s_andn2_saveexec_b64 s[28:29], s[28:29]
; %bb.1290:                             ;   in Loop: Header=BB2_1042 Depth=3
	v_mov_b32_e32 v2, v28
	v_mov_b32_e32 v3, v29
	v_bfe_u32 v4, v28, 23, 1
; %bb.1291:                             ;   in Loop: Header=BB2_1042 Depth=3
	s_or_b64 exec, exec, s[28:29]
	v_lshrrev_b64 v[2:3], 21, v[2:3]
	v_cmp_gt_i32_e32 vcc, 32, v4
	v_cndmask_b32_e32 v3, 0, v3, vcc
	v_cndmask_b32_e32 v2, 3, v2, vcc
	v_cmp_eq_u64_e64 s[28:29], 0, v[2:3]
	v_min_i32_e32 v3, 31, v4
	v_lshlrev_b32_e32 v3, 2, v3
	v_cmp_eq_u32_e32 vcc, 0, v4
	v_and_b32_e32 v3, 0xfc, v3
	v_and_or_b32 v2, v2, 3, v3
	s_and_b64 s[28:29], vcc, s[28:29]
	v_cndmask_b32_e64 v2, v2, 0, s[28:29]
	v_or_b32_e32 v9, v2, v14
.LBB2_1292:                             ;   in Loop: Header=BB2_1042 Depth=3
	s_or_b64 exec, exec, s[38:39]
                                        ; implicit-def: $vgpr14
.LBB2_1293:                             ;   in Loop: Header=BB2_1042 Depth=3
	s_andn2_saveexec_b64 s[28:29], s[36:37]
; %bb.1294:                             ;   in Loop: Header=BB2_1042 Depth=3
	v_or_b32_e32 v9, 0x7b, v14
; %bb.1295:                             ;   in Loop: Header=BB2_1042 Depth=3
	s_or_b64 exec, exec, s[28:29]
                                        ; implicit-def: $vgpr2
.LBB2_1296:                             ;   in Loop: Header=BB2_1042 Depth=3
	s_andn2_saveexec_b64 s[28:29], s[34:35]
	s_cbranch_execz .LBB2_1302
; %bb.1297:                             ;   in Loop: Header=BB2_1042 Depth=3
	v_cmp_ne_u64_e32 vcc, 0, v[28:29]
                                        ; implicit-def: $vgpr9
	s_and_saveexec_b64 s[34:35], vcc
	s_xor_b64 vcc, exec, s[34:35]
; %bb.1298:                             ;   in Loop: Header=BB2_1042 Depth=3
	v_or_b32_sdwa v9, v2, s47 dst_sel:DWORD dst_unused:UNUSED_PAD src0_sel:BYTE_3 src1_sel:DWORD
                                        ; implicit-def: $vgpr2
; %bb.1299:                             ;   in Loop: Header=BB2_1042 Depth=3
	s_andn2_saveexec_b64 s[34:35], vcc
; %bb.1300:                             ;   in Loop: Header=BB2_1042 Depth=3
	v_cmp_lt_i32_e32 vcc, -1, v2
	v_cndmask_b32_e32 v9, v6, v22, vcc
; %bb.1301:                             ;   in Loop: Header=BB2_1042 Depth=3
	s_or_b64 exec, exec, s[34:35]
.LBB2_1302:                             ;   in Loop: Header=BB2_1042 Depth=3
	s_or_b64 exec, exec, s[28:29]
	v_lshrrev_b16_e32 v2, 8, v10
	v_cmp_ne_u16_e32 vcc, 0, v2
	v_mov_b32_e32 v3, 0
	s_and_saveexec_b64 s[28:29], vcc
	s_cbranch_execz .LBB2_1310
; %bb.1303:                             ;   in Loop: Header=BB2_1042 Depth=3
	v_cmp_ne_u16_e32 vcc, s96, v2
	v_bfrev_b32_e32 v3, 1
	s_and_saveexec_b64 s[34:35], vcc
	s_cbranch_execz .LBB2_1309
; %bb.1304:                             ;   in Loop: Header=BB2_1042 Depth=3
	v_and_b32_e32 v3, 0x7c, v2
	v_and_b32_e32 v4, 3, v2
	v_cmp_ne_u32_e32 vcc, s85, v3
                                        ; implicit-def: $vgpr3
	s_and_saveexec_b64 s[36:37], vcc
	s_xor_b64 s[36:37], exec, s[36:37]
	s_cbranch_execz .LBB2_1306
; %bb.1305:                             ;   in Loop: Header=BB2_1042 Depth=3
	v_ffbh_u32_e32 v28, v4
	v_min_u32_e32 v28, 32, v28
	v_mov_b32_e32 v3, v29
	v_subrev_u32_e32 v38, 29, v28
	v_bfe_u32 v14, v2, 2, 5
	v_lshlrev_b64 v[2:3], v38, v[2:3]
	v_cmp_eq_u32_e32 vcc, 0, v14
	v_and_b32_e32 v2, 3, v2
	v_sub_u32_e32 v3, 30, v28
	v_cndmask_b32_e32 v2, v4, v2, vcc
	v_lshlrev_b32_e32 v4, 16, v10
	v_cndmask_b32_e32 v3, v14, v3, vcc
	v_and_b32_e32 v4, 0x80000000, v4
	v_lshl_add_u32 v3, v3, 23, v4
	v_lshl_or_b32 v2, v2, 21, v3
	v_add_u32_e32 v3, 0x38000000, v2
                                        ; implicit-def: $vgpr4
.LBB2_1306:                             ;   in Loop: Header=BB2_1042 Depth=3
	s_andn2_saveexec_b64 s[36:37], s[36:37]
; %bb.1307:                             ;   in Loop: Header=BB2_1042 Depth=3
	v_cmp_lt_i16_e32 vcc, -1, v10
	v_cndmask_b32_e32 v2, v7, v0, vcc
	v_cmp_eq_u32_e32 vcc, 0, v4
	v_cndmask_b32_e32 v3, v35, v2, vcc
; %bb.1308:                             ;   in Loop: Header=BB2_1042 Depth=3
	s_or_b64 exec, exec, s[36:37]
.LBB2_1309:                             ;   in Loop: Header=BB2_1042 Depth=3
	s_or_b64 exec, exec, s[34:35]
.LBB2_1310:                             ;   in Loop: Header=BB2_1042 Depth=3
	s_or_b64 exec, exec, s[28:29]
	v_mul_f32_e32 v2, v51, v3
	v_and_b32_e32 v3, 0x7f800000, v2
	v_mov_b32_e32 v4, v29
	v_cmp_ne_u64_e32 vcc, s[76:77], v[3:4]
	v_and_b32_e32 v28, 0x7fffff, v2
                                        ; implicit-def: $vgpr14
	s_and_saveexec_b64 s[28:29], vcc
	s_xor_b64 s[34:35], exec, s[28:29]
	s_cbranch_execz .LBB2_1324
; %bb.1311:                             ;   in Loop: Header=BB2_1042 Depth=3
	v_and_b32_e32 v3, 0x7fffffff, v2
	v_mov_b32_e32 v4, v29
	v_cmp_gt_u64_e32 vcc, s[78:79], v[3:4]
	v_and_b32_sdwa v49, v2, s96 dst_sel:DWORD dst_unused:UNUSED_PAD src0_sel:BYTE_3 src1_sel:DWORD
                                        ; implicit-def: $vgpr14
	s_and_saveexec_b64 s[28:29], vcc
	s_xor_b64 s[36:37], exec, s[28:29]
	s_cbranch_execz .LBB2_1321
; %bb.1312:                             ;   in Loop: Header=BB2_1042 Depth=3
	v_mov_b32_e32 v14, 0
	v_cmp_ne_u32_e32 vcc, 0, v2
	s_and_saveexec_b64 s[38:39], vcc
	s_cbranch_execz .LBB2_1320
; %bb.1313:                             ;   in Loop: Header=BB2_1042 Depth=3
	v_bfe_u32 v14, v2, 23, 8
	v_cmp_gt_u32_e64 s[28:29], s46, v14
	v_sub_u32_e32 v2, 0x71, v14
	v_cmp_eq_u32_e32 vcc, 0, v14
	v_cndmask_b32_e64 v2, 0, v2, s[28:29]
	v_mov_b32_e32 v4, 0x70
	v_cndmask_b32_e32 v50, v2, v4, vcc
	v_add_u32_e32 v4, 21, v50
	v_or_b32_e32 v3, 0x800000, v28
	v_lshlrev_b64 v[38:39], v4, -1
	v_cndmask_b32_e32 v2, v3, v28, vcc
	v_mov_b32_e32 v3, v29
	v_add_u32_e32 v4, 20, v50
	v_bfi_b32 v38, v38, 0, v2
	v_lshlrev_b64 v[45:46], v4, 1
	v_lshrrev_b64 v[2:3], v50, v[2:3]
	v_bfi_b32 v39, v39, 0, 0
	v_cmp_eq_u64_e64 s[28:29], v[38:39], v[45:46]
	v_mov_b32_e32 v4, v3
	v_mov_b32_e32 v3, v2
	s_and_saveexec_b64 s[48:49], s[28:29]
; %bb.1314:                             ;   in Loop: Header=BB2_1042 Depth=3
	v_bfe_u32 v3, v2, 21, 1
	v_add_co_u32_e64 v3, s[28:29], v2, v3
	v_add_co_u32_e64 v3, s[28:29], -1, v3
; %bb.1315:                             ;   in Loop: Header=BB2_1042 Depth=3
	s_or_b64 exec, exec, s[48:49]
	v_add_u32_e32 v4, 0xffffff81, v14
	v_cndmask_b32_e32 v4, v4, v1, vcc
	v_lshrrev_b32_e32 v14, 23, v2
	v_add3_u32 v50, v50, v4, v14
	v_add_u32_e32 v14, 14, v50
	v_and_b32_e32 v3, 0x1fffff, v3
	v_add_u32_e32 v28, v3, v2
	v_cmp_ne_u32_e32 vcc, 0, v14
                                        ; implicit-def: $vgpr2_vgpr3
                                        ; implicit-def: $vgpr4
	s_and_saveexec_b64 s[28:29], vcc
	s_xor_b64 s[28:29], exec, s[28:29]
; %bb.1316:                             ;   in Loop: Header=BB2_1042 Depth=3
	v_cmp_lt_u64_e32 vcc, s[88:89], v[28:29]
	v_add_u32_e32 v2, 15, v50
	v_cndmask_b32_e32 v4, v14, v2, vcc
	v_cndmask_b32_e64 v2, 0, 1, vcc
	v_lshrrev_b64 v[2:3], v2, v[28:29]
; %bb.1317:                             ;   in Loop: Header=BB2_1042 Depth=3
	s_andn2_saveexec_b64 s[28:29], s[28:29]
; %bb.1318:                             ;   in Loop: Header=BB2_1042 Depth=3
	v_mov_b32_e32 v2, v28
	v_mov_b32_e32 v3, v29
	v_bfe_u32 v4, v28, 23, 1
; %bb.1319:                             ;   in Loop: Header=BB2_1042 Depth=3
	s_or_b64 exec, exec, s[28:29]
	v_lshrrev_b64 v[2:3], 21, v[2:3]
	v_cmp_gt_i32_e32 vcc, 32, v4
	v_cndmask_b32_e32 v3, 0, v3, vcc
	v_cndmask_b32_e32 v2, 3, v2, vcc
	v_cmp_eq_u64_e64 s[28:29], 0, v[2:3]
	v_min_i32_e32 v3, 31, v4
	v_lshlrev_b32_e32 v3, 2, v3
	v_cmp_eq_u32_e32 vcc, 0, v4
	v_and_b32_e32 v3, 0xfc, v3
	v_and_or_b32 v2, v2, 3, v3
	s_and_b64 s[28:29], vcc, s[28:29]
	v_cndmask_b32_e64 v2, v2, 0, s[28:29]
	v_or_b32_e32 v14, v2, v49
.LBB2_1320:                             ;   in Loop: Header=BB2_1042 Depth=3
	s_or_b64 exec, exec, s[38:39]
                                        ; implicit-def: $vgpr49
.LBB2_1321:                             ;   in Loop: Header=BB2_1042 Depth=3
	s_andn2_saveexec_b64 s[28:29], s[36:37]
; %bb.1322:                             ;   in Loop: Header=BB2_1042 Depth=3
	v_or_b32_e32 v14, 0x7b, v49
; %bb.1323:                             ;   in Loop: Header=BB2_1042 Depth=3
	s_or_b64 exec, exec, s[28:29]
                                        ; implicit-def: $vgpr2
.LBB2_1324:                             ;   in Loop: Header=BB2_1042 Depth=3
	s_andn2_saveexec_b64 s[28:29], s[34:35]
	s_cbranch_execz .LBB2_1330
; %bb.1325:                             ;   in Loop: Header=BB2_1042 Depth=3
	v_cmp_ne_u64_e32 vcc, 0, v[28:29]
                                        ; implicit-def: $vgpr14
	s_and_saveexec_b64 s[34:35], vcc
	s_xor_b64 vcc, exec, s[34:35]
; %bb.1326:                             ;   in Loop: Header=BB2_1042 Depth=3
	v_or_b32_sdwa v14, v2, s47 dst_sel:DWORD dst_unused:UNUSED_PAD src0_sel:BYTE_3 src1_sel:DWORD
                                        ; implicit-def: $vgpr2
; %bb.1327:                             ;   in Loop: Header=BB2_1042 Depth=3
	s_andn2_saveexec_b64 s[34:35], vcc
; %bb.1328:                             ;   in Loop: Header=BB2_1042 Depth=3
	v_cmp_lt_i32_e32 vcc, -1, v2
	v_cndmask_b32_e32 v14, v6, v22, vcc
; %bb.1329:                             ;   in Loop: Header=BB2_1042 Depth=3
	s_or_b64 exec, exec, s[34:35]
.LBB2_1330:                             ;   in Loop: Header=BB2_1042 Depth=3
	s_or_b64 exec, exec, s[28:29]
	v_lshrrev_b32_e32 v2, 16, v10
	v_cmp_ne_u16_sdwa vcc, v2, v29 src0_sel:BYTE_0 src1_sel:DWORD
	v_mov_b32_e32 v3, 0
	s_and_saveexec_b64 s[28:29], vcc
	s_cbranch_execz .LBB2_1338
; %bb.1331:                             ;   in Loop: Header=BB2_1042 Depth=3
	v_cmp_ne_u16_sdwa vcc, v2, s96 src0_sel:BYTE_0 src1_sel:DWORD
	v_bfrev_b32_e32 v3, 1
	s_and_saveexec_b64 s[34:35], vcc
	s_cbranch_execz .LBB2_1337
; %bb.1332:                             ;   in Loop: Header=BB2_1042 Depth=3
	v_and_b32_e32 v3, 0x7c0000, v10
	v_bfe_u32 v4, v10, 16, 2
	v_cmp_ne_u32_e32 vcc, s44, v3
                                        ; implicit-def: $vgpr3
	s_and_saveexec_b64 s[36:37], vcc
	s_xor_b64 s[36:37], exec, s[36:37]
	s_cbranch_execz .LBB2_1334
; %bb.1333:                             ;   in Loop: Header=BB2_1042 Depth=3
	v_ffbh_u32_e32 v3, v4
	v_min_u32_e32 v38, 32, v3
	v_subrev_u32_e32 v3, 29, v38
	v_lshlrev_b64 v[2:3], v3, v[2:3]
	v_bfe_u32 v28, v10, 18, 5
	v_and_b32_e32 v2, 3, v2
	v_cmp_eq_u32_e32 vcc, 0, v28
	v_sub_u32_e32 v3, 30, v38
	v_cndmask_b32_e32 v2, v4, v2, vcc
	v_lshlrev_b32_e32 v4, 8, v10
	v_cndmask_b32_e32 v3, v28, v3, vcc
	v_and_b32_e32 v4, 0x80000000, v4
	v_lshl_add_u32 v3, v3, 23, v4
	v_lshl_or_b32 v2, v2, 21, v3
	v_add_u32_e32 v3, 0x38000000, v2
                                        ; implicit-def: $vgpr4
                                        ; implicit-def: $vgpr2
.LBB2_1334:                             ;   in Loop: Header=BB2_1042 Depth=3
	s_andn2_saveexec_b64 s[36:37], s[36:37]
; %bb.1335:                             ;   in Loop: Header=BB2_1042 Depth=3
	v_cmp_gt_i16_sdwa vcc, sext(v2), v48 src0_sel:BYTE_0 src1_sel:DWORD
	v_cndmask_b32_e32 v2, v7, v0, vcc
	v_cmp_eq_u32_e32 vcc, 0, v4
	v_cndmask_b32_e32 v3, v35, v2, vcc
; %bb.1336:                             ;   in Loop: Header=BB2_1042 Depth=3
	s_or_b64 exec, exec, s[36:37]
.LBB2_1337:                             ;   in Loop: Header=BB2_1042 Depth=3
	s_or_b64 exec, exec, s[34:35]
.LBB2_1338:                             ;   in Loop: Header=BB2_1042 Depth=3
	s_or_b64 exec, exec, s[28:29]
	v_mul_f32_e32 v2, v51, v3
	v_and_b32_e32 v3, 0x7f800000, v2
	v_mov_b32_e32 v4, v29
	v_cmp_ne_u64_e32 vcc, s[76:77], v[3:4]
	v_and_b32_e32 v28, 0x7fffff, v2
                                        ; implicit-def: $vgpr50
	s_and_saveexec_b64 s[28:29], vcc
	s_xor_b64 s[34:35], exec, s[28:29]
	s_cbranch_execz .LBB2_1352
; %bb.1339:                             ;   in Loop: Header=BB2_1042 Depth=3
	v_and_b32_e32 v3, 0x7fffffff, v2
	v_mov_b32_e32 v4, v29
	v_cmp_gt_u64_e32 vcc, s[78:79], v[3:4]
	v_and_b32_sdwa v49, v2, s96 dst_sel:DWORD dst_unused:UNUSED_PAD src0_sel:BYTE_3 src1_sel:DWORD
                                        ; implicit-def: $vgpr50
	s_and_saveexec_b64 s[28:29], vcc
	s_xor_b64 s[36:37], exec, s[28:29]
	s_cbranch_execz .LBB2_1349
; %bb.1340:                             ;   in Loop: Header=BB2_1042 Depth=3
	v_mov_b32_e32 v50, 0
	v_cmp_ne_u32_e32 vcc, 0, v2
	s_and_saveexec_b64 s[38:39], vcc
	s_cbranch_execz .LBB2_1348
; %bb.1341:                             ;   in Loop: Header=BB2_1042 Depth=3
	v_bfe_u32 v50, v2, 23, 8
	v_cmp_gt_u32_e64 s[28:29], s46, v50
	v_sub_u32_e32 v2, 0x71, v50
	v_cmp_eq_u32_e32 vcc, 0, v50
	v_cndmask_b32_e64 v2, 0, v2, s[28:29]
	v_mov_b32_e32 v4, 0x70
	v_cndmask_b32_e32 v45, v2, v4, vcc
	v_add_u32_e32 v4, 21, v45
	v_or_b32_e32 v3, 0x800000, v28
	v_lshlrev_b64 v[38:39], v4, -1
	v_cndmask_b32_e32 v2, v3, v28, vcc
	v_mov_b32_e32 v3, v29
	v_add_u32_e32 v4, 20, v45
	v_bfi_b32 v38, v38, 0, v2
	v_lshlrev_b64 v[46:47], v4, 1
	v_lshrrev_b64 v[2:3], v45, v[2:3]
	v_bfi_b32 v39, v39, 0, 0
	v_cmp_eq_u64_e64 s[28:29], v[38:39], v[46:47]
	v_mov_b32_e32 v4, v3
	v_mov_b32_e32 v3, v2
	s_and_saveexec_b64 s[48:49], s[28:29]
; %bb.1342:                             ;   in Loop: Header=BB2_1042 Depth=3
	v_bfe_u32 v3, v2, 21, 1
	v_add_co_u32_e64 v3, s[28:29], v2, v3
	v_add_co_u32_e64 v3, s[28:29], -1, v3
; %bb.1343:                             ;   in Loop: Header=BB2_1042 Depth=3
	s_or_b64 exec, exec, s[48:49]
	v_add_u32_e32 v4, 0xffffff81, v50
	v_cndmask_b32_e32 v4, v4, v1, vcc
	v_lshrrev_b32_e32 v28, 23, v2
	v_add3_u32 v45, v45, v4, v28
	v_add_u32_e32 v50, 14, v45
	v_and_b32_e32 v3, 0x1fffff, v3
	v_add_u32_e32 v28, v3, v2
	v_cmp_ne_u32_e32 vcc, 0, v50
                                        ; implicit-def: $vgpr2_vgpr3
                                        ; implicit-def: $vgpr4
	s_and_saveexec_b64 s[28:29], vcc
	s_xor_b64 s[28:29], exec, s[28:29]
; %bb.1344:                             ;   in Loop: Header=BB2_1042 Depth=3
	v_cmp_lt_u64_e32 vcc, s[88:89], v[28:29]
	v_add_u32_e32 v2, 15, v45
	v_cndmask_b32_e32 v4, v50, v2, vcc
	v_cndmask_b32_e64 v2, 0, 1, vcc
	v_lshrrev_b64 v[2:3], v2, v[28:29]
; %bb.1345:                             ;   in Loop: Header=BB2_1042 Depth=3
	s_andn2_saveexec_b64 s[28:29], s[28:29]
; %bb.1346:                             ;   in Loop: Header=BB2_1042 Depth=3
	v_mov_b32_e32 v2, v28
	v_mov_b32_e32 v3, v29
	v_bfe_u32 v4, v28, 23, 1
; %bb.1347:                             ;   in Loop: Header=BB2_1042 Depth=3
	s_or_b64 exec, exec, s[28:29]
	v_lshrrev_b64 v[2:3], 21, v[2:3]
	v_cmp_gt_i32_e32 vcc, 32, v4
	v_cndmask_b32_e32 v3, 0, v3, vcc
	v_cndmask_b32_e32 v2, 3, v2, vcc
	v_cmp_eq_u64_e64 s[28:29], 0, v[2:3]
	v_min_i32_e32 v3, 31, v4
	v_lshlrev_b32_e32 v3, 2, v3
	v_cmp_eq_u32_e32 vcc, 0, v4
	v_and_b32_e32 v3, 0xfc, v3
	v_and_or_b32 v2, v2, 3, v3
	s_and_b64 s[28:29], vcc, s[28:29]
	v_cndmask_b32_e64 v2, v2, 0, s[28:29]
	v_or_b32_e32 v50, v2, v49
.LBB2_1348:                             ;   in Loop: Header=BB2_1042 Depth=3
	s_or_b64 exec, exec, s[38:39]
                                        ; implicit-def: $vgpr49
.LBB2_1349:                             ;   in Loop: Header=BB2_1042 Depth=3
	s_andn2_saveexec_b64 s[28:29], s[36:37]
; %bb.1350:                             ;   in Loop: Header=BB2_1042 Depth=3
	v_or_b32_e32 v50, 0x7b, v49
; %bb.1351:                             ;   in Loop: Header=BB2_1042 Depth=3
	s_or_b64 exec, exec, s[28:29]
                                        ; implicit-def: $vgpr2
.LBB2_1352:                             ;   in Loop: Header=BB2_1042 Depth=3
	s_andn2_saveexec_b64 s[28:29], s[34:35]
	s_cbranch_execz .LBB2_1358
; %bb.1353:                             ;   in Loop: Header=BB2_1042 Depth=3
	v_cmp_ne_u64_e32 vcc, 0, v[28:29]
                                        ; implicit-def: $vgpr50
	s_and_saveexec_b64 s[34:35], vcc
	s_xor_b64 vcc, exec, s[34:35]
; %bb.1354:                             ;   in Loop: Header=BB2_1042 Depth=3
	v_or_b32_sdwa v50, v2, s47 dst_sel:DWORD dst_unused:UNUSED_PAD src0_sel:BYTE_3 src1_sel:DWORD
                                        ; implicit-def: $vgpr2
; %bb.1355:                             ;   in Loop: Header=BB2_1042 Depth=3
	s_andn2_saveexec_b64 s[34:35], vcc
; %bb.1356:                             ;   in Loop: Header=BB2_1042 Depth=3
	v_cmp_lt_i32_e32 vcc, -1, v2
	v_cndmask_b32_e32 v50, v6, v22, vcc
; %bb.1357:                             ;   in Loop: Header=BB2_1042 Depth=3
	s_or_b64 exec, exec, s[34:35]
.LBB2_1358:                             ;   in Loop: Header=BB2_1042 Depth=3
	s_or_b64 exec, exec, s[28:29]
	v_cmp_lt_u32_e32 vcc, s57, v10
	v_mov_b32_e32 v3, 0
	s_and_saveexec_b64 s[28:29], vcc
	s_cbranch_execz .LBB2_1366
; %bb.1359:                             ;   in Loop: Header=BB2_1042 Depth=3
	v_lshrrev_b32_e32 v2, 24, v10
	v_cmp_ne_u32_e32 vcc, s96, v2
	v_bfrev_b32_e32 v3, 1
	s_and_saveexec_b64 s[34:35], vcc
	s_cbranch_execz .LBB2_1365
; %bb.1360:                             ;   in Loop: Header=BB2_1042 Depth=3
	v_and_b32_e32 v3, 0x7c000000, v10
	v_bfe_u32 v4, v10, 24, 2
	v_cmp_ne_u32_e32 vcc, s45, v3
                                        ; implicit-def: $vgpr3
	s_and_saveexec_b64 s[36:37], vcc
	s_xor_b64 s[36:37], exec, s[36:37]
	s_cbranch_execz .LBB2_1362
; %bb.1361:                             ;   in Loop: Header=BB2_1042 Depth=3
	v_ffbh_u32_e32 v3, v4
	v_min_u32_e32 v38, 32, v3
	v_subrev_u32_e32 v3, 29, v38
	v_lshlrev_b64 v[2:3], v3, v[2:3]
	v_bfe_u32 v28, v10, 26, 5
	v_sub_u32_e32 v3, 30, v38
	v_and_b32_e32 v2, 3, v2
	v_cmp_eq_u32_e32 vcc, 0, v28
	v_cndmask_b32_e32 v3, v28, v3, vcc
	v_cndmask_b32_e32 v2, v4, v2, vcc
	v_and_b32_e32 v4, 0x80000000, v10
	v_lshl_add_u32 v3, v3, 23, v4
	v_lshl_or_b32 v2, v2, 21, v3
	v_add_u32_e32 v3, 0x38000000, v2
                                        ; implicit-def: $vgpr4
.LBB2_1362:                             ;   in Loop: Header=BB2_1042 Depth=3
	s_andn2_saveexec_b64 s[36:37], s[36:37]
; %bb.1363:                             ;   in Loop: Header=BB2_1042 Depth=3
	v_cmp_lt_i32_e32 vcc, -1, v10
	v_cndmask_b32_e32 v2, v7, v0, vcc
	v_cmp_eq_u32_e32 vcc, 0, v4
	v_cndmask_b32_e32 v3, v35, v2, vcc
; %bb.1364:                             ;   in Loop: Header=BB2_1042 Depth=3
	s_or_b64 exec, exec, s[36:37]
.LBB2_1365:                             ;   in Loop: Header=BB2_1042 Depth=3
	s_or_b64 exec, exec, s[34:35]
.LBB2_1366:                             ;   in Loop: Header=BB2_1042 Depth=3
	s_or_b64 exec, exec, s[28:29]
	v_mul_f32_e32 v2, v51, v3
	v_and_b32_e32 v3, 0x7f800000, v2
	v_mov_b32_e32 v4, v29
	v_cmp_ne_u64_e32 vcc, s[76:77], v[3:4]
	v_and_b32_e32 v28, 0x7fffff, v2
                                        ; implicit-def: $vgpr45
	s_and_saveexec_b64 s[28:29], vcc
	s_xor_b64 s[34:35], exec, s[28:29]
	s_cbranch_execz .LBB2_1380
; %bb.1367:                             ;   in Loop: Header=BB2_1042 Depth=3
	v_and_b32_e32 v3, 0x7fffffff, v2
	v_mov_b32_e32 v4, v29
	v_cmp_gt_u64_e32 vcc, s[78:79], v[3:4]
	v_and_b32_sdwa v49, v2, s96 dst_sel:DWORD dst_unused:UNUSED_PAD src0_sel:BYTE_3 src1_sel:DWORD
                                        ; implicit-def: $vgpr45
	s_and_saveexec_b64 s[28:29], vcc
	s_xor_b64 s[36:37], exec, s[28:29]
	s_cbranch_execz .LBB2_1377
; %bb.1368:                             ;   in Loop: Header=BB2_1042 Depth=3
	v_mov_b32_e32 v45, 0
	v_cmp_ne_u32_e32 vcc, 0, v2
	s_and_saveexec_b64 s[38:39], vcc
	s_cbranch_execz .LBB2_1376
; %bb.1369:                             ;   in Loop: Header=BB2_1042 Depth=3
	v_bfe_u32 v45, v2, 23, 8
	v_cmp_gt_u32_e64 s[28:29], s46, v45
	v_sub_u32_e32 v2, 0x71, v45
	v_cmp_eq_u32_e32 vcc, 0, v45
	v_cndmask_b32_e64 v2, 0, v2, s[28:29]
	v_mov_b32_e32 v4, 0x70
	v_cndmask_b32_e32 v46, v2, v4, vcc
	v_add_u32_e32 v4, 21, v46
	v_or_b32_e32 v3, 0x800000, v28
	v_lshlrev_b64 v[38:39], v4, -1
	v_cndmask_b32_e32 v2, v3, v28, vcc
	v_mov_b32_e32 v3, v29
	v_add_u32_e32 v4, 20, v46
	v_bfi_b32 v38, v38, 0, v2
	v_lshlrev_b64 v[56:57], v4, 1
	v_lshrrev_b64 v[2:3], v46, v[2:3]
	v_bfi_b32 v39, v39, 0, 0
	v_cmp_eq_u64_e64 s[28:29], v[38:39], v[56:57]
	v_mov_b32_e32 v4, v3
	v_mov_b32_e32 v3, v2
	s_and_saveexec_b64 s[48:49], s[28:29]
; %bb.1370:                             ;   in Loop: Header=BB2_1042 Depth=3
	v_bfe_u32 v3, v2, 21, 1
	v_add_co_u32_e64 v3, s[28:29], v2, v3
	v_add_co_u32_e64 v3, s[28:29], -1, v3
; %bb.1371:                             ;   in Loop: Header=BB2_1042 Depth=3
	s_or_b64 exec, exec, s[48:49]
	v_add_u32_e32 v4, 0xffffff81, v45
	v_cndmask_b32_e32 v4, v4, v1, vcc
	v_lshrrev_b32_e32 v28, 23, v2
	v_add3_u32 v46, v46, v4, v28
	v_add_u32_e32 v45, 14, v46
	v_and_b32_e32 v3, 0x1fffff, v3
	v_add_u32_e32 v28, v3, v2
	v_cmp_ne_u32_e32 vcc, 0, v45
                                        ; implicit-def: $vgpr2_vgpr3
                                        ; implicit-def: $vgpr4
	s_and_saveexec_b64 s[28:29], vcc
	s_xor_b64 s[28:29], exec, s[28:29]
; %bb.1372:                             ;   in Loop: Header=BB2_1042 Depth=3
	v_cmp_lt_u64_e32 vcc, s[88:89], v[28:29]
	v_add_u32_e32 v2, 15, v46
	v_cndmask_b32_e32 v4, v45, v2, vcc
	v_cndmask_b32_e64 v2, 0, 1, vcc
	v_lshrrev_b64 v[2:3], v2, v[28:29]
; %bb.1373:                             ;   in Loop: Header=BB2_1042 Depth=3
	s_andn2_saveexec_b64 s[28:29], s[28:29]
; %bb.1374:                             ;   in Loop: Header=BB2_1042 Depth=3
	v_mov_b32_e32 v2, v28
	v_mov_b32_e32 v3, v29
	v_bfe_u32 v4, v28, 23, 1
; %bb.1375:                             ;   in Loop: Header=BB2_1042 Depth=3
	s_or_b64 exec, exec, s[28:29]
	v_lshrrev_b64 v[2:3], 21, v[2:3]
	v_cmp_gt_i32_e32 vcc, 32, v4
	v_cndmask_b32_e32 v3, 0, v3, vcc
	v_cndmask_b32_e32 v2, 3, v2, vcc
	v_cmp_eq_u64_e64 s[28:29], 0, v[2:3]
	v_min_i32_e32 v3, 31, v4
	v_lshlrev_b32_e32 v3, 2, v3
	v_cmp_eq_u32_e32 vcc, 0, v4
	v_and_b32_e32 v3, 0xfc, v3
	v_and_or_b32 v2, v2, 3, v3
	s_and_b64 s[28:29], vcc, s[28:29]
	v_cndmask_b32_e64 v2, v2, 0, s[28:29]
	v_or_b32_e32 v45, v2, v49
.LBB2_1376:                             ;   in Loop: Header=BB2_1042 Depth=3
	s_or_b64 exec, exec, s[38:39]
                                        ; implicit-def: $vgpr49
.LBB2_1377:                             ;   in Loop: Header=BB2_1042 Depth=3
	s_andn2_saveexec_b64 s[28:29], s[36:37]
; %bb.1378:                             ;   in Loop: Header=BB2_1042 Depth=3
	v_or_b32_e32 v45, 0x7b, v49
; %bb.1379:                             ;   in Loop: Header=BB2_1042 Depth=3
	s_or_b64 exec, exec, s[28:29]
                                        ; implicit-def: $vgpr2
.LBB2_1380:                             ;   in Loop: Header=BB2_1042 Depth=3
	s_andn2_saveexec_b64 s[28:29], s[34:35]
	s_cbranch_execz .LBB2_1386
; %bb.1381:                             ;   in Loop: Header=BB2_1042 Depth=3
	v_cmp_ne_u64_e32 vcc, 0, v[28:29]
                                        ; implicit-def: $vgpr45
	s_and_saveexec_b64 s[34:35], vcc
	s_xor_b64 vcc, exec, s[34:35]
; %bb.1382:                             ;   in Loop: Header=BB2_1042 Depth=3
	v_or_b32_sdwa v45, v2, s47 dst_sel:DWORD dst_unused:UNUSED_PAD src0_sel:BYTE_3 src1_sel:DWORD
                                        ; implicit-def: $vgpr2
; %bb.1383:                             ;   in Loop: Header=BB2_1042 Depth=3
	s_andn2_saveexec_b64 s[34:35], vcc
; %bb.1384:                             ;   in Loop: Header=BB2_1042 Depth=3
	v_cmp_lt_i32_e32 vcc, -1, v2
	v_cndmask_b32_e32 v45, v6, v22, vcc
; %bb.1385:                             ;   in Loop: Header=BB2_1042 Depth=3
	s_or_b64 exec, exec, s[34:35]
.LBB2_1386:                             ;   in Loop: Header=BB2_1042 Depth=3
	s_or_b64 exec, exec, s[28:29]
	v_mov_b32_e32 v28, v11
	v_cmp_ne_u16_sdwa vcc, v11, v29 src0_sel:BYTE_0 src1_sel:DWORD
	v_mov_b32_e32 v2, 0
	s_and_saveexec_b64 s[28:29], vcc
	s_cbranch_execz .LBB2_1394
; %bb.1387:                             ;   in Loop: Header=BB2_1042 Depth=3
	v_cmp_ne_u16_sdwa vcc, v11, s96 src0_sel:BYTE_0 src1_sel:DWORD
	v_bfrev_b32_e32 v2, 1
	s_and_saveexec_b64 s[34:35], vcc
	s_cbranch_execz .LBB2_1393
; %bb.1388:                             ;   in Loop: Header=BB2_1042 Depth=3
	v_and_b32_e32 v2, 0x7c, v11
	v_and_b32_e32 v3, 3, v11
	v_cmp_ne_u32_e32 vcc, s85, v2
                                        ; implicit-def: $vgpr2
	s_and_saveexec_b64 s[36:37], vcc
	s_xor_b64 s[36:37], exec, s[36:37]
	s_cbranch_execz .LBB2_1390
; %bb.1389:                             ;   in Loop: Header=BB2_1042 Depth=3
	v_ffbh_u32_e32 v4, v3
	v_min_u32_e32 v4, 32, v4
	v_bfe_u32 v2, v11, 2, 5
	v_subrev_u32_e32 v38, 29, v4
	v_lshlrev_b64 v[38:39], v38, v[28:29]
	v_sub_u32_e32 v4, 30, v4
	v_cmp_eq_u32_e32 vcc, 0, v2
	v_cndmask_b32_e32 v2, v2, v4, vcc
	v_lshlrev_b32_e32 v4, 24, v11
	v_and_b32_e32 v38, 3, v38
	v_and_b32_e32 v4, 0x80000000, v4
	v_cndmask_b32_e32 v3, v3, v38, vcc
	v_lshl_add_u32 v2, v2, 23, v4
	v_lshl_or_b32 v2, v3, 21, v2
	v_add_u32_e32 v2, 0x38000000, v2
                                        ; implicit-def: $vgpr3
.LBB2_1390:                             ;   in Loop: Header=BB2_1042 Depth=3
	s_andn2_saveexec_b64 s[36:37], s[36:37]
; %bb.1391:                             ;   in Loop: Header=BB2_1042 Depth=3
	v_cmp_gt_i16_sdwa vcc, sext(v11), v48 src0_sel:BYTE_0 src1_sel:DWORD
	v_cndmask_b32_e32 v2, v7, v0, vcc
	v_cmp_eq_u32_e32 vcc, 0, v3
	v_cndmask_b32_e32 v2, v35, v2, vcc
; %bb.1392:                             ;   in Loop: Header=BB2_1042 Depth=3
	s_or_b64 exec, exec, s[36:37]
.LBB2_1393:                             ;   in Loop: Header=BB2_1042 Depth=3
	s_or_b64 exec, exec, s[34:35]
.LBB2_1394:                             ;   in Loop: Header=BB2_1042 Depth=3
	s_or_b64 exec, exec, s[28:29]
	v_mul_f32_e32 v4, v51, v2
	v_and_b32_e32 v38, 0x7f800000, v4
	v_mov_b32_e32 v39, v29
	v_cmp_ne_u64_e32 vcc, s[76:77], v[38:39]
	v_and_b32_e32 v2, 0x7fffff, v4
	v_mov_b32_e32 v3, v29
                                        ; implicit-def: $vgpr46
	s_and_saveexec_b64 s[28:29], vcc
	s_xor_b64 s[34:35], exec, s[28:29]
	s_cbranch_execz .LBB2_1408
; %bb.1395:                             ;   in Loop: Header=BB2_1042 Depth=3
	v_and_b32_e32 v38, 0x7fffffff, v4
	v_mov_b32_e32 v39, v29
	v_cmp_gt_u64_e32 vcc, s[78:79], v[38:39]
	v_and_b32_sdwa v49, v4, s96 dst_sel:DWORD dst_unused:UNUSED_PAD src0_sel:BYTE_3 src1_sel:DWORD
                                        ; implicit-def: $vgpr46
	s_and_saveexec_b64 s[28:29], vcc
	s_xor_b64 s[36:37], exec, s[28:29]
	s_cbranch_execz .LBB2_1405
; %bb.1396:                             ;   in Loop: Header=BB2_1042 Depth=3
	v_mov_b32_e32 v46, 0
	v_cmp_ne_u32_e32 vcc, 0, v4
	s_and_saveexec_b64 s[38:39], vcc
	s_cbranch_execz .LBB2_1404
; %bb.1397:                             ;   in Loop: Header=BB2_1042 Depth=3
	v_bfe_u32 v46, v4, 23, 8
	v_cmp_gt_u32_e64 s[28:29], s46, v46
	v_sub_u32_e32 v4, 0x71, v46
	v_cmp_eq_u32_e32 vcc, 0, v46
	v_cndmask_b32_e64 v4, 0, v4, s[28:29]
	v_mov_b32_e32 v39, 0x70
	v_cndmask_b32_e32 v47, v4, v39, vcc
	v_or_b32_e32 v38, 0x800000, v2
	v_add_u32_e32 v4, 21, v47
	v_cndmask_b32_e32 v2, v38, v2, vcc
	v_lshlrev_b64 v[38:39], v4, -1
	v_add_u32_e32 v4, 20, v47
	v_bfi_b32 v38, v38, 0, v2
	v_lshlrev_b64 v[56:57], v4, 1
	v_lshrrev_b64 v[2:3], v47, v[2:3]
	v_bfi_b32 v39, v39, 0, 0
	v_cmp_eq_u64_e64 s[28:29], v[38:39], v[56:57]
	v_mov_b32_e32 v4, v3
	v_mov_b32_e32 v3, v2
	s_and_saveexec_b64 s[48:49], s[28:29]
; %bb.1398:                             ;   in Loop: Header=BB2_1042 Depth=3
	v_bfe_u32 v3, v2, 21, 1
	v_add_co_u32_e64 v3, s[28:29], v2, v3
	v_add_co_u32_e64 v3, s[28:29], -1, v3
; %bb.1399:                             ;   in Loop: Header=BB2_1042 Depth=3
	s_or_b64 exec, exec, s[48:49]
	v_add_u32_e32 v4, 0xffffff81, v46
	v_cndmask_b32_e32 v4, v4, v1, vcc
	v_lshrrev_b32_e32 v38, 23, v2
	v_add3_u32 v47, v47, v4, v38
	v_add_u32_e32 v46, 14, v47
	v_and_b32_e32 v3, 0x1fffff, v3
	v_add_u32_e32 v2, v3, v2
	v_mov_b32_e32 v3, v29
	v_cmp_ne_u32_e32 vcc, 0, v46
                                        ; implicit-def: $vgpr4
	s_and_saveexec_b64 s[28:29], vcc
	s_xor_b64 s[28:29], exec, s[28:29]
; %bb.1400:                             ;   in Loop: Header=BB2_1042 Depth=3
	v_cmp_lt_u64_e32 vcc, s[88:89], v[2:3]
	v_add_u32_e32 v4, 15, v47
	v_cndmask_b32_e64 v38, 0, 1, vcc
	v_cndmask_b32_e32 v4, v46, v4, vcc
	v_lshrrev_b64 v[2:3], v38, v[2:3]
; %bb.1401:                             ;   in Loop: Header=BB2_1042 Depth=3
	s_andn2_saveexec_b64 s[28:29], s[28:29]
; %bb.1402:                             ;   in Loop: Header=BB2_1042 Depth=3
	v_bfe_u32 v4, v2, 23, 1
; %bb.1403:                             ;   in Loop: Header=BB2_1042 Depth=3
	s_or_b64 exec, exec, s[28:29]
	v_lshrrev_b64 v[2:3], 21, v[2:3]
	v_cmp_gt_i32_e32 vcc, 32, v4
	v_cndmask_b32_e32 v3, 0, v3, vcc
	v_cndmask_b32_e32 v2, 3, v2, vcc
	v_cmp_eq_u64_e64 s[28:29], 0, v[2:3]
	v_min_i32_e32 v3, 31, v4
	v_lshlrev_b32_e32 v3, 2, v3
	v_cmp_eq_u32_e32 vcc, 0, v4
	v_and_b32_e32 v3, 0xfc, v3
	v_and_or_b32 v2, v2, 3, v3
	s_and_b64 s[28:29], vcc, s[28:29]
	v_cndmask_b32_e64 v2, v2, 0, s[28:29]
	v_or_b32_e32 v46, v2, v49
.LBB2_1404:                             ;   in Loop: Header=BB2_1042 Depth=3
	s_or_b64 exec, exec, s[38:39]
                                        ; implicit-def: $vgpr49
.LBB2_1405:                             ;   in Loop: Header=BB2_1042 Depth=3
	s_andn2_saveexec_b64 s[28:29], s[36:37]
; %bb.1406:                             ;   in Loop: Header=BB2_1042 Depth=3
	v_or_b32_e32 v46, 0x7b, v49
; %bb.1407:                             ;   in Loop: Header=BB2_1042 Depth=3
	s_or_b64 exec, exec, s[28:29]
                                        ; implicit-def: $vgpr4
                                        ; implicit-def: $vgpr2_vgpr3
.LBB2_1408:                             ;   in Loop: Header=BB2_1042 Depth=3
	s_andn2_saveexec_b64 s[28:29], s[34:35]
	s_cbranch_execz .LBB2_1414
; %bb.1409:                             ;   in Loop: Header=BB2_1042 Depth=3
	v_cmp_ne_u64_e32 vcc, 0, v[2:3]
                                        ; implicit-def: $vgpr46
	s_and_saveexec_b64 s[34:35], vcc
	s_xor_b64 vcc, exec, s[34:35]
; %bb.1410:                             ;   in Loop: Header=BB2_1042 Depth=3
	v_or_b32_sdwa v46, v4, s47 dst_sel:DWORD dst_unused:UNUSED_PAD src0_sel:BYTE_3 src1_sel:DWORD
                                        ; implicit-def: $vgpr4
; %bb.1411:                             ;   in Loop: Header=BB2_1042 Depth=3
	s_andn2_saveexec_b64 s[34:35], vcc
; %bb.1412:                             ;   in Loop: Header=BB2_1042 Depth=3
	v_cmp_lt_i32_e32 vcc, -1, v4
	v_cndmask_b32_e32 v46, v6, v22, vcc
; %bb.1413:                             ;   in Loop: Header=BB2_1042 Depth=3
	s_or_b64 exec, exec, s[34:35]
.LBB2_1414:                             ;   in Loop: Header=BB2_1042 Depth=3
	s_or_b64 exec, exec, s[28:29]
	v_lshrrev_b16_e32 v2, 8, v28
	v_cmp_ne_u16_e32 vcc, 0, v2
	v_mov_b32_e32 v3, 0
	s_and_saveexec_b64 s[28:29], vcc
	s_cbranch_execz .LBB2_1422
; %bb.1415:                             ;   in Loop: Header=BB2_1042 Depth=3
	v_cmp_ne_u16_e32 vcc, s96, v2
	v_bfrev_b32_e32 v3, 1
	s_and_saveexec_b64 s[34:35], vcc
	s_cbranch_execz .LBB2_1421
; %bb.1416:                             ;   in Loop: Header=BB2_1042 Depth=3
	v_and_b32_e32 v3, 0x7c, v2
	v_and_b32_e32 v4, 3, v2
	v_cmp_ne_u32_e32 vcc, s85, v3
                                        ; implicit-def: $vgpr3
	s_and_saveexec_b64 s[36:37], vcc
	s_xor_b64 s[36:37], exec, s[36:37]
	s_cbranch_execz .LBB2_1418
; %bb.1417:                             ;   in Loop: Header=BB2_1042 Depth=3
	v_ffbh_u32_e32 v39, v4
	v_min_u32_e32 v39, 32, v39
	v_mov_b32_e32 v3, v29
	v_subrev_u32_e32 v49, 29, v39
	v_bfe_u32 v38, v2, 2, 5
	v_lshlrev_b64 v[2:3], v49, v[2:3]
	v_cmp_eq_u32_e32 vcc, 0, v38
	v_and_b32_e32 v2, 3, v2
	v_sub_u32_e32 v3, 30, v39
	v_cndmask_b32_e32 v2, v4, v2, vcc
	v_lshlrev_b32_e32 v4, 16, v28
	v_cndmask_b32_e32 v3, v38, v3, vcc
	v_and_b32_e32 v4, 0x80000000, v4
	v_lshl_add_u32 v3, v3, 23, v4
	v_lshl_or_b32 v2, v2, 21, v3
	v_add_u32_e32 v3, 0x38000000, v2
                                        ; implicit-def: $vgpr4
.LBB2_1418:                             ;   in Loop: Header=BB2_1042 Depth=3
	s_andn2_saveexec_b64 s[36:37], s[36:37]
; %bb.1419:                             ;   in Loop: Header=BB2_1042 Depth=3
	v_cmp_lt_i16_e32 vcc, -1, v28
	v_cndmask_b32_e32 v2, v7, v0, vcc
	v_cmp_eq_u32_e32 vcc, 0, v4
	v_cndmask_b32_e32 v3, v35, v2, vcc
; %bb.1420:                             ;   in Loop: Header=BB2_1042 Depth=3
	s_or_b64 exec, exec, s[36:37]
.LBB2_1421:                             ;   in Loop: Header=BB2_1042 Depth=3
	s_or_b64 exec, exec, s[34:35]
.LBB2_1422:                             ;   in Loop: Header=BB2_1042 Depth=3
	s_or_b64 exec, exec, s[28:29]
	v_mul_f32_e32 v2, v51, v3
	v_and_b32_e32 v3, 0x7f800000, v2
	v_mov_b32_e32 v4, v29
	v_cmp_ne_u64_e32 vcc, s[76:77], v[3:4]
	v_and_b32_e32 v28, 0x7fffff, v2
                                        ; implicit-def: $vgpr47
	s_and_saveexec_b64 s[28:29], vcc
	s_xor_b64 s[34:35], exec, s[28:29]
	s_cbranch_execz .LBB2_1436
; %bb.1423:                             ;   in Loop: Header=BB2_1042 Depth=3
	v_and_b32_e32 v3, 0x7fffffff, v2
	v_mov_b32_e32 v4, v29
	v_cmp_gt_u64_e32 vcc, s[78:79], v[3:4]
	v_and_b32_sdwa v49, v2, s96 dst_sel:DWORD dst_unused:UNUSED_PAD src0_sel:BYTE_3 src1_sel:DWORD
                                        ; implicit-def: $vgpr47
	s_and_saveexec_b64 s[28:29], vcc
	s_xor_b64 s[36:37], exec, s[28:29]
	s_cbranch_execz .LBB2_1433
; %bb.1424:                             ;   in Loop: Header=BB2_1042 Depth=3
	v_mov_b32_e32 v47, 0
	v_cmp_ne_u32_e32 vcc, 0, v2
	s_and_saveexec_b64 s[38:39], vcc
	s_cbranch_execz .LBB2_1432
; %bb.1425:                             ;   in Loop: Header=BB2_1042 Depth=3
	v_bfe_u32 v47, v2, 23, 8
	v_cmp_gt_u32_e64 s[28:29], s46, v47
	v_sub_u32_e32 v2, 0x71, v47
	v_cmp_eq_u32_e32 vcc, 0, v47
	v_cndmask_b32_e64 v2, 0, v2, s[28:29]
	v_mov_b32_e32 v4, 0x70
	v_cndmask_b32_e32 v56, v2, v4, vcc
	v_add_u32_e32 v4, 21, v56
	v_or_b32_e32 v3, 0x800000, v28
	v_lshlrev_b64 v[38:39], v4, -1
	v_cndmask_b32_e32 v2, v3, v28, vcc
	v_mov_b32_e32 v3, v29
	v_add_u32_e32 v4, 20, v56
	v_bfi_b32 v38, v38, 0, v2
	v_lshlrev_b64 v[57:58], v4, 1
	v_lshrrev_b64 v[2:3], v56, v[2:3]
	v_bfi_b32 v39, v39, 0, 0
	v_cmp_eq_u64_e64 s[28:29], v[38:39], v[57:58]
	v_mov_b32_e32 v4, v3
	v_mov_b32_e32 v3, v2
	s_and_saveexec_b64 s[48:49], s[28:29]
; %bb.1426:                             ;   in Loop: Header=BB2_1042 Depth=3
	v_bfe_u32 v3, v2, 21, 1
	v_add_co_u32_e64 v3, s[28:29], v2, v3
	v_add_co_u32_e64 v3, s[28:29], -1, v3
; %bb.1427:                             ;   in Loop: Header=BB2_1042 Depth=3
	s_or_b64 exec, exec, s[48:49]
	v_add_u32_e32 v4, 0xffffff81, v47
	v_cndmask_b32_e32 v4, v4, v1, vcc
	v_lshrrev_b32_e32 v28, 23, v2
	v_add3_u32 v56, v56, v4, v28
	v_add_u32_e32 v47, 14, v56
	v_and_b32_e32 v3, 0x1fffff, v3
	v_add_u32_e32 v28, v3, v2
	v_cmp_ne_u32_e32 vcc, 0, v47
                                        ; implicit-def: $vgpr2_vgpr3
                                        ; implicit-def: $vgpr4
	s_and_saveexec_b64 s[28:29], vcc
	s_xor_b64 s[28:29], exec, s[28:29]
; %bb.1428:                             ;   in Loop: Header=BB2_1042 Depth=3
	v_cmp_lt_u64_e32 vcc, s[88:89], v[28:29]
	v_add_u32_e32 v2, 15, v56
	v_cndmask_b32_e32 v4, v47, v2, vcc
	v_cndmask_b32_e64 v2, 0, 1, vcc
	v_lshrrev_b64 v[2:3], v2, v[28:29]
; %bb.1429:                             ;   in Loop: Header=BB2_1042 Depth=3
	s_andn2_saveexec_b64 s[28:29], s[28:29]
; %bb.1430:                             ;   in Loop: Header=BB2_1042 Depth=3
	v_mov_b32_e32 v2, v28
	v_mov_b32_e32 v3, v29
	v_bfe_u32 v4, v28, 23, 1
; %bb.1431:                             ;   in Loop: Header=BB2_1042 Depth=3
	s_or_b64 exec, exec, s[28:29]
	v_lshrrev_b64 v[2:3], 21, v[2:3]
	v_cmp_gt_i32_e32 vcc, 32, v4
	v_cndmask_b32_e32 v3, 0, v3, vcc
	v_cndmask_b32_e32 v2, 3, v2, vcc
	v_cmp_eq_u64_e64 s[28:29], 0, v[2:3]
	v_min_i32_e32 v3, 31, v4
	v_lshlrev_b32_e32 v3, 2, v3
	v_cmp_eq_u32_e32 vcc, 0, v4
	v_and_b32_e32 v3, 0xfc, v3
	v_and_or_b32 v2, v2, 3, v3
	s_and_b64 s[28:29], vcc, s[28:29]
	v_cndmask_b32_e64 v2, v2, 0, s[28:29]
	v_or_b32_e32 v47, v2, v49
.LBB2_1432:                             ;   in Loop: Header=BB2_1042 Depth=3
	s_or_b64 exec, exec, s[38:39]
                                        ; implicit-def: $vgpr49
.LBB2_1433:                             ;   in Loop: Header=BB2_1042 Depth=3
	s_andn2_saveexec_b64 s[28:29], s[36:37]
; %bb.1434:                             ;   in Loop: Header=BB2_1042 Depth=3
	v_or_b32_e32 v47, 0x7b, v49
; %bb.1435:                             ;   in Loop: Header=BB2_1042 Depth=3
	s_or_b64 exec, exec, s[28:29]
                                        ; implicit-def: $vgpr2
.LBB2_1436:                             ;   in Loop: Header=BB2_1042 Depth=3
	s_andn2_saveexec_b64 s[28:29], s[34:35]
	s_cbranch_execz .LBB2_1442
; %bb.1437:                             ;   in Loop: Header=BB2_1042 Depth=3
	v_cmp_ne_u64_e32 vcc, 0, v[28:29]
                                        ; implicit-def: $vgpr47
	s_and_saveexec_b64 s[34:35], vcc
	s_xor_b64 vcc, exec, s[34:35]
; %bb.1438:                             ;   in Loop: Header=BB2_1042 Depth=3
	v_or_b32_sdwa v47, v2, s47 dst_sel:DWORD dst_unused:UNUSED_PAD src0_sel:BYTE_3 src1_sel:DWORD
                                        ; implicit-def: $vgpr2
; %bb.1439:                             ;   in Loop: Header=BB2_1042 Depth=3
	s_andn2_saveexec_b64 s[34:35], vcc
; %bb.1440:                             ;   in Loop: Header=BB2_1042 Depth=3
	v_cmp_lt_i32_e32 vcc, -1, v2
	v_cndmask_b32_e32 v47, v6, v22, vcc
; %bb.1441:                             ;   in Loop: Header=BB2_1042 Depth=3
	s_or_b64 exec, exec, s[34:35]
.LBB2_1442:                             ;   in Loop: Header=BB2_1042 Depth=3
	s_or_b64 exec, exec, s[28:29]
	v_lshrrev_b32_e32 v2, 16, v11
	v_cmp_ne_u16_sdwa vcc, v2, v29 src0_sel:BYTE_0 src1_sel:DWORD
	v_mov_b32_e32 v3, 0
	s_and_saveexec_b64 s[28:29], vcc
	s_cbranch_execz .LBB2_1450
; %bb.1443:                             ;   in Loop: Header=BB2_1042 Depth=3
	v_cmp_ne_u16_sdwa vcc, v2, s96 src0_sel:BYTE_0 src1_sel:DWORD
	v_bfrev_b32_e32 v3, 1
	s_and_saveexec_b64 s[34:35], vcc
	s_cbranch_execz .LBB2_1449
; %bb.1444:                             ;   in Loop: Header=BB2_1042 Depth=3
	v_and_b32_e32 v3, 0x7c0000, v11
	v_bfe_u32 v4, v11, 16, 2
	v_cmp_ne_u32_e32 vcc, s44, v3
                                        ; implicit-def: $vgpr3
	s_and_saveexec_b64 s[36:37], vcc
	s_xor_b64 s[36:37], exec, s[36:37]
	s_cbranch_execz .LBB2_1446
; %bb.1445:                             ;   in Loop: Header=BB2_1042 Depth=3
	v_ffbh_u32_e32 v3, v4
	v_min_u32_e32 v38, 32, v3
	v_subrev_u32_e32 v3, 29, v38
	v_lshlrev_b64 v[2:3], v3, v[2:3]
	v_bfe_u32 v28, v11, 18, 5
	v_and_b32_e32 v2, 3, v2
	v_cmp_eq_u32_e32 vcc, 0, v28
	v_sub_u32_e32 v3, 30, v38
	v_cndmask_b32_e32 v2, v4, v2, vcc
	v_lshlrev_b32_e32 v4, 8, v11
	v_cndmask_b32_e32 v3, v28, v3, vcc
	v_and_b32_e32 v4, 0x80000000, v4
	v_lshl_add_u32 v3, v3, 23, v4
	v_lshl_or_b32 v2, v2, 21, v3
	v_add_u32_e32 v3, 0x38000000, v2
                                        ; implicit-def: $vgpr4
                                        ; implicit-def: $vgpr2
.LBB2_1446:                             ;   in Loop: Header=BB2_1042 Depth=3
	s_andn2_saveexec_b64 s[36:37], s[36:37]
; %bb.1447:                             ;   in Loop: Header=BB2_1042 Depth=3
	v_cmp_gt_i16_sdwa vcc, sext(v2), v48 src0_sel:BYTE_0 src1_sel:DWORD
	v_cndmask_b32_e32 v2, v7, v0, vcc
	v_cmp_eq_u32_e32 vcc, 0, v4
	v_cndmask_b32_e32 v3, v35, v2, vcc
; %bb.1448:                             ;   in Loop: Header=BB2_1042 Depth=3
	s_or_b64 exec, exec, s[36:37]
.LBB2_1449:                             ;   in Loop: Header=BB2_1042 Depth=3
	s_or_b64 exec, exec, s[34:35]
.LBB2_1450:                             ;   in Loop: Header=BB2_1042 Depth=3
	s_or_b64 exec, exec, s[28:29]
	v_mul_f32_e32 v2, v51, v3
	v_and_b32_e32 v3, 0x7f800000, v2
	v_mov_b32_e32 v4, v29
	v_cmp_ne_u64_e32 vcc, s[76:77], v[3:4]
	v_and_b32_e32 v28, 0x7fffff, v2
                                        ; implicit-def: $vgpr49
	s_and_saveexec_b64 s[28:29], vcc
	s_xor_b64 s[34:35], exec, s[28:29]
	s_cbranch_execz .LBB2_1464
; %bb.1451:                             ;   in Loop: Header=BB2_1042 Depth=3
	v_and_b32_e32 v3, 0x7fffffff, v2
	v_mov_b32_e32 v4, v29
	v_cmp_gt_u64_e32 vcc, s[78:79], v[3:4]
	v_and_b32_sdwa v56, v2, s96 dst_sel:DWORD dst_unused:UNUSED_PAD src0_sel:BYTE_3 src1_sel:DWORD
                                        ; implicit-def: $vgpr49
	s_and_saveexec_b64 s[28:29], vcc
	s_xor_b64 s[36:37], exec, s[28:29]
	s_cbranch_execz .LBB2_1461
; %bb.1452:                             ;   in Loop: Header=BB2_1042 Depth=3
	v_mov_b32_e32 v49, 0
	v_cmp_ne_u32_e32 vcc, 0, v2
	s_and_saveexec_b64 s[38:39], vcc
	s_cbranch_execz .LBB2_1460
; %bb.1453:                             ;   in Loop: Header=BB2_1042 Depth=3
	v_bfe_u32 v49, v2, 23, 8
	v_cmp_gt_u32_e64 s[28:29], s46, v49
	v_sub_u32_e32 v2, 0x71, v49
	v_cmp_eq_u32_e32 vcc, 0, v49
	v_cndmask_b32_e64 v2, 0, v2, s[28:29]
	v_mov_b32_e32 v4, 0x70
	v_cndmask_b32_e32 v57, v2, v4, vcc
	v_add_u32_e32 v4, 21, v57
	v_or_b32_e32 v3, 0x800000, v28
	v_lshlrev_b64 v[38:39], v4, -1
	v_cndmask_b32_e32 v2, v3, v28, vcc
	v_mov_b32_e32 v3, v29
	v_add_u32_e32 v4, 20, v57
	v_bfi_b32 v38, v38, 0, v2
	v_lshlrev_b64 v[58:59], v4, 1
	v_lshrrev_b64 v[2:3], v57, v[2:3]
	v_bfi_b32 v39, v39, 0, 0
	v_cmp_eq_u64_e64 s[28:29], v[38:39], v[58:59]
	v_mov_b32_e32 v4, v3
	v_mov_b32_e32 v3, v2
	s_and_saveexec_b64 s[48:49], s[28:29]
; %bb.1454:                             ;   in Loop: Header=BB2_1042 Depth=3
	v_bfe_u32 v3, v2, 21, 1
	v_add_co_u32_e64 v3, s[28:29], v2, v3
	v_add_co_u32_e64 v3, s[28:29], -1, v3
; %bb.1455:                             ;   in Loop: Header=BB2_1042 Depth=3
	s_or_b64 exec, exec, s[48:49]
	v_add_u32_e32 v4, 0xffffff81, v49
	v_cndmask_b32_e32 v4, v4, v1, vcc
	v_lshrrev_b32_e32 v28, 23, v2
	v_add3_u32 v57, v57, v4, v28
	v_add_u32_e32 v49, 14, v57
	v_and_b32_e32 v3, 0x1fffff, v3
	v_add_u32_e32 v28, v3, v2
	v_cmp_ne_u32_e32 vcc, 0, v49
                                        ; implicit-def: $vgpr2_vgpr3
                                        ; implicit-def: $vgpr4
	s_and_saveexec_b64 s[28:29], vcc
	s_xor_b64 s[28:29], exec, s[28:29]
; %bb.1456:                             ;   in Loop: Header=BB2_1042 Depth=3
	v_cmp_lt_u64_e32 vcc, s[88:89], v[28:29]
	v_add_u32_e32 v2, 15, v57
	v_cndmask_b32_e32 v4, v49, v2, vcc
	v_cndmask_b32_e64 v2, 0, 1, vcc
	v_lshrrev_b64 v[2:3], v2, v[28:29]
; %bb.1457:                             ;   in Loop: Header=BB2_1042 Depth=3
	s_andn2_saveexec_b64 s[28:29], s[28:29]
; %bb.1458:                             ;   in Loop: Header=BB2_1042 Depth=3
	v_mov_b32_e32 v2, v28
	v_mov_b32_e32 v3, v29
	v_bfe_u32 v4, v28, 23, 1
; %bb.1459:                             ;   in Loop: Header=BB2_1042 Depth=3
	s_or_b64 exec, exec, s[28:29]
	v_lshrrev_b64 v[2:3], 21, v[2:3]
	v_cmp_gt_i32_e32 vcc, 32, v4
	v_cndmask_b32_e32 v3, 0, v3, vcc
	v_cndmask_b32_e32 v2, 3, v2, vcc
	v_cmp_eq_u64_e64 s[28:29], 0, v[2:3]
	v_min_i32_e32 v3, 31, v4
	v_lshlrev_b32_e32 v3, 2, v3
	v_cmp_eq_u32_e32 vcc, 0, v4
	v_and_b32_e32 v3, 0xfc, v3
	v_and_or_b32 v2, v2, 3, v3
	s_and_b64 s[28:29], vcc, s[28:29]
	v_cndmask_b32_e64 v2, v2, 0, s[28:29]
	v_or_b32_e32 v49, v2, v56
.LBB2_1460:                             ;   in Loop: Header=BB2_1042 Depth=3
	s_or_b64 exec, exec, s[38:39]
                                        ; implicit-def: $vgpr56
.LBB2_1461:                             ;   in Loop: Header=BB2_1042 Depth=3
	s_andn2_saveexec_b64 s[28:29], s[36:37]
; %bb.1462:                             ;   in Loop: Header=BB2_1042 Depth=3
	v_or_b32_e32 v49, 0x7b, v56
; %bb.1463:                             ;   in Loop: Header=BB2_1042 Depth=3
	s_or_b64 exec, exec, s[28:29]
                                        ; implicit-def: $vgpr2
.LBB2_1464:                             ;   in Loop: Header=BB2_1042 Depth=3
	s_andn2_saveexec_b64 s[28:29], s[34:35]
	s_cbranch_execz .LBB2_1470
; %bb.1465:                             ;   in Loop: Header=BB2_1042 Depth=3
	v_cmp_ne_u64_e32 vcc, 0, v[28:29]
                                        ; implicit-def: $vgpr49
	s_and_saveexec_b64 s[34:35], vcc
	s_xor_b64 vcc, exec, s[34:35]
; %bb.1466:                             ;   in Loop: Header=BB2_1042 Depth=3
	v_or_b32_sdwa v49, v2, s47 dst_sel:DWORD dst_unused:UNUSED_PAD src0_sel:BYTE_3 src1_sel:DWORD
                                        ; implicit-def: $vgpr2
; %bb.1467:                             ;   in Loop: Header=BB2_1042 Depth=3
	s_andn2_saveexec_b64 s[34:35], vcc
; %bb.1468:                             ;   in Loop: Header=BB2_1042 Depth=3
	v_cmp_lt_i32_e32 vcc, -1, v2
	v_cndmask_b32_e32 v49, v6, v22, vcc
; %bb.1469:                             ;   in Loop: Header=BB2_1042 Depth=3
	s_or_b64 exec, exec, s[34:35]
.LBB2_1470:                             ;   in Loop: Header=BB2_1042 Depth=3
	s_or_b64 exec, exec, s[28:29]
	v_cmp_lt_u64_e32 vcc, s[56:57], v[10:11]
	v_mov_b32_e32 v3, 0
	s_and_saveexec_b64 s[28:29], vcc
	s_cbranch_execz .LBB2_1478
; %bb.1471:                             ;   in Loop: Header=BB2_1042 Depth=3
	v_lshrrev_b32_e32 v2, 24, v11
	v_cmp_ne_u32_e32 vcc, s96, v2
	v_bfrev_b32_e32 v3, 1
	s_and_saveexec_b64 s[34:35], vcc
	s_cbranch_execz .LBB2_1477
; %bb.1472:                             ;   in Loop: Header=BB2_1042 Depth=3
	v_and_b32_e32 v3, 0x7c000000, v11
	v_bfe_u32 v4, v11, 24, 2
	v_cmp_ne_u32_e32 vcc, s45, v3
                                        ; implicit-def: $vgpr3
	s_and_saveexec_b64 s[36:37], vcc
	s_xor_b64 s[36:37], exec, s[36:37]
	s_cbranch_execz .LBB2_1474
; %bb.1473:                             ;   in Loop: Header=BB2_1042 Depth=3
	v_ffbh_u32_e32 v3, v4
	v_min_u32_e32 v28, 32, v3
	v_subrev_u32_e32 v3, 29, v28
	v_lshlrev_b64 v[2:3], v3, v[2:3]
	v_bfe_u32 v10, v11, 26, 5
	v_sub_u32_e32 v3, 30, v28
	v_and_b32_e32 v2, 3, v2
	v_cmp_eq_u32_e32 vcc, 0, v10
	v_cndmask_b32_e32 v3, v10, v3, vcc
	v_cndmask_b32_e32 v2, v4, v2, vcc
	v_and_b32_e32 v4, 0x80000000, v11
	v_lshl_add_u32 v3, v3, 23, v4
	v_lshl_or_b32 v2, v2, 21, v3
	v_add_u32_e32 v3, 0x38000000, v2
                                        ; implicit-def: $vgpr4
                                        ; implicit-def: $vgpr10_vgpr11
.LBB2_1474:                             ;   in Loop: Header=BB2_1042 Depth=3
	s_andn2_saveexec_b64 s[36:37], s[36:37]
; %bb.1475:                             ;   in Loop: Header=BB2_1042 Depth=3
	v_cmp_lt_i64_e32 vcc, -1, v[10:11]
	v_cndmask_b32_e32 v2, v7, v0, vcc
	v_cmp_eq_u32_e32 vcc, 0, v4
	v_cndmask_b32_e32 v3, v35, v2, vcc
; %bb.1476:                             ;   in Loop: Header=BB2_1042 Depth=3
	s_or_b64 exec, exec, s[36:37]
.LBB2_1477:                             ;   in Loop: Header=BB2_1042 Depth=3
	s_or_b64 exec, exec, s[34:35]
.LBB2_1478:                             ;   in Loop: Header=BB2_1042 Depth=3
	s_or_b64 exec, exec, s[28:29]
	v_mul_f32_e32 v3, v51, v3
	v_and_b32_e32 v10, 0x7f800000, v3
	v_mov_b32_e32 v11, v29
	v_cmp_ne_u64_e32 vcc, s[76:77], v[10:11]
	v_and_b32_e32 v28, 0x7fffff, v3
                                        ; implicit-def: $vgpr2
	s_and_saveexec_b64 s[28:29], vcc
	s_xor_b64 s[34:35], exec, s[28:29]
	s_cbranch_execz .LBB2_1492
; %bb.1479:                             ;   in Loop: Header=BB2_1042 Depth=3
	v_and_b32_e32 v10, 0x7fffffff, v3
	v_mov_b32_e32 v11, v29
	v_cmp_gt_u64_e32 vcc, s[78:79], v[10:11]
	v_and_b32_sdwa v10, v3, s96 dst_sel:DWORD dst_unused:UNUSED_PAD src0_sel:BYTE_3 src1_sel:DWORD
                                        ; implicit-def: $vgpr2
	s_and_saveexec_b64 s[28:29], vcc
	s_xor_b64 s[36:37], exec, s[28:29]
	s_cbranch_execz .LBB2_1489
; %bb.1480:                             ;   in Loop: Header=BB2_1042 Depth=3
	v_mov_b32_e32 v2, 0
	v_cmp_ne_u32_e32 vcc, 0, v3
	s_and_saveexec_b64 s[38:39], vcc
	s_cbranch_execz .LBB2_1488
; %bb.1481:                             ;   in Loop: Header=BB2_1042 Depth=3
	v_bfe_u32 v11, v3, 23, 8
	v_cmp_gt_u32_e64 s[28:29], s46, v11
	v_sub_u32_e32 v2, 0x71, v11
	v_cmp_eq_u32_e32 vcc, 0, v11
	v_cndmask_b32_e64 v2, 0, v2, s[28:29]
	v_mov_b32_e32 v4, 0x70
	v_cndmask_b32_e32 v51, v2, v4, vcc
	v_add_u32_e32 v4, 21, v51
	v_or_b32_e32 v3, 0x800000, v28
	v_lshlrev_b64 v[38:39], v4, -1
	v_cndmask_b32_e32 v2, v3, v28, vcc
	v_mov_b32_e32 v3, v29
	v_add_u32_e32 v4, 20, v51
	v_bfi_b32 v38, v38, 0, v2
	v_lshlrev_b64 v[56:57], v4, 1
	v_lshrrev_b64 v[2:3], v51, v[2:3]
	v_bfi_b32 v39, v39, 0, 0
	v_cmp_eq_u64_e64 s[28:29], v[38:39], v[56:57]
	v_mov_b32_e32 v4, v3
	v_mov_b32_e32 v3, v2
	s_and_saveexec_b64 s[48:49], s[28:29]
; %bb.1482:                             ;   in Loop: Header=BB2_1042 Depth=3
	v_bfe_u32 v3, v2, 21, 1
	v_add_co_u32_e64 v3, s[28:29], v2, v3
	v_add_co_u32_e64 v3, s[28:29], -1, v3
; %bb.1483:                             ;   in Loop: Header=BB2_1042 Depth=3
	s_or_b64 exec, exec, s[48:49]
	v_add_u32_e32 v4, 0xffffff81, v11
	v_cndmask_b32_e32 v4, v4, v1, vcc
	v_lshrrev_b32_e32 v11, 23, v2
	v_add3_u32 v51, v51, v4, v11
	v_add_u32_e32 v11, 14, v51
	v_and_b32_e32 v3, 0x1fffff, v3
	v_add_u32_e32 v28, v3, v2
	v_cmp_ne_u32_e32 vcc, 0, v11
                                        ; implicit-def: $vgpr2_vgpr3
                                        ; implicit-def: $vgpr4
	s_and_saveexec_b64 s[28:29], vcc
	s_xor_b64 s[28:29], exec, s[28:29]
; %bb.1484:                             ;   in Loop: Header=BB2_1042 Depth=3
	v_cmp_lt_u64_e32 vcc, s[88:89], v[28:29]
	v_add_u32_e32 v2, 15, v51
	v_cndmask_b32_e32 v4, v11, v2, vcc
	v_cndmask_b32_e64 v2, 0, 1, vcc
	v_lshrrev_b64 v[2:3], v2, v[28:29]
; %bb.1485:                             ;   in Loop: Header=BB2_1042 Depth=3
	s_andn2_saveexec_b64 s[28:29], s[28:29]
; %bb.1486:                             ;   in Loop: Header=BB2_1042 Depth=3
	v_mov_b32_e32 v2, v28
	v_mov_b32_e32 v3, v29
	v_bfe_u32 v4, v28, 23, 1
; %bb.1487:                             ;   in Loop: Header=BB2_1042 Depth=3
	s_or_b64 exec, exec, s[28:29]
	v_lshrrev_b64 v[2:3], 21, v[2:3]
	v_cmp_gt_i32_e32 vcc, 32, v4
	v_cndmask_b32_e32 v3, 0, v3, vcc
	v_cndmask_b32_e32 v2, 3, v2, vcc
	v_cmp_eq_u64_e64 s[28:29], 0, v[2:3]
	v_min_i32_e32 v3, 31, v4
	v_lshlrev_b32_e32 v3, 2, v3
	v_cmp_eq_u32_e32 vcc, 0, v4
	v_and_b32_e32 v3, 0xfc, v3
	v_and_or_b32 v2, v2, 3, v3
	s_and_b64 s[28:29], vcc, s[28:29]
	v_cndmask_b32_e64 v2, v2, 0, s[28:29]
	v_or_b32_e32 v2, v2, v10
.LBB2_1488:                             ;   in Loop: Header=BB2_1042 Depth=3
	s_or_b64 exec, exec, s[38:39]
                                        ; implicit-def: $vgpr10
.LBB2_1489:                             ;   in Loop: Header=BB2_1042 Depth=3
	s_andn2_saveexec_b64 s[28:29], s[36:37]
; %bb.1490:                             ;   in Loop: Header=BB2_1042 Depth=3
	v_or_b32_e32 v2, 0x7b, v10
; %bb.1491:                             ;   in Loop: Header=BB2_1042 Depth=3
	s_or_b64 exec, exec, s[28:29]
                                        ; implicit-def: $vgpr3
.LBB2_1492:                             ;   in Loop: Header=BB2_1042 Depth=3
	s_andn2_saveexec_b64 s[28:29], s[34:35]
	s_cbranch_execz .LBB2_1041
; %bb.1493:                             ;   in Loop: Header=BB2_1042 Depth=3
	v_cmp_ne_u64_e32 vcc, 0, v[28:29]
                                        ; implicit-def: $vgpr2
	s_and_saveexec_b64 s[34:35], vcc
	s_xor_b64 vcc, exec, s[34:35]
; %bb.1494:                             ;   in Loop: Header=BB2_1042 Depth=3
	v_or_b32_sdwa v2, v3, s47 dst_sel:DWORD dst_unused:UNUSED_PAD src0_sel:BYTE_3 src1_sel:DWORD
                                        ; implicit-def: $vgpr3
; %bb.1495:                             ;   in Loop: Header=BB2_1042 Depth=3
	s_andn2_saveexec_b64 s[34:35], vcc
	s_cbranch_execz .LBB2_1040
; %bb.1496:                             ;   in Loop: Header=BB2_1042 Depth=3
	v_cmp_lt_i32_e32 vcc, -1, v3
	v_cndmask_b32_e32 v2, v6, v22, vcc
	s_branch .LBB2_1040
.LBB2_1497:                             ;   in Loop: Header=BB2_57 Depth=2
	s_or_b64 exec, exec, s[40:41]
.LBB2_1498:                             ;   in Loop: Header=BB2_57 Depth=2
	s_or_b64 exec, exec, s[30:31]
	buffer_load_dword v2, off, s[0:3], s33 offset:248 ; 4-byte Folded Reload
	v_cmp_lt_i32_e32 vcc, 0, v23
	s_waitcnt vmcnt(0)
	v_and_b32_e32 v2, 15, v2
	v_sub_u32_e32 v3, v19, v2
	v_cndmask_b32_e64 v11, v19, v2, s[26:27]
	v_cndmask_b32_e32 v2, 0, v36, vcc
	v_cndmask_b32_e64 v3, 0, v3, s[26:27]
	v_sub_u32_e32 v2, v2, v23
	v_cmp_ne_u32_e32 vcc, 0, v11
	v_add3_u32 v10, v18, v17, v3
	v_lshl_add_u32 v14, v2, 6, v5
	s_and_b64 s[26:27], vcc, exec
.LBB2_1499:                             ;   in Loop: Header=BB2_57 Depth=2
	s_or_b64 exec, exec, s[94:95]
	s_and_saveexec_b64 s[28:29], s[26:27]
	s_cbranch_execz .LBB2_1808
.LBB2_1500:                             ;   in Loop: Header=BB2_57 Depth=2
	s_waitcnt vmcnt(1)
	v_ashrrev_i32_e32 v2, 31, v14
	v_ashrrev_i32_e32 v3, 31, v11
	v_lshrrev_b32_e32 v2, 26, v2
	v_lshrrev_b32_e32 v3, 23, v3
	v_add_u32_e32 v2, v14, v2
	v_add_u32_e32 v3, v11, v3
	v_ashrrev_i32_e32 v5, 6, v2
	v_ashrrev_i32_e32 v17, 9, v3
	v_sub_u32_e32 v16, v17, v5
	v_cmp_lt_i32_e32 vcc, 0, v16
	s_and_saveexec_b64 s[40:41], vcc
	s_cbranch_execz .LBB2_1766
; %bb.1501:                             ;   in Loop: Header=BB2_57 Depth=2
	v_and_b32_e32 v2, 0xffffffc0, v2
	v_sub_u32_e32 v2, v14, v2
	v_lshlrev_b32_e32 v3, 9, v5
	v_add3_u32 v18, v10, v2, v3
	v_ashrrev_i32_e32 v19, 31, v18
	s_mov_b64 s[94:95], 0
	s_branch .LBB2_1504
.LBB2_1502:                             ;   in Loop: Header=BB2_1504 Depth=3
	s_or_b64 exec, exec, s[30:31]
.LBB2_1503:                             ;   in Loop: Header=BB2_1504 Depth=3
	s_or_b64 exec, exec, s[26:27]
	v_add_co_u32_e32 v8, vcc, v18, v40
	v_addc_co_u32_e32 v9, vcc, v19, v41, vcc
	flat_store_byte v[8:9], v23 glc slc
	flat_store_byte v[8:9], v31 offset:64 glc slc
	flat_store_byte v[8:9], v32 offset:128 glc slc
	;; [unrolled: 1-line block ×7, first 2 shown]
	buffer_load_dword v2, off, s[0:3], s33 offset:60 ; 4-byte Folded Reload
	v_sub_u32_e32 v16, v16, v36
	s_waitcnt vmcnt(0)
	v_add_co_u32_e32 v54, vcc, v54, v2
	v_addc_co_u32_e32 v55, vcc, 0, v55, vcc
	v_cmp_gt_i32_e32 vcc, 1, v16
	s_or_b64 s[94:95], vcc, s[94:95]
	v_add_co_u32_e32 v40, vcc, v40, v2
	v_addc_co_u32_e32 v41, vcc, 0, v41, vcc
	s_andn2_b64 exec, exec, s[94:95]
	s_cbranch_execz .LBB2_1765
.LBB2_1504:                             ;   Parent Loop BB2_47 Depth=1
                                        ;     Parent Loop BB2_57 Depth=2
                                        ; =>    This Inner Loop Header: Depth=3
	s_trap 2
	ds_read_b64 v[2:3], v0
	v_mov_b32_e32 v30, 0
	s_waitcnt lgkmcnt(0)
	v_cmp_eq_u32_sdwa vcc, v2, v29 src0_sel:BYTE_0 src1_sel:DWORD
	v_readfirstlane_b32 s26, v2
	v_readfirstlane_b32 s27, v3
	v_mov_b32_e32 v3, 0
	s_and_b64 vcc, exec, vcc
	s_cbranch_vccnz .LBB2_1510
; %bb.1505:                             ;   in Loop: Header=BB2_1504 Depth=3
	s_bfe_i32 s30, s26, 0x80000
	s_and_b32 vcc_lo, 0xffff, s30
	s_cmpk_eq_u32 vcc_lo, 0xff80
	v_bfrev_b32_e32 v30, 1
	s_cbranch_scc1 .LBB2_1510
; %bb.1506:                             ;   in Loop: Header=BB2_1504 Depth=3
	s_and_b32 s31, s26, 3
	s_and_b32 vcc_lo, s26, 0x7c
	s_cmpk_lg_i32 vcc_lo, 0x7c
	s_mov_b64 vcc, -1
                                        ; implicit-def: $sgpr34
	s_cbranch_scc0 .LBB2_1508
; %bb.1507:                             ;   in Loop: Header=BB2_1504 Depth=3
	s_flbit_i32_b32 vcc_hi, s31
	s_min_u32 vcc_hi, vcc_hi, 32
	s_sub_i32 s34, vcc_hi, 29
	s_bfe_u32 vcc_lo, s26, 0x50002
	s_lshl_b64 s[26:27], s[26:27], s34
	s_sub_i32 s27, 30, vcc_hi
	s_and_b32 s26, s26, 3
	s_cmp_eq_u32 vcc_lo, 0
	s_cselect_b32 s27, s27, vcc_lo
	s_sext_i32_i16 vcc_lo, s30
	s_cselect_b32 s26, s26, s31
	s_and_b32 vcc_lo, vcc_lo, 0x80000000
	s_lshl_b32 s27, s27, 23
	s_add_i32 s27, s27, vcc_lo
	s_lshl_b32 s26, s26, 21
	s_or_b32 s26, s27, s26
	s_add_i32 s34, s26, 0x38000000
	s_mov_b64 vcc, 0
.LBB2_1508:                             ;   in Loop: Header=BB2_1504 Depth=3
	s_andn2_b64 vcc, exec, vcc
	v_mov_b32_e32 v30, s34
	s_cbranch_vccnz .LBB2_1510
; %bb.1509:                             ;   in Loop: Header=BB2_1504 Depth=3
	s_cmp_eq_u32 s31, 0
	s_sext_i32_i16 s26, s30
	s_cselect_b64 vcc, -1, 0
	s_cmp_gt_i32 s26, -1
	s_cselect_b64 s[26:27], -1, 0
	v_cndmask_b32_e64 v2, v7, v0, s[26:27]
	v_cndmask_b32_e32 v30, v35, v2, vcc
.LBB2_1510:                             ;   in Loop: Header=BB2_1504 Depth=3
	v_add_co_u32_e32 v8, vcc, v18, v54
	v_addc_co_u32_e32 v9, vcc, v19, v55, vcc
	flat_load_sbyte v2, v[8:9] glc slc
	s_waitcnt vmcnt(0) lgkmcnt(0)
	v_cmp_ne_u16_e32 vcc, 0, v2
	s_and_saveexec_b64 s[26:27], vcc
	s_cbranch_execz .LBB2_1518
; %bb.1511:                             ;   in Loop: Header=BB2_1504 Depth=3
	v_cmp_ne_u16_e32 vcc, s97, v2
	v_bfrev_b32_e32 v3, 1
	s_and_saveexec_b64 s[30:31], vcc
	s_cbranch_execz .LBB2_1517
; %bb.1512:                             ;   in Loop: Header=BB2_1504 Depth=3
	v_and_b32_e32 v3, 0x7c, v2
	v_and_b32_e32 v4, 3, v2
	v_cmp_ne_u32_e32 vcc, s85, v3
                                        ; implicit-def: $vgpr3
	s_and_saveexec_b64 s[34:35], vcc
	s_xor_b64 s[34:35], exec, s[34:35]
	s_cbranch_execz .LBB2_1514
; %bb.1513:                             ;   in Loop: Header=BB2_1504 Depth=3
	v_ffbh_u32_e32 v28, v4
	v_min_u32_e32 v28, 32, v28
	v_and_b32_e32 v23, 0xff, v2
	v_mov_b32_e32 v3, v29
	v_subrev_u32_e32 v31, 29, v28
	v_bfe_u32 v23, v23, 2, 5
	v_lshlrev_b64 v[31:32], v31, v[2:3]
	v_sub_u32_e32 v3, 30, v28
	v_cmp_eq_u32_e32 vcc, 0, v23
	v_and_b32_e32 v28, 3, v31
	v_cndmask_b32_e32 v3, v23, v3, vcc
	v_and_b32_sdwa v2, sext(v2), s86 dst_sel:DWORD dst_unused:UNUSED_PAD src0_sel:WORD_0 src1_sel:DWORD
	v_cndmask_b32_e32 v4, v4, v28, vcc
	v_lshl_add_u32 v2, v3, 23, v2
	v_lshl_or_b32 v2, v4, 21, v2
	v_add_u32_e32 v3, 0x38000000, v2
                                        ; implicit-def: $vgpr4
                                        ; implicit-def: $vgpr2
.LBB2_1514:                             ;   in Loop: Header=BB2_1504 Depth=3
	s_andn2_saveexec_b64 s[34:35], s[34:35]
; %bb.1515:                             ;   in Loop: Header=BB2_1504 Depth=3
	v_cmp_lt_i16_e32 vcc, -1, v2
	v_cndmask_b32_e32 v2, v7, v0, vcc
	v_cmp_eq_u32_e32 vcc, 0, v4
	v_cndmask_b32_e32 v3, v35, v2, vcc
; %bb.1516:                             ;   in Loop: Header=BB2_1504 Depth=3
	s_or_b64 exec, exec, s[34:35]
.LBB2_1517:                             ;   in Loop: Header=BB2_1504 Depth=3
	s_or_b64 exec, exec, s[30:31]
.LBB2_1518:                             ;   in Loop: Header=BB2_1504 Depth=3
	s_or_b64 exec, exec, s[26:27]
	v_mul_f32_e32 v2, v30, v3
	v_and_b32_e32 v3, 0x7f800000, v2
	v_mov_b32_e32 v4, v29
	v_cmp_ne_u64_e32 vcc, s[76:77], v[3:4]
	v_and_b32_e32 v28, 0x7fffff, v2
                                        ; implicit-def: $vgpr23
	s_and_saveexec_b64 s[26:27], vcc
	s_xor_b64 s[30:31], exec, s[26:27]
	s_cbranch_execz .LBB2_1536
; %bb.1519:                             ;   in Loop: Header=BB2_1504 Depth=3
	v_and_b32_e32 v3, 0x7fffffff, v2
	v_mov_b32_e32 v4, v29
	v_cmp_gt_u64_e32 vcc, s[78:79], v[3:4]
	v_and_b32_sdwa v31, v2, s96 dst_sel:DWORD dst_unused:UNUSED_PAD src0_sel:BYTE_3 src1_sel:DWORD
                                        ; implicit-def: $vgpr23
	s_and_saveexec_b64 s[26:27], vcc
	s_xor_b64 s[34:35], exec, s[26:27]
	s_cbranch_execz .LBB2_1533
; %bb.1520:                             ;   in Loop: Header=BB2_1504 Depth=3
	v_cmp_ne_u32_e32 vcc, 0, v2
	v_mov_b32_e32 v23, 0
	s_and_saveexec_b64 s[36:37], vcc
	s_cbranch_execz .LBB2_1532
; %bb.1521:                             ;   in Loop: Header=BB2_1504 Depth=3
	v_bfe_u32 v23, v2, 23, 8
	v_cmp_gt_u32_e64 s[26:27], s46, v23
	v_sub_u32_e32 v2, 0x71, v23
	v_cmp_eq_u32_e32 vcc, 0, v23
	v_cndmask_b32_e64 v2, 0, v2, s[26:27]
	v_mov_b32_e32 v4, 0x70
	v_cndmask_b32_e32 v32, v2, v4, vcc
	v_add_u32_e32 v4, 21, v32
	v_or_b32_e32 v3, 0x800000, v28
	v_lshlrev_b64 v[37:38], v4, -1
	v_cndmask_b32_e32 v2, v3, v28, vcc
	v_mov_b32_e32 v3, v29
	v_add_u32_e32 v4, 20, v32
	v_bfi_b32 v37, v37, 0, v2
	v_lshlrev_b64 v[49:50], v4, 1
	v_lshrrev_b64 v[2:3], v32, v[2:3]
	v_bfi_b32 v38, v38, 0, 0
	v_cmp_eq_u64_e64 s[26:27], v[37:38], v[49:50]
	v_mov_b32_e32 v4, v3
	v_mov_b32_e32 v3, v2
	s_and_saveexec_b64 s[38:39], s[26:27]
; %bb.1522:                             ;   in Loop: Header=BB2_1504 Depth=3
	v_bfe_u32 v3, v2, 21, 1
	v_add_co_u32_e64 v3, s[26:27], v2, v3
	v_add_co_u32_e64 v3, s[26:27], -1, v3
; %bb.1523:                             ;   in Loop: Header=BB2_1504 Depth=3
	s_or_b64 exec, exec, s[38:39]
	v_add_u32_e32 v4, 0xffffff81, v23
	v_cndmask_b32_e32 v4, v4, v1, vcc
	v_lshrrev_b32_e32 v23, 23, v2
	v_add3_u32 v32, v32, v4, v23
	v_add_u32_e32 v23, 14, v32
	v_and_b32_e32 v3, 0x1fffff, v3
	v_add_u32_e32 v28, v3, v2
	v_cmp_ne_u32_e32 vcc, 0, v23
                                        ; implicit-def: $vgpr2_vgpr3
                                        ; implicit-def: $vgpr4
	s_and_saveexec_b64 s[26:27], vcc
	s_xor_b64 s[26:27], exec, s[26:27]
; %bb.1524:                             ;   in Loop: Header=BB2_1504 Depth=3
	v_cmp_lt_u64_e32 vcc, s[88:89], v[28:29]
	v_add_u32_e32 v2, 15, v32
	v_cndmask_b32_e32 v4, v23, v2, vcc
	v_cndmask_b32_e64 v2, 0, 1, vcc
	v_lshrrev_b64 v[2:3], v2, v[28:29]
; %bb.1525:                             ;   in Loop: Header=BB2_1504 Depth=3
	s_andn2_saveexec_b64 s[26:27], s[26:27]
; %bb.1526:                             ;   in Loop: Header=BB2_1504 Depth=3
	v_mov_b32_e32 v2, v28
	v_mov_b32_e32 v3, v29
	v_bfe_u32 v4, v28, 23, 1
; %bb.1527:                             ;   in Loop: Header=BB2_1504 Depth=3
	s_or_b64 exec, exec, s[26:27]
	v_lshrrev_b64 v[2:3], 21, v[2:3]
	v_cmp_gt_i32_e32 vcc, 32, v4
	v_cndmask_b32_e32 v3, 0, v3, vcc
	v_cndmask_b32_e32 v2, 3, v2, vcc
	v_cmp_ne_u64_e32 vcc, 0, v[2:3]
	v_cmp_ne_u32_e64 s[26:27], 0, v4
	s_or_b64 s[26:27], s[26:27], vcc
                                        ; implicit-def: $vgpr23
	s_and_saveexec_b64 vcc, s[26:27]
	s_xor_b64 s[26:27], exec, vcc
; %bb.1528:                             ;   in Loop: Header=BB2_1504 Depth=3
	v_min_i32_e32 v3, 31, v4
	v_lshl_or_b32 v3, v3, 2, v31
	v_and_or_b32 v23, v2, 3, v3
                                        ; implicit-def: $vgpr31
; %bb.1529:                             ;   in Loop: Header=BB2_1504 Depth=3
	s_andn2_saveexec_b64 s[26:27], s[26:27]
; %bb.1530:                             ;   in Loop: Header=BB2_1504 Depth=3
	v_mov_b32_e32 v23, v31
; %bb.1531:                             ;   in Loop: Header=BB2_1504 Depth=3
	s_or_b64 exec, exec, s[26:27]
.LBB2_1532:                             ;   in Loop: Header=BB2_1504 Depth=3
	s_or_b64 exec, exec, s[36:37]
                                        ; implicit-def: $vgpr31
.LBB2_1533:                             ;   in Loop: Header=BB2_1504 Depth=3
	s_andn2_saveexec_b64 s[26:27], s[34:35]
; %bb.1534:                             ;   in Loop: Header=BB2_1504 Depth=3
	v_or_b32_e32 v23, 0x7b, v31
; %bb.1535:                             ;   in Loop: Header=BB2_1504 Depth=3
	s_or_b64 exec, exec, s[26:27]
                                        ; implicit-def: $vgpr2
.LBB2_1536:                             ;   in Loop: Header=BB2_1504 Depth=3
	s_andn2_saveexec_b64 s[26:27], s[30:31]
	s_cbranch_execz .LBB2_1542
; %bb.1537:                             ;   in Loop: Header=BB2_1504 Depth=3
	v_cmp_ne_u64_e32 vcc, 0, v[28:29]
                                        ; implicit-def: $vgpr23
	s_and_saveexec_b64 s[30:31], vcc
	s_xor_b64 vcc, exec, s[30:31]
; %bb.1538:                             ;   in Loop: Header=BB2_1504 Depth=3
	v_or_b32_sdwa v23, v2, s47 dst_sel:DWORD dst_unused:UNUSED_PAD src0_sel:BYTE_3 src1_sel:DWORD
                                        ; implicit-def: $vgpr2
; %bb.1539:                             ;   in Loop: Header=BB2_1504 Depth=3
	s_andn2_saveexec_b64 s[30:31], vcc
; %bb.1540:                             ;   in Loop: Header=BB2_1504 Depth=3
	v_cmp_lt_i32_e32 vcc, -1, v2
	v_cndmask_b32_e32 v23, -4, v22, vcc
; %bb.1541:                             ;   in Loop: Header=BB2_1504 Depth=3
	s_or_b64 exec, exec, s[30:31]
.LBB2_1542:                             ;   in Loop: Header=BB2_1504 Depth=3
	s_or_b64 exec, exec, s[26:27]
	flat_load_sbyte v2, v[8:9] offset:64 glc slc
	v_mov_b32_e32 v3, 0
	s_waitcnt vmcnt(0) lgkmcnt(0)
	v_cmp_ne_u16_e32 vcc, 0, v2
	s_and_saveexec_b64 s[26:27], vcc
	s_cbranch_execz .LBB2_1550
; %bb.1543:                             ;   in Loop: Header=BB2_1504 Depth=3
	v_cmp_ne_u16_e32 vcc, s97, v2
	v_bfrev_b32_e32 v3, 1
	s_and_saveexec_b64 s[30:31], vcc
	s_cbranch_execz .LBB2_1549
; %bb.1544:                             ;   in Loop: Header=BB2_1504 Depth=3
	v_and_b32_e32 v3, 0x7c, v2
	v_and_b32_e32 v4, 3, v2
	v_cmp_ne_u32_e32 vcc, s85, v3
                                        ; implicit-def: $vgpr3
	s_and_saveexec_b64 s[34:35], vcc
	s_xor_b64 s[34:35], exec, s[34:35]
	s_cbranch_execz .LBB2_1546
; %bb.1545:                             ;   in Loop: Header=BB2_1504 Depth=3
	v_ffbh_u32_e32 v31, v4
	v_min_u32_e32 v33, 32, v31
	v_and_b32_e32 v28, 0xff, v2
	v_mov_b32_e32 v3, v29
	v_subrev_u32_e32 v31, 29, v33
	v_bfe_u32 v28, v28, 2, 5
	v_lshlrev_b64 v[31:32], v31, v[2:3]
	v_sub_u32_e32 v3, 30, v33
	v_cmp_eq_u32_e32 vcc, 0, v28
	v_and_b32_e32 v31, 3, v31
	v_cndmask_b32_e32 v3, v28, v3, vcc
	v_and_b32_sdwa v2, sext(v2), s86 dst_sel:DWORD dst_unused:UNUSED_PAD src0_sel:WORD_0 src1_sel:DWORD
	v_cndmask_b32_e32 v4, v4, v31, vcc
	v_lshl_add_u32 v2, v3, 23, v2
	v_lshl_or_b32 v2, v4, 21, v2
	v_add_u32_e32 v3, 0x38000000, v2
                                        ; implicit-def: $vgpr4
                                        ; implicit-def: $vgpr2
.LBB2_1546:                             ;   in Loop: Header=BB2_1504 Depth=3
	s_andn2_saveexec_b64 s[34:35], s[34:35]
; %bb.1547:                             ;   in Loop: Header=BB2_1504 Depth=3
	v_cmp_lt_i16_e32 vcc, -1, v2
	v_cndmask_b32_e32 v2, v7, v0, vcc
	v_cmp_eq_u32_e32 vcc, 0, v4
	v_cndmask_b32_e32 v3, v35, v2, vcc
; %bb.1548:                             ;   in Loop: Header=BB2_1504 Depth=3
	s_or_b64 exec, exec, s[34:35]
.LBB2_1549:                             ;   in Loop: Header=BB2_1504 Depth=3
	s_or_b64 exec, exec, s[30:31]
.LBB2_1550:                             ;   in Loop: Header=BB2_1504 Depth=3
	s_or_b64 exec, exec, s[26:27]
	v_mul_f32_e32 v2, v30, v3
	v_and_b32_e32 v3, 0x7f800000, v2
	v_mov_b32_e32 v4, v29
	v_cmp_ne_u64_e32 vcc, s[76:77], v[3:4]
	v_and_b32_e32 v28, 0x7fffff, v2
                                        ; implicit-def: $vgpr31
	s_and_saveexec_b64 s[26:27], vcc
	s_xor_b64 s[30:31], exec, s[26:27]
	s_cbranch_execz .LBB2_1568
; %bb.1551:                             ;   in Loop: Header=BB2_1504 Depth=3
	v_and_b32_e32 v3, 0x7fffffff, v2
	v_mov_b32_e32 v4, v29
	v_cmp_gt_u64_e32 vcc, s[78:79], v[3:4]
	v_and_b32_sdwa v32, v2, s96 dst_sel:DWORD dst_unused:UNUSED_PAD src0_sel:BYTE_3 src1_sel:DWORD
                                        ; implicit-def: $vgpr31
	s_and_saveexec_b64 s[26:27], vcc
	s_xor_b64 s[34:35], exec, s[26:27]
	s_cbranch_execz .LBB2_1565
; %bb.1552:                             ;   in Loop: Header=BB2_1504 Depth=3
	v_cmp_ne_u32_e32 vcc, 0, v2
	v_mov_b32_e32 v31, 0
	s_and_saveexec_b64 s[36:37], vcc
	s_cbranch_execz .LBB2_1564
; %bb.1553:                             ;   in Loop: Header=BB2_1504 Depth=3
	v_bfe_u32 v31, v2, 23, 8
	v_cmp_gt_u32_e64 s[26:27], s46, v31
	v_sub_u32_e32 v2, 0x71, v31
	v_cmp_eq_u32_e32 vcc, 0, v31
	v_cndmask_b32_e64 v2, 0, v2, s[26:27]
	v_mov_b32_e32 v4, 0x70
	v_cndmask_b32_e32 v33, v2, v4, vcc
	v_add_u32_e32 v4, 21, v33
	v_or_b32_e32 v3, 0x800000, v28
	v_lshlrev_b64 v[37:38], v4, -1
	v_cndmask_b32_e32 v2, v3, v28, vcc
	v_mov_b32_e32 v3, v29
	v_add_u32_e32 v4, 20, v33
	v_bfi_b32 v37, v37, 0, v2
	v_lshlrev_b64 v[49:50], v4, 1
	v_lshrrev_b64 v[2:3], v33, v[2:3]
	v_bfi_b32 v38, v38, 0, 0
	v_cmp_eq_u64_e64 s[26:27], v[37:38], v[49:50]
	v_mov_b32_e32 v4, v3
	v_mov_b32_e32 v3, v2
	s_and_saveexec_b64 s[38:39], s[26:27]
; %bb.1554:                             ;   in Loop: Header=BB2_1504 Depth=3
	v_bfe_u32 v3, v2, 21, 1
	v_add_co_u32_e64 v3, s[26:27], v2, v3
	v_add_co_u32_e64 v3, s[26:27], -1, v3
; %bb.1555:                             ;   in Loop: Header=BB2_1504 Depth=3
	s_or_b64 exec, exec, s[38:39]
	v_add_u32_e32 v4, 0xffffff81, v31
	v_cndmask_b32_e32 v4, v4, v1, vcc
	v_lshrrev_b32_e32 v28, 23, v2
	v_add3_u32 v33, v33, v4, v28
	v_add_u32_e32 v31, 14, v33
	v_and_b32_e32 v3, 0x1fffff, v3
	v_add_u32_e32 v28, v3, v2
	v_cmp_ne_u32_e32 vcc, 0, v31
                                        ; implicit-def: $vgpr2_vgpr3
                                        ; implicit-def: $vgpr4
	s_and_saveexec_b64 s[26:27], vcc
	s_xor_b64 s[26:27], exec, s[26:27]
; %bb.1556:                             ;   in Loop: Header=BB2_1504 Depth=3
	v_cmp_lt_u64_e32 vcc, s[88:89], v[28:29]
	v_add_u32_e32 v2, 15, v33
	v_cndmask_b32_e32 v4, v31, v2, vcc
	v_cndmask_b32_e64 v2, 0, 1, vcc
	v_lshrrev_b64 v[2:3], v2, v[28:29]
; %bb.1557:                             ;   in Loop: Header=BB2_1504 Depth=3
	s_andn2_saveexec_b64 s[26:27], s[26:27]
; %bb.1558:                             ;   in Loop: Header=BB2_1504 Depth=3
	v_mov_b32_e32 v2, v28
	v_mov_b32_e32 v3, v29
	v_bfe_u32 v4, v28, 23, 1
; %bb.1559:                             ;   in Loop: Header=BB2_1504 Depth=3
	s_or_b64 exec, exec, s[26:27]
	v_lshrrev_b64 v[2:3], 21, v[2:3]
	v_cmp_gt_i32_e32 vcc, 32, v4
	v_cndmask_b32_e32 v3, 0, v3, vcc
	v_cndmask_b32_e32 v2, 3, v2, vcc
	v_cmp_ne_u64_e32 vcc, 0, v[2:3]
	v_cmp_ne_u32_e64 s[26:27], 0, v4
	s_or_b64 s[26:27], s[26:27], vcc
                                        ; implicit-def: $vgpr31
	s_and_saveexec_b64 vcc, s[26:27]
	s_xor_b64 s[26:27], exec, vcc
; %bb.1560:                             ;   in Loop: Header=BB2_1504 Depth=3
	v_min_i32_e32 v3, 31, v4
	v_lshl_or_b32 v3, v3, 2, v32
	v_and_or_b32 v31, v2, 3, v3
                                        ; implicit-def: $vgpr32
; %bb.1561:                             ;   in Loop: Header=BB2_1504 Depth=3
	s_andn2_saveexec_b64 s[26:27], s[26:27]
; %bb.1562:                             ;   in Loop: Header=BB2_1504 Depth=3
	v_mov_b32_e32 v31, v32
; %bb.1563:                             ;   in Loop: Header=BB2_1504 Depth=3
	s_or_b64 exec, exec, s[26:27]
.LBB2_1564:                             ;   in Loop: Header=BB2_1504 Depth=3
	s_or_b64 exec, exec, s[36:37]
                                        ; implicit-def: $vgpr32
.LBB2_1565:                             ;   in Loop: Header=BB2_1504 Depth=3
	s_andn2_saveexec_b64 s[26:27], s[34:35]
; %bb.1566:                             ;   in Loop: Header=BB2_1504 Depth=3
	v_or_b32_e32 v31, 0x7b, v32
; %bb.1567:                             ;   in Loop: Header=BB2_1504 Depth=3
	s_or_b64 exec, exec, s[26:27]
                                        ; implicit-def: $vgpr2
.LBB2_1568:                             ;   in Loop: Header=BB2_1504 Depth=3
	s_andn2_saveexec_b64 s[26:27], s[30:31]
	s_cbranch_execz .LBB2_1574
; %bb.1569:                             ;   in Loop: Header=BB2_1504 Depth=3
	v_cmp_ne_u64_e32 vcc, 0, v[28:29]
                                        ; implicit-def: $vgpr31
	s_and_saveexec_b64 s[30:31], vcc
	s_xor_b64 vcc, exec, s[30:31]
; %bb.1570:                             ;   in Loop: Header=BB2_1504 Depth=3
	v_or_b32_sdwa v31, v2, s47 dst_sel:DWORD dst_unused:UNUSED_PAD src0_sel:BYTE_3 src1_sel:DWORD
                                        ; implicit-def: $vgpr2
; %bb.1571:                             ;   in Loop: Header=BB2_1504 Depth=3
	s_andn2_saveexec_b64 s[30:31], vcc
; %bb.1572:                             ;   in Loop: Header=BB2_1504 Depth=3
	v_cmp_lt_i32_e32 vcc, -1, v2
	v_cndmask_b32_e32 v31, -4, v22, vcc
; %bb.1573:                             ;   in Loop: Header=BB2_1504 Depth=3
	s_or_b64 exec, exec, s[30:31]
.LBB2_1574:                             ;   in Loop: Header=BB2_1504 Depth=3
	s_or_b64 exec, exec, s[26:27]
	flat_load_sbyte v2, v[8:9] offset:128 glc slc
	v_mov_b32_e32 v3, 0
	s_waitcnt vmcnt(0) lgkmcnt(0)
	v_cmp_ne_u16_e32 vcc, 0, v2
	s_and_saveexec_b64 s[26:27], vcc
	s_cbranch_execz .LBB2_1582
; %bb.1575:                             ;   in Loop: Header=BB2_1504 Depth=3
	v_cmp_ne_u16_e32 vcc, s97, v2
	v_bfrev_b32_e32 v3, 1
	s_and_saveexec_b64 s[30:31], vcc
	s_cbranch_execz .LBB2_1581
; %bb.1576:                             ;   in Loop: Header=BB2_1504 Depth=3
	v_and_b32_e32 v3, 0x7c, v2
	v_and_b32_e32 v4, 3, v2
	v_cmp_ne_u32_e32 vcc, s85, v3
                                        ; implicit-def: $vgpr3
	s_and_saveexec_b64 s[34:35], vcc
	s_xor_b64 s[34:35], exec, s[34:35]
	s_cbranch_execz .LBB2_1578
; %bb.1577:                             ;   in Loop: Header=BB2_1504 Depth=3
	v_ffbh_u32_e32 v32, v4
	v_min_u32_e32 v37, 32, v32
	v_and_b32_e32 v28, 0xff, v2
	v_mov_b32_e32 v3, v29
	v_subrev_u32_e32 v32, 29, v37
	v_bfe_u32 v28, v28, 2, 5
	v_lshlrev_b64 v[32:33], v32, v[2:3]
	v_sub_u32_e32 v3, 30, v37
	v_cmp_eq_u32_e32 vcc, 0, v28
	v_and_b32_e32 v32, 3, v32
	v_cndmask_b32_e32 v3, v28, v3, vcc
	v_and_b32_sdwa v2, sext(v2), s86 dst_sel:DWORD dst_unused:UNUSED_PAD src0_sel:WORD_0 src1_sel:DWORD
	v_cndmask_b32_e32 v4, v4, v32, vcc
	v_lshl_add_u32 v2, v3, 23, v2
	v_lshl_or_b32 v2, v4, 21, v2
	v_add_u32_e32 v3, 0x38000000, v2
                                        ; implicit-def: $vgpr4
                                        ; implicit-def: $vgpr2
.LBB2_1578:                             ;   in Loop: Header=BB2_1504 Depth=3
	s_andn2_saveexec_b64 s[34:35], s[34:35]
; %bb.1579:                             ;   in Loop: Header=BB2_1504 Depth=3
	v_cmp_lt_i16_e32 vcc, -1, v2
	v_cndmask_b32_e32 v2, v7, v0, vcc
	v_cmp_eq_u32_e32 vcc, 0, v4
	v_cndmask_b32_e32 v3, v35, v2, vcc
; %bb.1580:                             ;   in Loop: Header=BB2_1504 Depth=3
	s_or_b64 exec, exec, s[34:35]
.LBB2_1581:                             ;   in Loop: Header=BB2_1504 Depth=3
	s_or_b64 exec, exec, s[30:31]
.LBB2_1582:                             ;   in Loop: Header=BB2_1504 Depth=3
	s_or_b64 exec, exec, s[26:27]
	v_mul_f32_e32 v2, v30, v3
	v_and_b32_e32 v3, 0x7f800000, v2
	v_mov_b32_e32 v4, v29
	v_cmp_ne_u64_e32 vcc, s[76:77], v[3:4]
	v_and_b32_e32 v28, 0x7fffff, v2
                                        ; implicit-def: $vgpr32
	s_and_saveexec_b64 s[26:27], vcc
	s_xor_b64 s[30:31], exec, s[26:27]
	s_cbranch_execz .LBB2_1600
; %bb.1583:                             ;   in Loop: Header=BB2_1504 Depth=3
	v_and_b32_e32 v3, 0x7fffffff, v2
	v_mov_b32_e32 v4, v29
	v_cmp_gt_u64_e32 vcc, s[78:79], v[3:4]
	v_and_b32_sdwa v33, v2, s96 dst_sel:DWORD dst_unused:UNUSED_PAD src0_sel:BYTE_3 src1_sel:DWORD
                                        ; implicit-def: $vgpr32
	s_and_saveexec_b64 s[26:27], vcc
	s_xor_b64 s[34:35], exec, s[26:27]
	s_cbranch_execz .LBB2_1597
; %bb.1584:                             ;   in Loop: Header=BB2_1504 Depth=3
	v_cmp_ne_u32_e32 vcc, 0, v2
	v_mov_b32_e32 v32, 0
	s_and_saveexec_b64 s[36:37], vcc
	s_cbranch_execz .LBB2_1596
; %bb.1585:                             ;   in Loop: Header=BB2_1504 Depth=3
	v_bfe_u32 v32, v2, 23, 8
	v_cmp_gt_u32_e64 s[26:27], s46, v32
	v_sub_u32_e32 v2, 0x71, v32
	v_cmp_eq_u32_e32 vcc, 0, v32
	v_cndmask_b32_e64 v2, 0, v2, s[26:27]
	v_mov_b32_e32 v4, 0x70
	v_cndmask_b32_e32 v37, v2, v4, vcc
	v_add_u32_e32 v4, 21, v37
	v_or_b32_e32 v3, 0x800000, v28
	v_lshlrev_b64 v[38:39], v4, -1
	v_cndmask_b32_e32 v2, v3, v28, vcc
	v_mov_b32_e32 v3, v29
	v_add_u32_e32 v4, 20, v37
	v_bfi_b32 v38, v38, 0, v2
	v_lshlrev_b64 v[49:50], v4, 1
	v_lshrrev_b64 v[2:3], v37, v[2:3]
	v_bfi_b32 v39, v39, 0, 0
	v_cmp_eq_u64_e64 s[26:27], v[38:39], v[49:50]
	v_mov_b32_e32 v4, v3
	v_mov_b32_e32 v3, v2
	s_and_saveexec_b64 s[38:39], s[26:27]
; %bb.1586:                             ;   in Loop: Header=BB2_1504 Depth=3
	v_bfe_u32 v3, v2, 21, 1
	v_add_co_u32_e64 v3, s[26:27], v2, v3
	v_add_co_u32_e64 v3, s[26:27], -1, v3
; %bb.1587:                             ;   in Loop: Header=BB2_1504 Depth=3
	s_or_b64 exec, exec, s[38:39]
	v_add_u32_e32 v4, 0xffffff81, v32
	v_cndmask_b32_e32 v4, v4, v1, vcc
	v_lshrrev_b32_e32 v28, 23, v2
	v_add3_u32 v37, v37, v4, v28
	v_add_u32_e32 v32, 14, v37
	v_and_b32_e32 v3, 0x1fffff, v3
	v_add_u32_e32 v28, v3, v2
	v_cmp_ne_u32_e32 vcc, 0, v32
                                        ; implicit-def: $vgpr2_vgpr3
                                        ; implicit-def: $vgpr4
	s_and_saveexec_b64 s[26:27], vcc
	s_xor_b64 s[26:27], exec, s[26:27]
; %bb.1588:                             ;   in Loop: Header=BB2_1504 Depth=3
	v_cmp_lt_u64_e32 vcc, s[88:89], v[28:29]
	v_add_u32_e32 v2, 15, v37
	v_cndmask_b32_e32 v4, v32, v2, vcc
	v_cndmask_b32_e64 v2, 0, 1, vcc
	v_lshrrev_b64 v[2:3], v2, v[28:29]
; %bb.1589:                             ;   in Loop: Header=BB2_1504 Depth=3
	s_andn2_saveexec_b64 s[26:27], s[26:27]
; %bb.1590:                             ;   in Loop: Header=BB2_1504 Depth=3
	v_mov_b32_e32 v2, v28
	v_mov_b32_e32 v3, v29
	v_bfe_u32 v4, v28, 23, 1
; %bb.1591:                             ;   in Loop: Header=BB2_1504 Depth=3
	s_or_b64 exec, exec, s[26:27]
	v_lshrrev_b64 v[2:3], 21, v[2:3]
	v_cmp_gt_i32_e32 vcc, 32, v4
	v_cndmask_b32_e32 v3, 0, v3, vcc
	v_cndmask_b32_e32 v2, 3, v2, vcc
	v_cmp_ne_u64_e32 vcc, 0, v[2:3]
	v_cmp_ne_u32_e64 s[26:27], 0, v4
	s_or_b64 s[26:27], s[26:27], vcc
                                        ; implicit-def: $vgpr32
	s_and_saveexec_b64 vcc, s[26:27]
	s_xor_b64 s[26:27], exec, vcc
; %bb.1592:                             ;   in Loop: Header=BB2_1504 Depth=3
	v_min_i32_e32 v3, 31, v4
	v_lshl_or_b32 v3, v3, 2, v33
	v_and_or_b32 v32, v2, 3, v3
                                        ; implicit-def: $vgpr33
; %bb.1593:                             ;   in Loop: Header=BB2_1504 Depth=3
	s_andn2_saveexec_b64 s[26:27], s[26:27]
; %bb.1594:                             ;   in Loop: Header=BB2_1504 Depth=3
	v_mov_b32_e32 v32, v33
; %bb.1595:                             ;   in Loop: Header=BB2_1504 Depth=3
	s_or_b64 exec, exec, s[26:27]
.LBB2_1596:                             ;   in Loop: Header=BB2_1504 Depth=3
	s_or_b64 exec, exec, s[36:37]
                                        ; implicit-def: $vgpr33
.LBB2_1597:                             ;   in Loop: Header=BB2_1504 Depth=3
	s_andn2_saveexec_b64 s[26:27], s[34:35]
; %bb.1598:                             ;   in Loop: Header=BB2_1504 Depth=3
	v_or_b32_e32 v32, 0x7b, v33
; %bb.1599:                             ;   in Loop: Header=BB2_1504 Depth=3
	s_or_b64 exec, exec, s[26:27]
                                        ; implicit-def: $vgpr2
.LBB2_1600:                             ;   in Loop: Header=BB2_1504 Depth=3
	s_andn2_saveexec_b64 s[26:27], s[30:31]
	s_cbranch_execz .LBB2_1606
; %bb.1601:                             ;   in Loop: Header=BB2_1504 Depth=3
	v_cmp_ne_u64_e32 vcc, 0, v[28:29]
                                        ; implicit-def: $vgpr32
	s_and_saveexec_b64 s[30:31], vcc
	s_xor_b64 vcc, exec, s[30:31]
; %bb.1602:                             ;   in Loop: Header=BB2_1504 Depth=3
	v_or_b32_sdwa v32, v2, s47 dst_sel:DWORD dst_unused:UNUSED_PAD src0_sel:BYTE_3 src1_sel:DWORD
                                        ; implicit-def: $vgpr2
; %bb.1603:                             ;   in Loop: Header=BB2_1504 Depth=3
	s_andn2_saveexec_b64 s[30:31], vcc
; %bb.1604:                             ;   in Loop: Header=BB2_1504 Depth=3
	v_cmp_lt_i32_e32 vcc, -1, v2
	v_cndmask_b32_e32 v32, -4, v22, vcc
; %bb.1605:                             ;   in Loop: Header=BB2_1504 Depth=3
	s_or_b64 exec, exec, s[30:31]
.LBB2_1606:                             ;   in Loop: Header=BB2_1504 Depth=3
	s_or_b64 exec, exec, s[26:27]
	flat_load_sbyte v2, v[8:9] offset:192 glc slc
	v_mov_b32_e32 v3, 0
	s_waitcnt vmcnt(0) lgkmcnt(0)
	v_cmp_ne_u16_e32 vcc, 0, v2
	s_and_saveexec_b64 s[26:27], vcc
	s_cbranch_execz .LBB2_1614
; %bb.1607:                             ;   in Loop: Header=BB2_1504 Depth=3
	v_cmp_ne_u16_e32 vcc, s97, v2
	v_bfrev_b32_e32 v3, 1
	s_and_saveexec_b64 s[30:31], vcc
	s_cbranch_execz .LBB2_1613
; %bb.1608:                             ;   in Loop: Header=BB2_1504 Depth=3
	v_and_b32_e32 v3, 0x7c, v2
	v_and_b32_e32 v4, 3, v2
	v_cmp_ne_u32_e32 vcc, s85, v3
                                        ; implicit-def: $vgpr3
	s_and_saveexec_b64 s[34:35], vcc
	s_xor_b64 s[34:35], exec, s[34:35]
	s_cbranch_execz .LBB2_1610
; %bb.1609:                             ;   in Loop: Header=BB2_1504 Depth=3
	v_ffbh_u32_e32 v33, v4
	v_min_u32_e32 v33, 32, v33
	v_and_b32_e32 v28, 0xff, v2
	v_mov_b32_e32 v3, v29
	v_subrev_u32_e32 v37, 29, v33
	v_bfe_u32 v28, v28, 2, 5
	v_lshlrev_b64 v[37:38], v37, v[2:3]
	v_sub_u32_e32 v3, 30, v33
	v_cmp_eq_u32_e32 vcc, 0, v28
	v_and_b32_e32 v33, 3, v37
	v_cndmask_b32_e32 v3, v28, v3, vcc
	v_and_b32_sdwa v2, sext(v2), s86 dst_sel:DWORD dst_unused:UNUSED_PAD src0_sel:WORD_0 src1_sel:DWORD
	v_cndmask_b32_e32 v4, v4, v33, vcc
	v_lshl_add_u32 v2, v3, 23, v2
	v_lshl_or_b32 v2, v4, 21, v2
	v_add_u32_e32 v3, 0x38000000, v2
                                        ; implicit-def: $vgpr4
                                        ; implicit-def: $vgpr2
.LBB2_1610:                             ;   in Loop: Header=BB2_1504 Depth=3
	s_andn2_saveexec_b64 s[34:35], s[34:35]
; %bb.1611:                             ;   in Loop: Header=BB2_1504 Depth=3
	v_cmp_lt_i16_e32 vcc, -1, v2
	v_cndmask_b32_e32 v2, v7, v0, vcc
	v_cmp_eq_u32_e32 vcc, 0, v4
	v_cndmask_b32_e32 v3, v35, v2, vcc
; %bb.1612:                             ;   in Loop: Header=BB2_1504 Depth=3
	s_or_b64 exec, exec, s[34:35]
.LBB2_1613:                             ;   in Loop: Header=BB2_1504 Depth=3
	s_or_b64 exec, exec, s[30:31]
.LBB2_1614:                             ;   in Loop: Header=BB2_1504 Depth=3
	s_or_b64 exec, exec, s[26:27]
	v_mul_f32_e32 v2, v30, v3
	v_and_b32_e32 v3, 0x7f800000, v2
	v_mov_b32_e32 v4, v29
	v_cmp_ne_u64_e32 vcc, s[76:77], v[3:4]
	v_and_b32_e32 v28, 0x7fffff, v2
                                        ; implicit-def: $vgpr33
	s_and_saveexec_b64 s[26:27], vcc
	s_xor_b64 s[30:31], exec, s[26:27]
	s_cbranch_execz .LBB2_1632
; %bb.1615:                             ;   in Loop: Header=BB2_1504 Depth=3
	v_and_b32_e32 v3, 0x7fffffff, v2
	v_mov_b32_e32 v4, v29
	v_cmp_gt_u64_e32 vcc, s[78:79], v[3:4]
	v_and_b32_sdwa v37, v2, s96 dst_sel:DWORD dst_unused:UNUSED_PAD src0_sel:BYTE_3 src1_sel:DWORD
                                        ; implicit-def: $vgpr33
	s_and_saveexec_b64 s[26:27], vcc
	s_xor_b64 s[34:35], exec, s[26:27]
	s_cbranch_execz .LBB2_1629
; %bb.1616:                             ;   in Loop: Header=BB2_1504 Depth=3
	v_cmp_ne_u32_e32 vcc, 0, v2
	v_mov_b32_e32 v33, 0
	s_and_saveexec_b64 s[36:37], vcc
	s_cbranch_execz .LBB2_1628
; %bb.1617:                             ;   in Loop: Header=BB2_1504 Depth=3
	v_bfe_u32 v33, v2, 23, 8
	v_cmp_gt_u32_e64 s[26:27], s46, v33
	v_sub_u32_e32 v2, 0x71, v33
	v_cmp_eq_u32_e32 vcc, 0, v33
	v_cndmask_b32_e64 v2, 0, v2, s[26:27]
	v_mov_b32_e32 v4, 0x70
	v_cndmask_b32_e32 v49, v2, v4, vcc
	v_add_u32_e32 v4, 21, v49
	v_or_b32_e32 v3, 0x800000, v28
	v_lshlrev_b64 v[38:39], v4, -1
	v_cndmask_b32_e32 v2, v3, v28, vcc
	v_mov_b32_e32 v3, v29
	v_add_u32_e32 v4, 20, v49
	v_bfi_b32 v38, v38, 0, v2
	v_lshlrev_b64 v[50:51], v4, 1
	v_lshrrev_b64 v[2:3], v49, v[2:3]
	v_bfi_b32 v39, v39, 0, 0
	v_cmp_eq_u64_e64 s[26:27], v[38:39], v[50:51]
	v_mov_b32_e32 v4, v3
	v_mov_b32_e32 v3, v2
	s_and_saveexec_b64 s[38:39], s[26:27]
; %bb.1618:                             ;   in Loop: Header=BB2_1504 Depth=3
	v_bfe_u32 v3, v2, 21, 1
	v_add_co_u32_e64 v3, s[26:27], v2, v3
	v_add_co_u32_e64 v3, s[26:27], -1, v3
; %bb.1619:                             ;   in Loop: Header=BB2_1504 Depth=3
	s_or_b64 exec, exec, s[38:39]
	v_add_u32_e32 v4, 0xffffff81, v33
	v_cndmask_b32_e32 v4, v4, v1, vcc
	v_lshrrev_b32_e32 v28, 23, v2
	v_add3_u32 v49, v49, v4, v28
	v_add_u32_e32 v33, 14, v49
	v_and_b32_e32 v3, 0x1fffff, v3
	v_add_u32_e32 v28, v3, v2
	v_cmp_ne_u32_e32 vcc, 0, v33
                                        ; implicit-def: $vgpr2_vgpr3
                                        ; implicit-def: $vgpr4
	s_and_saveexec_b64 s[26:27], vcc
	s_xor_b64 s[26:27], exec, s[26:27]
; %bb.1620:                             ;   in Loop: Header=BB2_1504 Depth=3
	v_cmp_lt_u64_e32 vcc, s[88:89], v[28:29]
	v_add_u32_e32 v2, 15, v49
	v_cndmask_b32_e32 v4, v33, v2, vcc
	v_cndmask_b32_e64 v2, 0, 1, vcc
	v_lshrrev_b64 v[2:3], v2, v[28:29]
; %bb.1621:                             ;   in Loop: Header=BB2_1504 Depth=3
	s_andn2_saveexec_b64 s[26:27], s[26:27]
; %bb.1622:                             ;   in Loop: Header=BB2_1504 Depth=3
	v_mov_b32_e32 v2, v28
	v_mov_b32_e32 v3, v29
	v_bfe_u32 v4, v28, 23, 1
; %bb.1623:                             ;   in Loop: Header=BB2_1504 Depth=3
	s_or_b64 exec, exec, s[26:27]
	v_lshrrev_b64 v[2:3], 21, v[2:3]
	v_cmp_gt_i32_e32 vcc, 32, v4
	v_cndmask_b32_e32 v3, 0, v3, vcc
	v_cndmask_b32_e32 v2, 3, v2, vcc
	v_cmp_ne_u64_e32 vcc, 0, v[2:3]
	v_cmp_ne_u32_e64 s[26:27], 0, v4
	s_or_b64 s[26:27], s[26:27], vcc
                                        ; implicit-def: $vgpr33
	s_and_saveexec_b64 vcc, s[26:27]
	s_xor_b64 s[26:27], exec, vcc
; %bb.1624:                             ;   in Loop: Header=BB2_1504 Depth=3
	v_min_i32_e32 v3, 31, v4
	v_lshl_or_b32 v3, v3, 2, v37
	v_and_or_b32 v33, v2, 3, v3
                                        ; implicit-def: $vgpr37
; %bb.1625:                             ;   in Loop: Header=BB2_1504 Depth=3
	s_andn2_saveexec_b64 s[26:27], s[26:27]
; %bb.1626:                             ;   in Loop: Header=BB2_1504 Depth=3
	v_mov_b32_e32 v33, v37
; %bb.1627:                             ;   in Loop: Header=BB2_1504 Depth=3
	s_or_b64 exec, exec, s[26:27]
.LBB2_1628:                             ;   in Loop: Header=BB2_1504 Depth=3
	s_or_b64 exec, exec, s[36:37]
                                        ; implicit-def: $vgpr37
.LBB2_1629:                             ;   in Loop: Header=BB2_1504 Depth=3
	s_andn2_saveexec_b64 s[26:27], s[34:35]
; %bb.1630:                             ;   in Loop: Header=BB2_1504 Depth=3
	v_or_b32_e32 v33, 0x7b, v37
; %bb.1631:                             ;   in Loop: Header=BB2_1504 Depth=3
	s_or_b64 exec, exec, s[26:27]
                                        ; implicit-def: $vgpr2
.LBB2_1632:                             ;   in Loop: Header=BB2_1504 Depth=3
	s_andn2_saveexec_b64 s[26:27], s[30:31]
	s_cbranch_execz .LBB2_1638
; %bb.1633:                             ;   in Loop: Header=BB2_1504 Depth=3
	v_cmp_ne_u64_e32 vcc, 0, v[28:29]
                                        ; implicit-def: $vgpr33
	s_and_saveexec_b64 s[30:31], vcc
	s_xor_b64 vcc, exec, s[30:31]
; %bb.1634:                             ;   in Loop: Header=BB2_1504 Depth=3
	v_or_b32_sdwa v33, v2, s47 dst_sel:DWORD dst_unused:UNUSED_PAD src0_sel:BYTE_3 src1_sel:DWORD
                                        ; implicit-def: $vgpr2
; %bb.1635:                             ;   in Loop: Header=BB2_1504 Depth=3
	s_andn2_saveexec_b64 s[30:31], vcc
; %bb.1636:                             ;   in Loop: Header=BB2_1504 Depth=3
	v_cmp_lt_i32_e32 vcc, -1, v2
	v_cndmask_b32_e32 v33, -4, v22, vcc
; %bb.1637:                             ;   in Loop: Header=BB2_1504 Depth=3
	s_or_b64 exec, exec, s[30:31]
.LBB2_1638:                             ;   in Loop: Header=BB2_1504 Depth=3
	s_or_b64 exec, exec, s[26:27]
	flat_load_sbyte v2, v[8:9] offset:256 glc slc
	v_mov_b32_e32 v3, 0
	s_waitcnt vmcnt(0) lgkmcnt(0)
	v_cmp_ne_u16_e32 vcc, 0, v2
	s_and_saveexec_b64 s[26:27], vcc
	s_cbranch_execz .LBB2_1646
; %bb.1639:                             ;   in Loop: Header=BB2_1504 Depth=3
	v_cmp_ne_u16_e32 vcc, s97, v2
	v_bfrev_b32_e32 v3, 1
	s_and_saveexec_b64 s[30:31], vcc
	s_cbranch_execz .LBB2_1645
; %bb.1640:                             ;   in Loop: Header=BB2_1504 Depth=3
	v_and_b32_e32 v3, 0x7c, v2
	v_and_b32_e32 v4, 3, v2
	v_cmp_ne_u32_e32 vcc, s85, v3
                                        ; implicit-def: $vgpr3
	s_and_saveexec_b64 s[34:35], vcc
	s_xor_b64 s[34:35], exec, s[34:35]
	s_cbranch_execz .LBB2_1642
; %bb.1641:                             ;   in Loop: Header=BB2_1504 Depth=3
	v_ffbh_u32_e32 v37, v4
	v_min_u32_e32 v39, 32, v37
	v_and_b32_e32 v28, 0xff, v2
	v_mov_b32_e32 v3, v29
	v_subrev_u32_e32 v37, 29, v39
	v_bfe_u32 v28, v28, 2, 5
	v_lshlrev_b64 v[37:38], v37, v[2:3]
	v_sub_u32_e32 v3, 30, v39
	v_cmp_eq_u32_e32 vcc, 0, v28
	v_and_b32_e32 v37, 3, v37
	v_cndmask_b32_e32 v3, v28, v3, vcc
	v_and_b32_sdwa v2, sext(v2), s86 dst_sel:DWORD dst_unused:UNUSED_PAD src0_sel:WORD_0 src1_sel:DWORD
	v_cndmask_b32_e32 v4, v4, v37, vcc
	v_lshl_add_u32 v2, v3, 23, v2
	v_lshl_or_b32 v2, v4, 21, v2
	v_add_u32_e32 v3, 0x38000000, v2
                                        ; implicit-def: $vgpr4
                                        ; implicit-def: $vgpr2
.LBB2_1642:                             ;   in Loop: Header=BB2_1504 Depth=3
	s_andn2_saveexec_b64 s[34:35], s[34:35]
; %bb.1643:                             ;   in Loop: Header=BB2_1504 Depth=3
	v_cmp_lt_i16_e32 vcc, -1, v2
	v_cndmask_b32_e32 v2, v7, v0, vcc
	v_cmp_eq_u32_e32 vcc, 0, v4
	v_cndmask_b32_e32 v3, v35, v2, vcc
; %bb.1644:                             ;   in Loop: Header=BB2_1504 Depth=3
	s_or_b64 exec, exec, s[34:35]
.LBB2_1645:                             ;   in Loop: Header=BB2_1504 Depth=3
	s_or_b64 exec, exec, s[30:31]
.LBB2_1646:                             ;   in Loop: Header=BB2_1504 Depth=3
	s_or_b64 exec, exec, s[26:27]
	v_mul_f32_e32 v2, v30, v3
	v_and_b32_e32 v3, 0x7f800000, v2
	v_mov_b32_e32 v4, v29
	v_cmp_ne_u64_e32 vcc, s[76:77], v[3:4]
	v_and_b32_e32 v28, 0x7fffff, v2
                                        ; implicit-def: $vgpr37
	s_and_saveexec_b64 s[26:27], vcc
	s_xor_b64 s[30:31], exec, s[26:27]
	s_cbranch_execz .LBB2_1664
; %bb.1647:                             ;   in Loop: Header=BB2_1504 Depth=3
	v_and_b32_e32 v3, 0x7fffffff, v2
	v_mov_b32_e32 v4, v29
	v_cmp_gt_u64_e32 vcc, s[78:79], v[3:4]
	v_and_b32_sdwa v49, v2, s96 dst_sel:DWORD dst_unused:UNUSED_PAD src0_sel:BYTE_3 src1_sel:DWORD
                                        ; implicit-def: $vgpr37
	s_and_saveexec_b64 s[26:27], vcc
	s_xor_b64 s[34:35], exec, s[26:27]
	s_cbranch_execz .LBB2_1661
; %bb.1648:                             ;   in Loop: Header=BB2_1504 Depth=3
	v_cmp_ne_u32_e32 vcc, 0, v2
	v_mov_b32_e32 v37, 0
	s_and_saveexec_b64 s[36:37], vcc
	s_cbranch_execz .LBB2_1660
; %bb.1649:                             ;   in Loop: Header=BB2_1504 Depth=3
	v_bfe_u32 v37, v2, 23, 8
	v_cmp_gt_u32_e64 s[26:27], s46, v37
	v_sub_u32_e32 v2, 0x71, v37
	v_cmp_eq_u32_e32 vcc, 0, v37
	v_cndmask_b32_e64 v2, 0, v2, s[26:27]
	v_mov_b32_e32 v4, 0x70
	v_cndmask_b32_e32 v50, v2, v4, vcc
	v_add_u32_e32 v4, 21, v50
	v_or_b32_e32 v3, 0x800000, v28
	v_lshlrev_b64 v[38:39], v4, -1
	v_cndmask_b32_e32 v2, v3, v28, vcc
	v_mov_b32_e32 v3, v29
	v_add_u32_e32 v4, 20, v50
	v_bfi_b32 v38, v38, 0, v2
	v_lshlrev_b64 v[51:52], v4, 1
	v_lshrrev_b64 v[2:3], v50, v[2:3]
	v_bfi_b32 v39, v39, 0, 0
	v_cmp_eq_u64_e64 s[26:27], v[38:39], v[51:52]
	v_mov_b32_e32 v4, v3
	v_mov_b32_e32 v3, v2
	s_and_saveexec_b64 s[38:39], s[26:27]
; %bb.1650:                             ;   in Loop: Header=BB2_1504 Depth=3
	v_bfe_u32 v3, v2, 21, 1
	v_add_co_u32_e64 v3, s[26:27], v2, v3
	v_add_co_u32_e64 v3, s[26:27], -1, v3
; %bb.1651:                             ;   in Loop: Header=BB2_1504 Depth=3
	s_or_b64 exec, exec, s[38:39]
	v_add_u32_e32 v4, 0xffffff81, v37
	v_cndmask_b32_e32 v4, v4, v1, vcc
	v_lshrrev_b32_e32 v28, 23, v2
	v_add3_u32 v50, v50, v4, v28
	v_add_u32_e32 v37, 14, v50
	v_and_b32_e32 v3, 0x1fffff, v3
	v_add_u32_e32 v28, v3, v2
	v_cmp_ne_u32_e32 vcc, 0, v37
                                        ; implicit-def: $vgpr2_vgpr3
                                        ; implicit-def: $vgpr4
	s_and_saveexec_b64 s[26:27], vcc
	s_xor_b64 s[26:27], exec, s[26:27]
; %bb.1652:                             ;   in Loop: Header=BB2_1504 Depth=3
	v_cmp_lt_u64_e32 vcc, s[88:89], v[28:29]
	v_add_u32_e32 v2, 15, v50
	v_cndmask_b32_e32 v4, v37, v2, vcc
	v_cndmask_b32_e64 v2, 0, 1, vcc
	v_lshrrev_b64 v[2:3], v2, v[28:29]
; %bb.1653:                             ;   in Loop: Header=BB2_1504 Depth=3
	s_andn2_saveexec_b64 s[26:27], s[26:27]
; %bb.1654:                             ;   in Loop: Header=BB2_1504 Depth=3
	v_mov_b32_e32 v2, v28
	v_mov_b32_e32 v3, v29
	v_bfe_u32 v4, v28, 23, 1
; %bb.1655:                             ;   in Loop: Header=BB2_1504 Depth=3
	s_or_b64 exec, exec, s[26:27]
	v_lshrrev_b64 v[2:3], 21, v[2:3]
	v_cmp_gt_i32_e32 vcc, 32, v4
	v_cndmask_b32_e32 v3, 0, v3, vcc
	v_cndmask_b32_e32 v2, 3, v2, vcc
	v_cmp_ne_u64_e32 vcc, 0, v[2:3]
	v_cmp_ne_u32_e64 s[26:27], 0, v4
	s_or_b64 s[26:27], s[26:27], vcc
                                        ; implicit-def: $vgpr37
	s_and_saveexec_b64 vcc, s[26:27]
	s_xor_b64 s[26:27], exec, vcc
; %bb.1656:                             ;   in Loop: Header=BB2_1504 Depth=3
	v_min_i32_e32 v3, 31, v4
	v_lshl_or_b32 v3, v3, 2, v49
	v_and_or_b32 v37, v2, 3, v3
                                        ; implicit-def: $vgpr49
; %bb.1657:                             ;   in Loop: Header=BB2_1504 Depth=3
	s_andn2_saveexec_b64 s[26:27], s[26:27]
; %bb.1658:                             ;   in Loop: Header=BB2_1504 Depth=3
	v_mov_b32_e32 v37, v49
; %bb.1659:                             ;   in Loop: Header=BB2_1504 Depth=3
	s_or_b64 exec, exec, s[26:27]
.LBB2_1660:                             ;   in Loop: Header=BB2_1504 Depth=3
	s_or_b64 exec, exec, s[36:37]
                                        ; implicit-def: $vgpr49
.LBB2_1661:                             ;   in Loop: Header=BB2_1504 Depth=3
	s_andn2_saveexec_b64 s[26:27], s[34:35]
; %bb.1662:                             ;   in Loop: Header=BB2_1504 Depth=3
	v_or_b32_e32 v37, 0x7b, v49
; %bb.1663:                             ;   in Loop: Header=BB2_1504 Depth=3
	s_or_b64 exec, exec, s[26:27]
                                        ; implicit-def: $vgpr2
.LBB2_1664:                             ;   in Loop: Header=BB2_1504 Depth=3
	s_andn2_saveexec_b64 s[26:27], s[30:31]
	s_cbranch_execz .LBB2_1670
; %bb.1665:                             ;   in Loop: Header=BB2_1504 Depth=3
	v_cmp_ne_u64_e32 vcc, 0, v[28:29]
                                        ; implicit-def: $vgpr37
	s_and_saveexec_b64 s[30:31], vcc
	s_xor_b64 vcc, exec, s[30:31]
; %bb.1666:                             ;   in Loop: Header=BB2_1504 Depth=3
	v_or_b32_sdwa v37, v2, s47 dst_sel:DWORD dst_unused:UNUSED_PAD src0_sel:BYTE_3 src1_sel:DWORD
                                        ; implicit-def: $vgpr2
; %bb.1667:                             ;   in Loop: Header=BB2_1504 Depth=3
	s_andn2_saveexec_b64 s[30:31], vcc
; %bb.1668:                             ;   in Loop: Header=BB2_1504 Depth=3
	v_cmp_lt_i32_e32 vcc, -1, v2
	v_cndmask_b32_e32 v37, -4, v22, vcc
; %bb.1669:                             ;   in Loop: Header=BB2_1504 Depth=3
	s_or_b64 exec, exec, s[30:31]
.LBB2_1670:                             ;   in Loop: Header=BB2_1504 Depth=3
	s_or_b64 exec, exec, s[26:27]
	flat_load_sbyte v2, v[8:9] offset:320 glc slc
	v_mov_b32_e32 v3, 0
	s_waitcnt vmcnt(0) lgkmcnt(0)
	v_cmp_ne_u16_e32 vcc, 0, v2
	s_and_saveexec_b64 s[26:27], vcc
	s_cbranch_execz .LBB2_1678
; %bb.1671:                             ;   in Loop: Header=BB2_1504 Depth=3
	v_cmp_ne_u16_e32 vcc, s97, v2
	v_bfrev_b32_e32 v3, 1
	s_and_saveexec_b64 s[30:31], vcc
	s_cbranch_execz .LBB2_1677
; %bb.1672:                             ;   in Loop: Header=BB2_1504 Depth=3
	v_and_b32_e32 v3, 0x7c, v2
	v_and_b32_e32 v4, 3, v2
	v_cmp_ne_u32_e32 vcc, s85, v3
                                        ; implicit-def: $vgpr3
	s_and_saveexec_b64 s[34:35], vcc
	s_xor_b64 s[34:35], exec, s[34:35]
	s_cbranch_execz .LBB2_1674
; %bb.1673:                             ;   in Loop: Header=BB2_1504 Depth=3
	v_ffbh_u32_e32 v38, v4
	v_min_u32_e32 v49, 32, v38
	v_and_b32_e32 v28, 0xff, v2
	v_mov_b32_e32 v3, v29
	v_subrev_u32_e32 v38, 29, v49
	v_bfe_u32 v28, v28, 2, 5
	v_lshlrev_b64 v[38:39], v38, v[2:3]
	v_sub_u32_e32 v3, 30, v49
	v_cmp_eq_u32_e32 vcc, 0, v28
	v_and_b32_e32 v38, 3, v38
	v_cndmask_b32_e32 v3, v28, v3, vcc
	v_and_b32_sdwa v2, sext(v2), s86 dst_sel:DWORD dst_unused:UNUSED_PAD src0_sel:WORD_0 src1_sel:DWORD
	v_cndmask_b32_e32 v4, v4, v38, vcc
	v_lshl_add_u32 v2, v3, 23, v2
	v_lshl_or_b32 v2, v4, 21, v2
	v_add_u32_e32 v3, 0x38000000, v2
                                        ; implicit-def: $vgpr4
                                        ; implicit-def: $vgpr2
.LBB2_1674:                             ;   in Loop: Header=BB2_1504 Depth=3
	s_andn2_saveexec_b64 s[34:35], s[34:35]
; %bb.1675:                             ;   in Loop: Header=BB2_1504 Depth=3
	v_cmp_lt_i16_e32 vcc, -1, v2
	v_cndmask_b32_e32 v2, v7, v0, vcc
	v_cmp_eq_u32_e32 vcc, 0, v4
	v_cndmask_b32_e32 v3, v35, v2, vcc
; %bb.1676:                             ;   in Loop: Header=BB2_1504 Depth=3
	s_or_b64 exec, exec, s[34:35]
.LBB2_1677:                             ;   in Loop: Header=BB2_1504 Depth=3
	s_or_b64 exec, exec, s[30:31]
.LBB2_1678:                             ;   in Loop: Header=BB2_1504 Depth=3
	s_or_b64 exec, exec, s[26:27]
	v_mul_f32_e32 v2, v30, v3
	v_and_b32_e32 v3, 0x7f800000, v2
	v_mov_b32_e32 v4, v29
	v_cmp_ne_u64_e32 vcc, s[76:77], v[3:4]
	v_and_b32_e32 v28, 0x7fffff, v2
                                        ; implicit-def: $vgpr50
	s_and_saveexec_b64 s[26:27], vcc
	s_xor_b64 s[30:31], exec, s[26:27]
	s_cbranch_execz .LBB2_1696
; %bb.1679:                             ;   in Loop: Header=BB2_1504 Depth=3
	v_and_b32_e32 v3, 0x7fffffff, v2
	v_mov_b32_e32 v4, v29
	v_cmp_gt_u64_e32 vcc, s[78:79], v[3:4]
	v_and_b32_sdwa v49, v2, s96 dst_sel:DWORD dst_unused:UNUSED_PAD src0_sel:BYTE_3 src1_sel:DWORD
                                        ; implicit-def: $vgpr50
	s_and_saveexec_b64 s[26:27], vcc
	s_xor_b64 s[34:35], exec, s[26:27]
	s_cbranch_execz .LBB2_1693
; %bb.1680:                             ;   in Loop: Header=BB2_1504 Depth=3
	v_cmp_ne_u32_e32 vcc, 0, v2
	v_mov_b32_e32 v50, 0
	s_and_saveexec_b64 s[36:37], vcc
	s_cbranch_execz .LBB2_1692
; %bb.1681:                             ;   in Loop: Header=BB2_1504 Depth=3
	v_bfe_u32 v50, v2, 23, 8
	v_cmp_gt_u32_e64 s[26:27], s46, v50
	v_sub_u32_e32 v2, 0x71, v50
	v_cmp_eq_u32_e32 vcc, 0, v50
	v_cndmask_b32_e64 v2, 0, v2, s[26:27]
	v_mov_b32_e32 v4, 0x70
	v_cndmask_b32_e32 v51, v2, v4, vcc
	v_add_u32_e32 v4, 21, v51
	v_or_b32_e32 v3, 0x800000, v28
	v_lshlrev_b64 v[38:39], v4, -1
	v_cndmask_b32_e32 v2, v3, v28, vcc
	v_mov_b32_e32 v3, v29
	v_add_u32_e32 v4, 20, v51
	v_bfi_b32 v38, v38, 0, v2
	v_lshlrev_b64 v[52:53], v4, 1
	v_lshrrev_b64 v[2:3], v51, v[2:3]
	v_bfi_b32 v39, v39, 0, 0
	v_cmp_eq_u64_e64 s[26:27], v[38:39], v[52:53]
	v_mov_b32_e32 v4, v3
	v_mov_b32_e32 v3, v2
	s_and_saveexec_b64 s[38:39], s[26:27]
; %bb.1682:                             ;   in Loop: Header=BB2_1504 Depth=3
	v_bfe_u32 v3, v2, 21, 1
	v_add_co_u32_e64 v3, s[26:27], v2, v3
	v_add_co_u32_e64 v3, s[26:27], -1, v3
; %bb.1683:                             ;   in Loop: Header=BB2_1504 Depth=3
	s_or_b64 exec, exec, s[38:39]
	v_add_u32_e32 v4, 0xffffff81, v50
	v_cndmask_b32_e32 v4, v4, v1, vcc
	v_lshrrev_b32_e32 v28, 23, v2
	v_add3_u32 v51, v51, v4, v28
	v_add_u32_e32 v50, 14, v51
	v_and_b32_e32 v3, 0x1fffff, v3
	v_add_u32_e32 v28, v3, v2
	v_cmp_ne_u32_e32 vcc, 0, v50
                                        ; implicit-def: $vgpr2_vgpr3
                                        ; implicit-def: $vgpr4
	s_and_saveexec_b64 s[26:27], vcc
	s_xor_b64 s[26:27], exec, s[26:27]
; %bb.1684:                             ;   in Loop: Header=BB2_1504 Depth=3
	v_cmp_lt_u64_e32 vcc, s[88:89], v[28:29]
	v_add_u32_e32 v2, 15, v51
	v_cndmask_b32_e32 v4, v50, v2, vcc
	v_cndmask_b32_e64 v2, 0, 1, vcc
	v_lshrrev_b64 v[2:3], v2, v[28:29]
; %bb.1685:                             ;   in Loop: Header=BB2_1504 Depth=3
	s_andn2_saveexec_b64 s[26:27], s[26:27]
; %bb.1686:                             ;   in Loop: Header=BB2_1504 Depth=3
	v_mov_b32_e32 v2, v28
	v_mov_b32_e32 v3, v29
	v_bfe_u32 v4, v28, 23, 1
; %bb.1687:                             ;   in Loop: Header=BB2_1504 Depth=3
	s_or_b64 exec, exec, s[26:27]
	v_lshrrev_b64 v[2:3], 21, v[2:3]
	v_cmp_gt_i32_e32 vcc, 32, v4
	v_cndmask_b32_e32 v3, 0, v3, vcc
	v_cndmask_b32_e32 v2, 3, v2, vcc
	v_cmp_ne_u64_e32 vcc, 0, v[2:3]
	v_cmp_ne_u32_e64 s[26:27], 0, v4
	s_or_b64 s[26:27], s[26:27], vcc
                                        ; implicit-def: $vgpr50
	s_and_saveexec_b64 vcc, s[26:27]
	s_xor_b64 s[26:27], exec, vcc
; %bb.1688:                             ;   in Loop: Header=BB2_1504 Depth=3
	v_min_i32_e32 v3, 31, v4
	v_lshl_or_b32 v3, v3, 2, v49
	v_and_or_b32 v50, v2, 3, v3
                                        ; implicit-def: $vgpr49
; %bb.1689:                             ;   in Loop: Header=BB2_1504 Depth=3
	s_andn2_saveexec_b64 s[26:27], s[26:27]
; %bb.1690:                             ;   in Loop: Header=BB2_1504 Depth=3
	v_mov_b32_e32 v50, v49
; %bb.1691:                             ;   in Loop: Header=BB2_1504 Depth=3
	s_or_b64 exec, exec, s[26:27]
.LBB2_1692:                             ;   in Loop: Header=BB2_1504 Depth=3
	s_or_b64 exec, exec, s[36:37]
                                        ; implicit-def: $vgpr49
.LBB2_1693:                             ;   in Loop: Header=BB2_1504 Depth=3
	s_andn2_saveexec_b64 s[26:27], s[34:35]
; %bb.1694:                             ;   in Loop: Header=BB2_1504 Depth=3
	v_or_b32_e32 v50, 0x7b, v49
; %bb.1695:                             ;   in Loop: Header=BB2_1504 Depth=3
	s_or_b64 exec, exec, s[26:27]
                                        ; implicit-def: $vgpr2
.LBB2_1696:                             ;   in Loop: Header=BB2_1504 Depth=3
	s_andn2_saveexec_b64 s[26:27], s[30:31]
	s_cbranch_execz .LBB2_1702
; %bb.1697:                             ;   in Loop: Header=BB2_1504 Depth=3
	v_cmp_ne_u64_e32 vcc, 0, v[28:29]
                                        ; implicit-def: $vgpr50
	s_and_saveexec_b64 s[30:31], vcc
	s_xor_b64 vcc, exec, s[30:31]
; %bb.1698:                             ;   in Loop: Header=BB2_1504 Depth=3
	v_or_b32_sdwa v50, v2, s47 dst_sel:DWORD dst_unused:UNUSED_PAD src0_sel:BYTE_3 src1_sel:DWORD
                                        ; implicit-def: $vgpr2
; %bb.1699:                             ;   in Loop: Header=BB2_1504 Depth=3
	s_andn2_saveexec_b64 s[30:31], vcc
; %bb.1700:                             ;   in Loop: Header=BB2_1504 Depth=3
	v_cmp_lt_i32_e32 vcc, -1, v2
	v_cndmask_b32_e32 v50, -4, v22, vcc
; %bb.1701:                             ;   in Loop: Header=BB2_1504 Depth=3
	s_or_b64 exec, exec, s[30:31]
.LBB2_1702:                             ;   in Loop: Header=BB2_1504 Depth=3
	s_or_b64 exec, exec, s[26:27]
	flat_load_sbyte v2, v[8:9] offset:384 glc slc
	v_mov_b32_e32 v3, 0
	s_waitcnt vmcnt(0) lgkmcnt(0)
	v_cmp_ne_u16_e32 vcc, 0, v2
	s_and_saveexec_b64 s[26:27], vcc
	s_cbranch_execz .LBB2_1710
; %bb.1703:                             ;   in Loop: Header=BB2_1504 Depth=3
	v_cmp_ne_u16_e32 vcc, s97, v2
	v_bfrev_b32_e32 v3, 1
	s_and_saveexec_b64 s[30:31], vcc
	s_cbranch_execz .LBB2_1709
; %bb.1704:                             ;   in Loop: Header=BB2_1504 Depth=3
	v_and_b32_e32 v3, 0x7c, v2
	v_and_b32_e32 v4, 3, v2
	v_cmp_ne_u32_e32 vcc, s85, v3
                                        ; implicit-def: $vgpr3
	s_and_saveexec_b64 s[34:35], vcc
	s_xor_b64 s[34:35], exec, s[34:35]
	s_cbranch_execz .LBB2_1706
; %bb.1705:                             ;   in Loop: Header=BB2_1504 Depth=3
	v_ffbh_u32_e32 v38, v4
	v_min_u32_e32 v49, 32, v38
	v_and_b32_e32 v28, 0xff, v2
	v_mov_b32_e32 v3, v29
	v_subrev_u32_e32 v38, 29, v49
	v_bfe_u32 v28, v28, 2, 5
	v_lshlrev_b64 v[38:39], v38, v[2:3]
	v_sub_u32_e32 v3, 30, v49
	v_cmp_eq_u32_e32 vcc, 0, v28
	v_and_b32_e32 v38, 3, v38
	v_cndmask_b32_e32 v3, v28, v3, vcc
	v_and_b32_sdwa v2, sext(v2), s86 dst_sel:DWORD dst_unused:UNUSED_PAD src0_sel:WORD_0 src1_sel:DWORD
	v_cndmask_b32_e32 v4, v4, v38, vcc
	v_lshl_add_u32 v2, v3, 23, v2
	v_lshl_or_b32 v2, v4, 21, v2
	v_add_u32_e32 v3, 0x38000000, v2
                                        ; implicit-def: $vgpr4
                                        ; implicit-def: $vgpr2
.LBB2_1706:                             ;   in Loop: Header=BB2_1504 Depth=3
	s_andn2_saveexec_b64 s[34:35], s[34:35]
; %bb.1707:                             ;   in Loop: Header=BB2_1504 Depth=3
	v_cmp_lt_i16_e32 vcc, -1, v2
	v_cndmask_b32_e32 v2, v7, v0, vcc
	v_cmp_eq_u32_e32 vcc, 0, v4
	v_cndmask_b32_e32 v3, v35, v2, vcc
; %bb.1708:                             ;   in Loop: Header=BB2_1504 Depth=3
	s_or_b64 exec, exec, s[34:35]
.LBB2_1709:                             ;   in Loop: Header=BB2_1504 Depth=3
	s_or_b64 exec, exec, s[30:31]
.LBB2_1710:                             ;   in Loop: Header=BB2_1504 Depth=3
	s_or_b64 exec, exec, s[26:27]
	v_mul_f32_e32 v2, v30, v3
	v_and_b32_e32 v3, 0x7f800000, v2
	v_mov_b32_e32 v4, v29
	v_cmp_ne_u64_e32 vcc, s[76:77], v[3:4]
	v_and_b32_e32 v28, 0x7fffff, v2
                                        ; implicit-def: $vgpr49
	s_and_saveexec_b64 s[26:27], vcc
	s_xor_b64 s[30:31], exec, s[26:27]
	s_cbranch_execz .LBB2_1728
; %bb.1711:                             ;   in Loop: Header=BB2_1504 Depth=3
	v_and_b32_e32 v3, 0x7fffffff, v2
	v_mov_b32_e32 v4, v29
	v_cmp_gt_u64_e32 vcc, s[78:79], v[3:4]
	v_and_b32_sdwa v51, v2, s96 dst_sel:DWORD dst_unused:UNUSED_PAD src0_sel:BYTE_3 src1_sel:DWORD
                                        ; implicit-def: $vgpr49
	s_and_saveexec_b64 s[26:27], vcc
	s_xor_b64 s[34:35], exec, s[26:27]
	s_cbranch_execz .LBB2_1725
; %bb.1712:                             ;   in Loop: Header=BB2_1504 Depth=3
	v_cmp_ne_u32_e32 vcc, 0, v2
	v_mov_b32_e32 v49, 0
	s_and_saveexec_b64 s[36:37], vcc
	s_cbranch_execz .LBB2_1724
; %bb.1713:                             ;   in Loop: Header=BB2_1504 Depth=3
	v_bfe_u32 v49, v2, 23, 8
	v_cmp_gt_u32_e64 s[26:27], s46, v49
	v_sub_u32_e32 v2, 0x71, v49
	v_cmp_eq_u32_e32 vcc, 0, v49
	v_cndmask_b32_e64 v2, 0, v2, s[26:27]
	v_mov_b32_e32 v4, 0x70
	v_cndmask_b32_e32 v52, v2, v4, vcc
	v_add_u32_e32 v4, 21, v52
	v_or_b32_e32 v3, 0x800000, v28
	v_lshlrev_b64 v[38:39], v4, -1
	v_cndmask_b32_e32 v2, v3, v28, vcc
	v_mov_b32_e32 v3, v29
	v_add_u32_e32 v4, 20, v52
	v_bfi_b32 v38, v38, 0, v2
	v_lshlrev_b64 v[42:43], v4, 1
	v_lshrrev_b64 v[2:3], v52, v[2:3]
	v_bfi_b32 v39, v39, 0, 0
	v_cmp_eq_u64_e64 s[26:27], v[38:39], v[42:43]
	v_mov_b32_e32 v4, v3
	v_mov_b32_e32 v3, v2
	s_and_saveexec_b64 s[38:39], s[26:27]
; %bb.1714:                             ;   in Loop: Header=BB2_1504 Depth=3
	v_bfe_u32 v3, v2, 21, 1
	v_add_co_u32_e64 v3, s[26:27], v2, v3
	v_add_co_u32_e64 v3, s[26:27], -1, v3
; %bb.1715:                             ;   in Loop: Header=BB2_1504 Depth=3
	s_or_b64 exec, exec, s[38:39]
	v_add_u32_e32 v4, 0xffffff81, v49
	v_cndmask_b32_e32 v4, v4, v1, vcc
	v_lshrrev_b32_e32 v28, 23, v2
	v_add3_u32 v52, v52, v4, v28
	v_add_u32_e32 v49, 14, v52
	v_and_b32_e32 v3, 0x1fffff, v3
	v_add_u32_e32 v28, v3, v2
	v_cmp_ne_u32_e32 vcc, 0, v49
                                        ; implicit-def: $vgpr2_vgpr3
                                        ; implicit-def: $vgpr4
	s_and_saveexec_b64 s[26:27], vcc
	s_xor_b64 s[26:27], exec, s[26:27]
; %bb.1716:                             ;   in Loop: Header=BB2_1504 Depth=3
	v_cmp_lt_u64_e32 vcc, s[88:89], v[28:29]
	v_add_u32_e32 v2, 15, v52
	v_cndmask_b32_e32 v4, v49, v2, vcc
	v_cndmask_b32_e64 v2, 0, 1, vcc
	v_lshrrev_b64 v[2:3], v2, v[28:29]
; %bb.1717:                             ;   in Loop: Header=BB2_1504 Depth=3
	s_andn2_saveexec_b64 s[26:27], s[26:27]
; %bb.1718:                             ;   in Loop: Header=BB2_1504 Depth=3
	v_mov_b32_e32 v2, v28
	v_mov_b32_e32 v3, v29
	v_bfe_u32 v4, v28, 23, 1
; %bb.1719:                             ;   in Loop: Header=BB2_1504 Depth=3
	s_or_b64 exec, exec, s[26:27]
	v_lshrrev_b64 v[2:3], 21, v[2:3]
	v_cmp_gt_i32_e32 vcc, 32, v4
	v_cndmask_b32_e32 v3, 0, v3, vcc
	v_cndmask_b32_e32 v2, 3, v2, vcc
	v_cmp_ne_u64_e32 vcc, 0, v[2:3]
	v_cmp_ne_u32_e64 s[26:27], 0, v4
	s_or_b64 s[26:27], s[26:27], vcc
                                        ; implicit-def: $vgpr49
	s_and_saveexec_b64 vcc, s[26:27]
	s_xor_b64 s[26:27], exec, vcc
; %bb.1720:                             ;   in Loop: Header=BB2_1504 Depth=3
	v_min_i32_e32 v3, 31, v4
	v_lshl_or_b32 v3, v3, 2, v51
	v_and_or_b32 v49, v2, 3, v3
                                        ; implicit-def: $vgpr51
; %bb.1721:                             ;   in Loop: Header=BB2_1504 Depth=3
	s_andn2_saveexec_b64 s[26:27], s[26:27]
; %bb.1722:                             ;   in Loop: Header=BB2_1504 Depth=3
	v_mov_b32_e32 v49, v51
; %bb.1723:                             ;   in Loop: Header=BB2_1504 Depth=3
	s_or_b64 exec, exec, s[26:27]
.LBB2_1724:                             ;   in Loop: Header=BB2_1504 Depth=3
	s_or_b64 exec, exec, s[36:37]
                                        ; implicit-def: $vgpr51
.LBB2_1725:                             ;   in Loop: Header=BB2_1504 Depth=3
	s_andn2_saveexec_b64 s[26:27], s[34:35]
; %bb.1726:                             ;   in Loop: Header=BB2_1504 Depth=3
	v_or_b32_e32 v49, 0x7b, v51
; %bb.1727:                             ;   in Loop: Header=BB2_1504 Depth=3
	s_or_b64 exec, exec, s[26:27]
                                        ; implicit-def: $vgpr2
.LBB2_1728:                             ;   in Loop: Header=BB2_1504 Depth=3
	s_andn2_saveexec_b64 s[26:27], s[30:31]
	s_cbranch_execz .LBB2_1734
; %bb.1729:                             ;   in Loop: Header=BB2_1504 Depth=3
	v_cmp_ne_u64_e32 vcc, 0, v[28:29]
                                        ; implicit-def: $vgpr49
	s_and_saveexec_b64 s[30:31], vcc
	s_xor_b64 vcc, exec, s[30:31]
; %bb.1730:                             ;   in Loop: Header=BB2_1504 Depth=3
	v_or_b32_sdwa v49, v2, s47 dst_sel:DWORD dst_unused:UNUSED_PAD src0_sel:BYTE_3 src1_sel:DWORD
                                        ; implicit-def: $vgpr2
; %bb.1731:                             ;   in Loop: Header=BB2_1504 Depth=3
	s_andn2_saveexec_b64 s[30:31], vcc
; %bb.1732:                             ;   in Loop: Header=BB2_1504 Depth=3
	v_cmp_lt_i32_e32 vcc, -1, v2
	v_cndmask_b32_e32 v49, -4, v22, vcc
; %bb.1733:                             ;   in Loop: Header=BB2_1504 Depth=3
	s_or_b64 exec, exec, s[30:31]
.LBB2_1734:                             ;   in Loop: Header=BB2_1504 Depth=3
	s_or_b64 exec, exec, s[26:27]
	flat_load_sbyte v2, v[8:9] offset:448 glc slc
	v_mov_b32_e32 v3, 0
	s_waitcnt vmcnt(0) lgkmcnt(0)
	v_cmp_ne_u16_e32 vcc, 0, v2
	s_and_saveexec_b64 s[26:27], vcc
	s_cbranch_execz .LBB2_1742
; %bb.1735:                             ;   in Loop: Header=BB2_1504 Depth=3
	v_cmp_ne_u16_e32 vcc, s97, v2
	v_bfrev_b32_e32 v3, 1
	s_and_saveexec_b64 s[30:31], vcc
	s_cbranch_execz .LBB2_1741
; %bb.1736:                             ;   in Loop: Header=BB2_1504 Depth=3
	v_and_b32_e32 v3, 0x7c, v2
	v_and_b32_e32 v4, 3, v2
	v_cmp_ne_u32_e32 vcc, s85, v3
                                        ; implicit-def: $vgpr3
	s_and_saveexec_b64 s[34:35], vcc
	s_xor_b64 s[34:35], exec, s[34:35]
	s_cbranch_execz .LBB2_1738
; %bb.1737:                             ;   in Loop: Header=BB2_1504 Depth=3
	v_and_b32_e32 v8, 0xff, v2
	v_bfe_u32 v28, v8, 2, 5
	v_ffbh_u32_e32 v8, v4
	v_min_u32_e32 v38, 32, v8
	v_mov_b32_e32 v3, v29
	v_subrev_u32_e32 v8, 29, v38
	v_lshlrev_b64 v[8:9], v8, v[2:3]
	v_sub_u32_e32 v3, 30, v38
	v_cmp_eq_u32_e32 vcc, 0, v28
	v_and_b32_e32 v8, 3, v8
	v_cndmask_b32_e32 v3, v28, v3, vcc
	v_and_b32_sdwa v2, sext(v2), s86 dst_sel:DWORD dst_unused:UNUSED_PAD src0_sel:WORD_0 src1_sel:DWORD
	v_cndmask_b32_e32 v4, v4, v8, vcc
	v_lshl_add_u32 v2, v3, 23, v2
	v_lshl_or_b32 v2, v4, 21, v2
	v_add_u32_e32 v3, 0x38000000, v2
                                        ; implicit-def: $vgpr4
                                        ; implicit-def: $vgpr2
.LBB2_1738:                             ;   in Loop: Header=BB2_1504 Depth=3
	s_andn2_saveexec_b64 s[34:35], s[34:35]
; %bb.1739:                             ;   in Loop: Header=BB2_1504 Depth=3
	v_cmp_lt_i16_e32 vcc, -1, v2
	v_cndmask_b32_e32 v2, v7, v0, vcc
	v_cmp_eq_u32_e32 vcc, 0, v4
	v_cndmask_b32_e32 v3, v35, v2, vcc
; %bb.1740:                             ;   in Loop: Header=BB2_1504 Depth=3
	s_or_b64 exec, exec, s[34:35]
.LBB2_1741:                             ;   in Loop: Header=BB2_1504 Depth=3
	s_or_b64 exec, exec, s[30:31]
.LBB2_1742:                             ;   in Loop: Header=BB2_1504 Depth=3
	s_or_b64 exec, exec, s[26:27]
	v_mul_f32_e32 v2, v30, v3
	v_and_b32_e32 v3, 0x7f800000, v2
	v_mov_b32_e32 v4, v29
	v_cmp_ne_u64_e32 vcc, s[76:77], v[3:4]
	v_and_b32_e32 v28, 0x7fffff, v2
                                        ; implicit-def: $vgpr3
	s_and_saveexec_b64 s[26:27], vcc
	s_xor_b64 s[30:31], exec, s[26:27]
	s_cbranch_execz .LBB2_1760
; %bb.1743:                             ;   in Loop: Header=BB2_1504 Depth=3
	v_and_b32_e32 v3, 0x7fffffff, v2
	v_mov_b32_e32 v4, v29
	v_cmp_gt_u64_e32 vcc, s[78:79], v[3:4]
	v_and_b32_sdwa v8, v2, s96 dst_sel:DWORD dst_unused:UNUSED_PAD src0_sel:BYTE_3 src1_sel:DWORD
                                        ; implicit-def: $vgpr3
	s_and_saveexec_b64 s[26:27], vcc
	s_xor_b64 s[34:35], exec, s[26:27]
	s_cbranch_execz .LBB2_1757
; %bb.1744:                             ;   in Loop: Header=BB2_1504 Depth=3
	v_cmp_ne_u32_e32 vcc, 0, v2
	v_mov_b32_e32 v3, 0
	s_and_saveexec_b64 s[36:37], vcc
	s_cbranch_execz .LBB2_1756
; %bb.1745:                             ;   in Loop: Header=BB2_1504 Depth=3
	v_bfe_u32 v9, v2, 23, 8
	v_cmp_gt_u32_e64 s[26:27], s46, v9
	v_sub_u32_e32 v2, 0x71, v9
	v_cmp_eq_u32_e32 vcc, 0, v9
	v_cndmask_b32_e64 v2, 0, v2, s[26:27]
	v_mov_b32_e32 v4, 0x70
	v_cndmask_b32_e32 v30, v2, v4, vcc
	v_add_u32_e32 v4, 21, v30
	v_or_b32_e32 v3, 0x800000, v28
	v_lshlrev_b64 v[38:39], v4, -1
	v_cndmask_b32_e32 v2, v3, v28, vcc
	v_mov_b32_e32 v3, v29
	v_add_u32_e32 v4, 20, v30
	v_bfi_b32 v38, v38, 0, v2
	v_lshlrev_b64 v[51:52], v4, 1
	v_lshrrev_b64 v[2:3], v30, v[2:3]
	v_bfi_b32 v39, v39, 0, 0
	v_cmp_eq_u64_e64 s[26:27], v[38:39], v[51:52]
	v_mov_b32_e32 v4, v3
	v_mov_b32_e32 v3, v2
	s_and_saveexec_b64 s[38:39], s[26:27]
; %bb.1746:                             ;   in Loop: Header=BB2_1504 Depth=3
	v_bfe_u32 v3, v2, 21, 1
	v_add_co_u32_e64 v3, s[26:27], v2, v3
	v_add_co_u32_e64 v3, s[26:27], -1, v3
; %bb.1747:                             ;   in Loop: Header=BB2_1504 Depth=3
	s_or_b64 exec, exec, s[38:39]
	v_add_u32_e32 v4, 0xffffff81, v9
	v_cndmask_b32_e32 v4, v4, v1, vcc
	v_lshrrev_b32_e32 v9, 23, v2
	v_add3_u32 v30, v30, v4, v9
	v_add_u32_e32 v9, 14, v30
	v_and_b32_e32 v3, 0x1fffff, v3
	v_add_u32_e32 v28, v3, v2
	v_cmp_ne_u32_e32 vcc, 0, v9
                                        ; implicit-def: $vgpr2_vgpr3
                                        ; implicit-def: $vgpr4
	s_and_saveexec_b64 s[26:27], vcc
	s_xor_b64 s[26:27], exec, s[26:27]
; %bb.1748:                             ;   in Loop: Header=BB2_1504 Depth=3
	v_cmp_lt_u64_e32 vcc, s[88:89], v[28:29]
	v_add_u32_e32 v2, 15, v30
	v_cndmask_b32_e32 v4, v9, v2, vcc
	v_cndmask_b32_e64 v2, 0, 1, vcc
	v_lshrrev_b64 v[2:3], v2, v[28:29]
; %bb.1749:                             ;   in Loop: Header=BB2_1504 Depth=3
	s_andn2_saveexec_b64 s[26:27], s[26:27]
; %bb.1750:                             ;   in Loop: Header=BB2_1504 Depth=3
	v_mov_b32_e32 v2, v28
	v_mov_b32_e32 v3, v29
	v_bfe_u32 v4, v28, 23, 1
; %bb.1751:                             ;   in Loop: Header=BB2_1504 Depth=3
	s_or_b64 exec, exec, s[26:27]
	v_lshrrev_b64 v[2:3], 21, v[2:3]
	v_cmp_gt_i32_e32 vcc, 32, v4
	v_cndmask_b32_e32 v3, 0, v3, vcc
	v_cndmask_b32_e32 v2, 3, v2, vcc
	v_cmp_ne_u64_e32 vcc, 0, v[2:3]
	v_cmp_ne_u32_e64 s[26:27], 0, v4
	s_or_b64 s[26:27], s[26:27], vcc
                                        ; implicit-def: $vgpr3
	s_and_saveexec_b64 vcc, s[26:27]
	s_xor_b64 s[26:27], exec, vcc
; %bb.1752:                             ;   in Loop: Header=BB2_1504 Depth=3
	v_min_i32_e32 v3, 31, v4
	v_lshl_or_b32 v3, v3, 2, v8
	v_and_or_b32 v3, v2, 3, v3
                                        ; implicit-def: $vgpr8
; %bb.1753:                             ;   in Loop: Header=BB2_1504 Depth=3
	s_andn2_saveexec_b64 s[26:27], s[26:27]
; %bb.1754:                             ;   in Loop: Header=BB2_1504 Depth=3
	v_mov_b32_e32 v3, v8
; %bb.1755:                             ;   in Loop: Header=BB2_1504 Depth=3
	s_or_b64 exec, exec, s[26:27]
.LBB2_1756:                             ;   in Loop: Header=BB2_1504 Depth=3
	s_or_b64 exec, exec, s[36:37]
                                        ; implicit-def: $vgpr8
.LBB2_1757:                             ;   in Loop: Header=BB2_1504 Depth=3
	s_andn2_saveexec_b64 s[26:27], s[34:35]
; %bb.1758:                             ;   in Loop: Header=BB2_1504 Depth=3
	v_or_b32_e32 v3, 0x7b, v8
; %bb.1759:                             ;   in Loop: Header=BB2_1504 Depth=3
	s_or_b64 exec, exec, s[26:27]
                                        ; implicit-def: $vgpr2
.LBB2_1760:                             ;   in Loop: Header=BB2_1504 Depth=3
	s_andn2_saveexec_b64 s[26:27], s[30:31]
	s_cbranch_execz .LBB2_1503
; %bb.1761:                             ;   in Loop: Header=BB2_1504 Depth=3
	v_cmp_ne_u64_e32 vcc, 0, v[28:29]
                                        ; implicit-def: $vgpr3
	s_and_saveexec_b64 s[30:31], vcc
	s_xor_b64 vcc, exec, s[30:31]
; %bb.1762:                             ;   in Loop: Header=BB2_1504 Depth=3
	v_or_b32_sdwa v3, v2, s47 dst_sel:DWORD dst_unused:UNUSED_PAD src0_sel:BYTE_3 src1_sel:DWORD
                                        ; implicit-def: $vgpr2
; %bb.1763:                             ;   in Loop: Header=BB2_1504 Depth=3
	s_andn2_saveexec_b64 s[30:31], vcc
	s_cbranch_execz .LBB2_1502
; %bb.1764:                             ;   in Loop: Header=BB2_1504 Depth=3
	v_cmp_lt_i32_e32 vcc, -1, v2
	v_cndmask_b32_e32 v3, -4, v22, vcc
	s_branch .LBB2_1502
.LBB2_1765:                             ;   in Loop: Header=BB2_57 Depth=2
	s_or_b64 exec, exec, s[94:95]
.LBB2_1766:                             ;   in Loop: Header=BB2_57 Depth=2
	s_or_b64 exec, exec, s[40:41]
	v_lshlrev_b32_e32 v2, 9, v17
	v_cmp_ne_u32_e32 vcc, v11, v2
	s_and_b64 exec, exec, vcc
	s_cbranch_execz .LBB2_1808
; %bb.1767:                             ;   in Loop: Header=BB2_57 Depth=2
	v_lshlrev_b32_e32 v3, 6, v5
	v_sub_u32_e32 v3, v14, v3
	v_lshlrev_b32_e32 v4, 6, v16
	v_sub_u32_e32 v3, v3, v4
	v_add_u32_e32 v2, v2, v3
	v_sub_u32_e32 v14, v11, v2
	v_cmp_lt_i32_e32 vcc, 0, v14
	s_and_b64 exec, exec, vcc
	s_cbranch_execz .LBB2_1808
; %bb.1768:                             ;   in Loop: Header=BB2_57 Depth=2
	s_trap 2
	ds_read_b64 v[4:5], v0
	v_add_u32_e32 v16, v2, v10
	v_ashrrev_i32_e32 v17, 31, v16
	s_mov_b64 s[40:41], 0
	s_branch .LBB2_1771
.LBB2_1769:                             ;   in Loop: Header=BB2_1771 Depth=3
	s_or_b64 exec, exec, s[94:95]
.LBB2_1770:                             ;   in Loop: Header=BB2_1771 Depth=3
	s_or_b64 exec, exec, s[26:27]
	buffer_load_dword v2, off, s[0:3], s33 offset:64 ; 4-byte Folded Reload
	s_waitcnt vmcnt(0)
	v_sub_u32_e32 v14, v14, v2
	v_cmp_gt_i32_e32 vcc, 1, v14
	s_or_b64 s[40:41], vcc, s[40:41]
	v_add_co_u32_e32 v16, vcc, v16, v2
	v_addc_co_u32_e32 v17, vcc, 0, v17, vcc
	flat_store_byte v[8:9], v3 glc slc
	s_andn2_b64 exec, exec, s[40:41]
	s_cbranch_execz .LBB2_1808
.LBB2_1771:                             ;   Parent Loop BB2_47 Depth=1
                                        ;     Parent Loop BB2_57 Depth=2
                                        ; =>    This Inner Loop Header: Depth=3
	s_trap 2
	ds_read_b64 v[2:3], v0
	v_mov_b32_e32 v10, 0
	s_waitcnt lgkmcnt(0)
	v_cmp_eq_u32_sdwa s[94:95], v2, v29 src0_sel:BYTE_0 src1_sel:DWORD
	v_readfirstlane_b32 s26, v2
	v_readfirstlane_b32 s27, v3
	v_mov_b32_e32 v3, 0
	s_and_b64 vcc, exec, s[94:95]
	s_cbranch_vccnz .LBB2_1777
; %bb.1772:                             ;   in Loop: Header=BB2_1771 Depth=3
	s_bfe_i32 vcc_lo, s26, 0x80000
	s_and_b32 s94, 0xffff, vcc_lo
	s_cmpk_eq_u32 s94, 0xff80
	v_bfrev_b32_e32 v10, 1
	s_cbranch_scc1 .LBB2_1777
; %bb.1773:                             ;   in Loop: Header=BB2_1771 Depth=3
	s_and_b32 s30, s26, 3
	s_and_b32 vcc_hi, s26, 0x7c
	s_mov_b64 s[94:95], -1
	s_cmpk_lg_i32 vcc_hi, 0x7c
	s_sext_i32_i16 s31, vcc_lo
                                        ; implicit-def: $sgpr34
	s_cbranch_scc0 .LBB2_1775
; %bb.1774:                             ;   in Loop: Header=BB2_1771 Depth=3
	s_flbit_i32_b32 s95, s30
	s_min_u32 s95, s95, 32
	s_sub_i32 vcc_lo, s95, 29
	s_bfe_u32 s94, s26, 0x50002
	s_lshl_b64 s[26:27], s[26:27], vcc_lo
	s_sub_i32 s27, 30, s95
	s_and_b32 s26, s26, 3
	s_cmp_eq_u32 s94, 0
	s_cselect_b32 s27, s27, s94
	s_cselect_b32 s26, s26, s30
	s_and_b32 s94, s31, 0x80000000
	s_lshl_b32 s27, s27, 23
	s_add_i32 s27, s27, s94
	s_lshl_b32 s26, s26, 21
	s_or_b32 s26, s27, s26
	s_add_i32 s34, s26, 0x38000000
	s_mov_b64 s[94:95], 0
.LBB2_1775:                             ;   in Loop: Header=BB2_1771 Depth=3
	s_andn2_b64 vcc, exec, s[94:95]
	v_mov_b32_e32 v10, s34
	s_cbranch_vccnz .LBB2_1777
; %bb.1776:                             ;   in Loop: Header=BB2_1771 Depth=3
	s_cmp_eq_u32 s30, 0
	s_cselect_b64 vcc, -1, 0
	s_cmp_gt_i32 s31, -1
	s_cselect_b64 s[26:27], -1, 0
	v_cndmask_b32_e64 v2, v7, v0, s[26:27]
	v_cndmask_b32_e32 v10, v35, v2, vcc
.LBB2_1777:                             ;   in Loop: Header=BB2_1771 Depth=3
	v_add_co_u32_e32 v8, vcc, v4, v16
	v_addc_co_u32_e32 v9, vcc, v5, v17, vcc
	flat_load_sbyte v2, v[8:9] glc slc
	s_waitcnt vmcnt(0) lgkmcnt(0)
	v_cmp_ne_u16_e32 vcc, 0, v2
	s_and_saveexec_b64 s[26:27], vcc
	s_cbranch_execz .LBB2_1785
; %bb.1778:                             ;   in Loop: Header=BB2_1771 Depth=3
	v_cmp_ne_u16_e32 vcc, s97, v2
	v_bfrev_b32_e32 v3, 1
	s_and_saveexec_b64 s[94:95], vcc
	s_cbranch_execz .LBB2_1784
; %bb.1779:                             ;   in Loop: Header=BB2_1771 Depth=3
	v_and_b32_e32 v3, 0x7c, v2
	v_and_b32_e32 v11, 3, v2
	v_cmp_ne_u32_e32 vcc, s85, v3
                                        ; implicit-def: $vgpr3
	s_and_saveexec_b64 s[30:31], vcc
	s_xor_b64 s[30:31], exec, s[30:31]
	s_cbranch_execz .LBB2_1781
; %bb.1780:                             ;   in Loop: Header=BB2_1771 Depth=3
	v_and_b32_e32 v18, 0xff, v2
	v_bfe_u32 v23, v18, 2, 5
	v_ffbh_u32_e32 v18, v11
	v_min_u32_e32 v28, 32, v18
	v_mov_b32_e32 v3, v29
	v_subrev_u32_e32 v18, 29, v28
	v_lshlrev_b64 v[18:19], v18, v[2:3]
	v_sub_u32_e32 v3, 30, v28
	v_cmp_eq_u32_e32 vcc, 0, v23
	v_and_b32_e32 v18, 3, v18
	v_cndmask_b32_e32 v3, v23, v3, vcc
	v_and_b32_sdwa v2, sext(v2), s86 dst_sel:DWORD dst_unused:UNUSED_PAD src0_sel:WORD_0 src1_sel:DWORD
	v_cndmask_b32_e32 v11, v11, v18, vcc
	v_lshl_add_u32 v2, v3, 23, v2
	v_lshl_or_b32 v2, v11, 21, v2
	v_add_u32_e32 v3, 0x38000000, v2
                                        ; implicit-def: $vgpr11
                                        ; implicit-def: $vgpr2
.LBB2_1781:                             ;   in Loop: Header=BB2_1771 Depth=3
	s_andn2_saveexec_b64 s[30:31], s[30:31]
; %bb.1782:                             ;   in Loop: Header=BB2_1771 Depth=3
	v_cmp_lt_i16_e32 vcc, -1, v2
	v_cndmask_b32_e32 v2, v7, v0, vcc
	v_cmp_eq_u32_e32 vcc, 0, v11
	v_cndmask_b32_e32 v3, v35, v2, vcc
; %bb.1783:                             ;   in Loop: Header=BB2_1771 Depth=3
	s_or_b64 exec, exec, s[30:31]
.LBB2_1784:                             ;   in Loop: Header=BB2_1771 Depth=3
	s_or_b64 exec, exec, s[94:95]
.LBB2_1785:                             ;   in Loop: Header=BB2_1771 Depth=3
	s_or_b64 exec, exec, s[26:27]
	v_mul_f32_e32 v2, v10, v3
	v_and_b32_e32 v10, 0x7f800000, v2
	v_mov_b32_e32 v11, v29
	v_cmp_ne_u64_e32 vcc, s[76:77], v[10:11]
	v_and_b32_e32 v28, 0x7fffff, v2
                                        ; implicit-def: $vgpr3
	s_and_saveexec_b64 s[26:27], vcc
	s_xor_b64 s[94:95], exec, s[26:27]
	s_cbranch_execz .LBB2_1803
; %bb.1786:                             ;   in Loop: Header=BB2_1771 Depth=3
	v_and_b32_e32 v10, 0x7fffffff, v2
	v_mov_b32_e32 v11, v29
	v_cmp_gt_u64_e32 vcc, s[78:79], v[10:11]
	v_and_b32_sdwa v18, v2, s96 dst_sel:DWORD dst_unused:UNUSED_PAD src0_sel:BYTE_3 src1_sel:DWORD
                                        ; implicit-def: $vgpr3
	s_and_saveexec_b64 s[26:27], vcc
	s_xor_b64 s[30:31], exec, s[26:27]
	s_cbranch_execz .LBB2_1800
; %bb.1787:                             ;   in Loop: Header=BB2_1771 Depth=3
	v_cmp_ne_u32_e32 vcc, 0, v2
	v_mov_b32_e32 v3, 0
	s_and_saveexec_b64 s[34:35], vcc
	s_cbranch_execz .LBB2_1799
; %bb.1788:                             ;   in Loop: Header=BB2_1771 Depth=3
	v_bfe_u32 v19, v2, 23, 8
	v_cmp_gt_u32_e64 s[26:27], s46, v19
	v_sub_u32_e32 v2, 0x71, v19
	v_cmp_eq_u32_e32 vcc, 0, v19
	v_cndmask_b32_e64 v2, 0, v2, s[26:27]
	v_mov_b32_e32 v10, 0x70
	v_cndmask_b32_e32 v23, v2, v10, vcc
	v_add_u32_e32 v10, 21, v23
	v_or_b32_e32 v3, 0x800000, v28
	v_lshlrev_b64 v[10:11], v10, -1
	v_cndmask_b32_e32 v2, v3, v28, vcc
	v_mov_b32_e32 v3, v29
	v_add_u32_e32 v28, 20, v23
	v_bfi_b32 v10, v10, 0, v2
	v_lshlrev_b64 v[30:31], v28, 1
	v_lshrrev_b64 v[2:3], v23, v[2:3]
	v_bfi_b32 v11, v11, 0, 0
	v_cmp_eq_u64_e64 s[26:27], v[10:11], v[30:31]
	v_mov_b32_e32 v11, v3
	v_mov_b32_e32 v10, v2
	s_and_saveexec_b64 s[36:37], s[26:27]
; %bb.1789:                             ;   in Loop: Header=BB2_1771 Depth=3
	v_bfe_u32 v3, v2, 21, 1
	v_add_co_u32_e64 v3, s[26:27], v2, v3
	v_add_co_u32_e64 v10, s[26:27], -1, v3
; %bb.1790:                             ;   in Loop: Header=BB2_1771 Depth=3
	s_or_b64 exec, exec, s[36:37]
	v_add_u32_e32 v3, 0xffffff81, v19
	v_cndmask_b32_e32 v3, v3, v1, vcc
	v_lshrrev_b32_e32 v11, 23, v2
	v_add3_u32 v19, v23, v3, v11
	v_add_u32_e32 v11, 14, v19
	v_and_b32_e32 v3, 0x1fffff, v10
	v_add_u32_e32 v28, v3, v2
	v_cmp_ne_u32_e32 vcc, 0, v11
                                        ; implicit-def: $vgpr2_vgpr3
                                        ; implicit-def: $vgpr10
	s_and_saveexec_b64 s[26:27], vcc
	s_xor_b64 s[26:27], exec, s[26:27]
; %bb.1791:                             ;   in Loop: Header=BB2_1771 Depth=3
	v_cmp_lt_u64_e32 vcc, s[88:89], v[28:29]
	v_add_u32_e32 v2, 15, v19
	v_cndmask_b32_e32 v10, v11, v2, vcc
	v_cndmask_b32_e64 v2, 0, 1, vcc
	v_lshrrev_b64 v[2:3], v2, v[28:29]
; %bb.1792:                             ;   in Loop: Header=BB2_1771 Depth=3
	s_andn2_saveexec_b64 s[26:27], s[26:27]
; %bb.1793:                             ;   in Loop: Header=BB2_1771 Depth=3
	v_mov_b32_e32 v2, v28
	v_mov_b32_e32 v3, v29
	v_bfe_u32 v10, v28, 23, 1
; %bb.1794:                             ;   in Loop: Header=BB2_1771 Depth=3
	s_or_b64 exec, exec, s[26:27]
	v_lshrrev_b64 v[2:3], 21, v[2:3]
	v_cmp_gt_i32_e32 vcc, 32, v10
	v_cndmask_b32_e32 v3, 0, v3, vcc
	v_cndmask_b32_e32 v2, 3, v2, vcc
	v_cmp_ne_u64_e32 vcc, 0, v[2:3]
	v_cmp_ne_u32_e64 s[26:27], 0, v10
	s_or_b64 s[26:27], s[26:27], vcc
                                        ; implicit-def: $vgpr3
	s_and_saveexec_b64 vcc, s[26:27]
	s_xor_b64 s[26:27], exec, vcc
; %bb.1795:                             ;   in Loop: Header=BB2_1771 Depth=3
	v_min_i32_e32 v3, 31, v10
	v_lshl_or_b32 v3, v3, 2, v18
	v_and_or_b32 v3, v2, 3, v3
                                        ; implicit-def: $vgpr18
; %bb.1796:                             ;   in Loop: Header=BB2_1771 Depth=3
	s_andn2_saveexec_b64 s[26:27], s[26:27]
; %bb.1797:                             ;   in Loop: Header=BB2_1771 Depth=3
	v_mov_b32_e32 v3, v18
; %bb.1798:                             ;   in Loop: Header=BB2_1771 Depth=3
	s_or_b64 exec, exec, s[26:27]
.LBB2_1799:                             ;   in Loop: Header=BB2_1771 Depth=3
	s_or_b64 exec, exec, s[34:35]
                                        ; implicit-def: $vgpr18
.LBB2_1800:                             ;   in Loop: Header=BB2_1771 Depth=3
	s_andn2_saveexec_b64 s[26:27], s[30:31]
; %bb.1801:                             ;   in Loop: Header=BB2_1771 Depth=3
	v_or_b32_e32 v3, 0x7b, v18
; %bb.1802:                             ;   in Loop: Header=BB2_1771 Depth=3
	s_or_b64 exec, exec, s[26:27]
                                        ; implicit-def: $vgpr2
.LBB2_1803:                             ;   in Loop: Header=BB2_1771 Depth=3
	s_andn2_saveexec_b64 s[26:27], s[94:95]
	s_cbranch_execz .LBB2_1770
; %bb.1804:                             ;   in Loop: Header=BB2_1771 Depth=3
	v_cmp_ne_u64_e32 vcc, 0, v[28:29]
                                        ; implicit-def: $vgpr3
	s_and_saveexec_b64 s[94:95], vcc
	s_xor_b64 s[94:95], exec, s[94:95]
; %bb.1805:                             ;   in Loop: Header=BB2_1771 Depth=3
	v_or_b32_sdwa v3, v2, s47 dst_sel:DWORD dst_unused:UNUSED_PAD src0_sel:BYTE_3 src1_sel:DWORD
                                        ; implicit-def: $vgpr2
; %bb.1806:                             ;   in Loop: Header=BB2_1771 Depth=3
	s_andn2_saveexec_b64 s[94:95], s[94:95]
	s_cbranch_execz .LBB2_1769
; %bb.1807:                             ;   in Loop: Header=BB2_1771 Depth=3
	v_cmp_lt_i32_e32 vcc, -1, v2
	v_cndmask_b32_e32 v3, -4, v22, vcc
	s_branch .LBB2_1769
.LBB2_1808:                             ;   in Loop: Header=BB2_57 Depth=2
	s_or_b64 exec, exec, s[28:29]
	buffer_load_dword v2, off, s[0:3], s33 offset:248 ; 4-byte Folded Reload
	s_waitcnt vmcnt(0)
	v_cmp_lt_i32_e64 s[26:27], 0, v2
.LBB2_1809:                             ;   in Loop: Header=BB2_57 Depth=2
	buffer_load_dword v11, off, s[0:3], s33 offset:260 ; 4-byte Folded Reload
	buffer_load_dword v2, off, s[0:3], s33 offset:236 ; 4-byte Folded Reload
	buffer_load_dword v3, off, s[0:3], s33 offset:240 ; 4-byte Folded Reload
	s_waitcnt vmcnt(0)
	v_mov_b32_e32 v23, v2
	s_and_saveexec_b64 s[28:29], s[12:13]
	s_cbranch_execz .LBB2_1828
.LBB2_1810:                             ;   in Loop: Header=BB2_57 Depth=2
	s_and_saveexec_b64 s[40:41], s[58:59]
	s_xor_b64 s[40:41], exec, s[40:41]
	s_cbranch_execz .LBB2_1825
; %bb.1811:                             ;   in Loop: Header=BB2_57 Depth=2
	s_and_saveexec_b64 s[94:95], s[6:7]
	s_cbranch_execz .LBB2_1824
; %bb.1812:                             ;   in Loop: Header=BB2_57 Depth=2
	s_mov_b64 s[34:35], exec
	v_mbcnt_lo_u32_b32 v2, s34, 0
	v_mbcnt_hi_u32_b32 v2, s35, v2
	v_cmp_eq_u32_e32 vcc, 0, v2
	s_waitcnt vmcnt(0) lgkmcnt(0)
	buffer_wbinvl1_vol
	s_and_saveexec_b64 s[30:31], vcc
	s_cbranch_execz .LBB2_1814
; %bb.1813:                             ;   in Loop: Header=BB2_57 Depth=2
	s_bcnt1_i32_b64 vcc_lo, s[34:35]
	v_mov_b32_e32 v2, vcc_lo
	v_mov_b32_e32 v3, v29
	ds_add_u64 v0, v[2:3]
	s_trap 2
.LBB2_1814:                             ;   in Loop: Header=BB2_57 Depth=2
	s_or_b64 exec, exec, s[30:31]
	s_trap 2
	ds_read_b64 v[2:3], v0
	s_waitcnt lgkmcnt(0)
	v_add_co_u32_e32 v12, vcc, v12, v36
	v_addc_co_u32_e32 v13, vcc, 0, v13, vcc
	v_cmp_lt_u64_e32 vcc, v[2:3], v[12:13]
	s_and_saveexec_b64 s[30:31], vcc
	s_cbranch_execz .LBB2_1823
; %bb.1815:                             ;   in Loop: Header=BB2_57 Depth=2
	s_mov_b32 s52, 0
	s_mov_b64 s[34:35], 0
                                        ; implicit-def: $sgpr36_sgpr37
                                        ; implicit-def: $sgpr38_sgpr39
	s_branch .LBB2_1817
.LBB2_1816:                             ;   in Loop: Header=BB2_1817 Depth=3
	s_or_b64 exec, exec, s[50:51]
	s_and_b64 vcc, exec, vcc
	s_or_b64 s[34:35], vcc, s[34:35]
	s_andn2_b64 vcc, s[36:37], exec
	s_and_b64 s[36:37], s[38:39], exec
	s_or_b64 s[36:37], vcc, s[36:37]
	s_andn2_b64 exec, exec, s[34:35]
	s_cbranch_execz .LBB2_1821
.LBB2_1817:                             ;   Parent Loop BB2_47 Depth=1
                                        ;     Parent Loop BB2_57 Depth=2
                                        ; =>    This Inner Loop Header: Depth=3
	s_add_i32 s52, s52, 1
	s_cmpk_lg_i32 s52, 0x2710
	s_cselect_b64 s[48:49], -1, 0
	s_and_b64 vcc, exec, s[48:49]
	s_cbranch_vccz .LBB2_1819
; %bb.1818:                             ;   in Loop: Header=BB2_1817 Depth=3
	s_mov_b64 vcc, -1
	s_or_b64 s[38:39], s[38:39], exec
	s_and_saveexec_b64 s[50:51], s[48:49]
	s_cbranch_execz .LBB2_1816
	s_branch .LBB2_1820
.LBB2_1819:                             ;   in Loop: Header=BB2_1817 Depth=3
	s_trap 2
	ds_read_b64 v[2:3], v0
	s_andn2_b64 s[48:49], s[48:49], exec
	s_mov_b32 s52, 0
	s_waitcnt lgkmcnt(0)
	flat_load_dword v2, v[2:3] glc
	s_waitcnt vmcnt(0) lgkmcnt(0)
	buffer_wbinvl1_vol
	v_cmp_eq_u32_e32 vcc, 0, v2
	s_and_b64 vcc, vcc, exec
	s_or_b64 s[48:49], s[48:49], vcc
	s_mov_b64 vcc, -1
	s_or_b64 s[38:39], s[38:39], exec
	s_and_saveexec_b64 s[50:51], s[48:49]
	s_cbranch_execz .LBB2_1816
.LBB2_1820:                             ;   in Loop: Header=BB2_1817 Depth=3
	s_sleep 1
	s_trap 2
	ds_read_b64 v[2:3], v0
	s_waitcnt lgkmcnt(0)
	s_andn2_b64 s[38:39], s[38:39], exec
	v_cmp_ge_u64_e32 vcc, v[2:3], v[12:13]
	s_orn2_b64 vcc, vcc, exec
	s_branch .LBB2_1816
.LBB2_1821:                             ;   in Loop: Header=BB2_57 Depth=2
	s_or_b64 exec, exec, s[34:35]
	s_and_saveexec_b64 vcc, s[36:37]
	s_xor_b64 vcc, exec, vcc
	s_cbranch_execz .LBB2_1823
; %bb.1822:                             ;   in Loop: Header=BB2_57 Depth=2
	v_mov_b32_e32 v2, 1
	ds_write_b32 v0, v2
	s_trap 2
.LBB2_1823:                             ;   in Loop: Header=BB2_57 Depth=2
	s_or_b64 exec, exec, s[30:31]
	;;#ASMSTART
	s_wakeup
	;;#ASMEND
.LBB2_1824:                             ;   in Loop: Header=BB2_57 Depth=2
	s_or_b64 exec, exec, s[94:95]
.LBB2_1825:                             ;   in Loop: Header=BB2_57 Depth=2
	s_andn2_saveexec_b64 s[40:41], s[40:41]
	s_cbranch_execz .LBB2_1827
; %bb.1826:                             ;   in Loop: Header=BB2_57 Depth=2
	s_waitcnt vmcnt(0) lgkmcnt(0)
	buffer_wbinvl1_vol
	s_barrier
.LBB2_1827:                             ;   in Loop: Header=BB2_57 Depth=2
	s_or_b64 exec, exec, s[40:41]
.LBB2_1828:                             ;   in Loop: Header=BB2_57 Depth=2
	s_or_b64 exec, exec, s[28:29]
	v_and_b32_e32 v2, 16, v34
	s_and_saveexec_b64 s[28:29], s[18:19]
	s_xor_b64 s[28:29], exec, s[28:29]
	s_cbranch_execz .LBB2_1833
; %bb.1829:                             ;   in Loop: Header=BB2_57 Depth=2
	v_and_b32_e32 v3, 16, v34
	v_cmp_ne_u32_e32 vcc, 0, v3
	v_and_b32_e32 v2, 16, v34
	s_and_b64 s[40:41], vcc, s[26:27]
	s_and_saveexec_b64 s[26:27], s[40:41]
	s_cbranch_execz .LBB2_1831
; %bb.1830:                             ;   in Loop: Header=BB2_57 Depth=2
	v_mov_b32_e32 v2, 1
	s_waitcnt vmcnt(0) lgkmcnt(0)
	buffer_wbinvl1_vol
.LBB2_1831:                             ;   in Loop: Header=BB2_57 Depth=2
	s_or_b64 exec, exec, s[26:27]
	s_andn2_saveexec_b64 s[26:27], s[28:29]
	s_cbranch_execnz .LBB2_1834
.LBB2_1832:                             ;   in Loop: Header=BB2_57 Depth=2
	s_or_b64 exec, exec, s[26:27]
	v_cmp_ne_u32_e32 vcc, 0, v2
	s_and_saveexec_b64 s[26:27], vcc
	s_cbranch_execz .LBB2_56
	s_branch .LBB2_1852
.LBB2_1833:                             ;   in Loop: Header=BB2_57 Depth=2
	s_andn2_saveexec_b64 s[26:27], s[28:29]
	s_cbranch_execz .LBB2_1832
.LBB2_1834:                             ;   in Loop: Header=BB2_57 Depth=2
	s_and_saveexec_b64 s[28:29], s[58:59]
	s_xor_b64 s[28:29], exec, s[28:29]
	s_cbranch_execz .LBB2_1849
; %bb.1835:                             ;   in Loop: Header=BB2_57 Depth=2
	s_and_saveexec_b64 s[40:41], s[6:7]
	s_cbranch_execz .LBB2_1848
; %bb.1836:                             ;   in Loop: Header=BB2_57 Depth=2
	s_mov_b64 s[30:31], exec
	v_mbcnt_lo_u32_b32 v3, s30, 0
	v_mbcnt_hi_u32_b32 v3, s31, v3
	v_cmp_eq_u32_e32 vcc, 0, v3
	;;#ASMSTART
	s_waitcnt lgkmcnt(0) vmcnt(0)
	;;#ASMEND
	s_and_saveexec_b64 s[94:95], vcc
	s_cbranch_execz .LBB2_1838
; %bb.1837:                             ;   in Loop: Header=BB2_57 Depth=2
	s_bcnt1_i32_b64 vcc_lo, s[30:31]
	v_mov_b32_e32 v3, vcc_lo
	v_mov_b32_e32 v4, v29
	s_waitcnt lgkmcnt(0)
	ds_add_u64 v0, v[3:4]
	s_trap 2
.LBB2_1838:                             ;   in Loop: Header=BB2_57 Depth=2
	s_or_b64 exec, exec, s[94:95]
	s_trap 2
	ds_read_b64 v[3:4], v0
	s_waitcnt lgkmcnt(0)
	v_add_co_u32_e32 v12, vcc, v12, v36
	v_addc_co_u32_e32 v13, vcc, 0, v13, vcc
	v_cmp_lt_u64_e32 vcc, v[3:4], v[12:13]
	s_and_saveexec_b64 s[94:95], vcc
	s_cbranch_execz .LBB2_1847
; %bb.1839:                             ;   in Loop: Header=BB2_57 Depth=2
	s_mov_b32 s50, 0
	s_mov_b64 s[30:31], 0
                                        ; implicit-def: $sgpr34_sgpr35
                                        ; implicit-def: $sgpr36_sgpr37
	s_branch .LBB2_1841
.LBB2_1840:                             ;   in Loop: Header=BB2_1841 Depth=3
	s_or_b64 exec, exec, s[48:49]
	s_and_b64 vcc, exec, vcc
	s_or_b64 s[30:31], vcc, s[30:31]
	s_andn2_b64 vcc, s[34:35], exec
	s_and_b64 s[34:35], s[36:37], exec
	s_or_b64 s[34:35], vcc, s[34:35]
	s_andn2_b64 exec, exec, s[30:31]
	s_cbranch_execz .LBB2_1845
.LBB2_1841:                             ;   Parent Loop BB2_47 Depth=1
                                        ;     Parent Loop BB2_57 Depth=2
                                        ; =>    This Inner Loop Header: Depth=3
	s_add_i32 s50, s50, 1
	s_cmpk_lg_i32 s50, 0x2710
	s_cselect_b64 s[38:39], -1, 0
	s_and_b64 vcc, exec, s[38:39]
	s_cbranch_vccz .LBB2_1843
; %bb.1842:                             ;   in Loop: Header=BB2_1841 Depth=3
	s_mov_b64 vcc, -1
	s_or_b64 s[36:37], s[36:37], exec
	s_and_saveexec_b64 s[48:49], s[38:39]
	s_cbranch_execz .LBB2_1840
	s_branch .LBB2_1844
.LBB2_1843:                             ;   in Loop: Header=BB2_1841 Depth=3
	s_trap 2
	ds_read_b64 v[3:4], v0
	s_andn2_b64 s[38:39], s[38:39], exec
	s_mov_b32 s50, 0
	s_waitcnt vmcnt(0) lgkmcnt(0)
	flat_load_dword v3, v[3:4] glc
	s_waitcnt vmcnt(0) lgkmcnt(0)
	buffer_wbinvl1_vol
	v_cmp_eq_u32_e32 vcc, 0, v3
	s_and_b64 vcc, vcc, exec
	s_or_b64 s[38:39], s[38:39], vcc
	s_mov_b64 vcc, -1
	s_or_b64 s[36:37], s[36:37], exec
	s_and_saveexec_b64 s[48:49], s[38:39]
	s_cbranch_execz .LBB2_1840
.LBB2_1844:                             ;   in Loop: Header=BB2_1841 Depth=3
	s_sleep 1
	s_trap 2
	ds_read_b64 v[3:4], v0
	s_waitcnt lgkmcnt(0)
	s_andn2_b64 s[36:37], s[36:37], exec
	v_cmp_ge_u64_e32 vcc, v[3:4], v[12:13]
	s_orn2_b64 vcc, vcc, exec
	s_branch .LBB2_1840
.LBB2_1845:                             ;   in Loop: Header=BB2_57 Depth=2
	s_or_b64 exec, exec, s[30:31]
	s_and_saveexec_b64 vcc, s[34:35]
	s_xor_b64 vcc, exec, vcc
	s_cbranch_execz .LBB2_1847
; %bb.1846:                             ;   in Loop: Header=BB2_57 Depth=2
	v_mov_b32_e32 v3, 1
	ds_write_b32 v0, v3
	s_trap 2
.LBB2_1847:                             ;   in Loop: Header=BB2_57 Depth=2
	s_or_b64 exec, exec, s[94:95]
	;;#ASMSTART
	s_wakeup
	;;#ASMEND
.LBB2_1848:                             ;   in Loop: Header=BB2_57 Depth=2
	s_or_b64 exec, exec, s[40:41]
.LBB2_1849:                             ;   in Loop: Header=BB2_57 Depth=2
	s_andn2_saveexec_b64 s[28:29], s[28:29]
	s_cbranch_execz .LBB2_1851
; %bb.1850:                             ;   in Loop: Header=BB2_57 Depth=2
	;;#ASMSTART
	s_waitcnt lgkmcnt(0) vmcnt(0)
	;;#ASMEND
	s_waitcnt vmcnt(0) lgkmcnt(0)
	s_barrier
.LBB2_1851:                             ;   in Loop: Header=BB2_57 Depth=2
	s_or_b64 exec, exec, s[28:29]
	s_or_b64 exec, exec, s[26:27]
	v_cmp_ne_u32_e32 vcc, 0, v2
	s_and_saveexec_b64 s[26:27], vcc
	s_cbranch_execz .LBB2_56
.LBB2_1852:                             ;   in Loop: Header=BB2_57 Depth=2
	s_and_saveexec_b64 s[28:29], s[22:23]
	s_cbranch_execz .LBB2_55
; %bb.1853:                             ;   in Loop: Header=BB2_57 Depth=2
	buffer_load_dword v2, off, s[0:3], s33 offset:108 ; 4-byte Folded Reload
	buffer_load_dword v3, off, s[0:3], s33 offset:112 ; 4-byte Folded Reload
	v_mov_b32_e32 v4, 1
	s_waitcnt vmcnt(0)
	flat_store_dword v[2:3], v4
	s_branch .LBB2_55
.LBB2_1854:                             ;   in Loop: Header=BB2_47 Depth=1
	s_or_b64 exec, exec, s[90:91]
.LBB2_1855:                             ;   in Loop: Header=BB2_47 Depth=1
	s_or_b64 exec, exec, s[42:43]
	v_cmp_gt_i32_e32 vcc, 2, v2
	s_and_saveexec_b64 s[28:29], vcc
	s_cbranch_execz .LBB2_1927
; %bb.1856:                             ;   in Loop: Header=BB2_47 Depth=1
	v_cmp_eq_u32_e64 s[42:43], 0, v2
	s_mov_b64 s[40:41], 0
	s_branch .LBB2_1859
.LBB2_1857:                             ;   in Loop: Header=BB2_1859 Depth=2
	s_or_b64 exec, exec, s[42:43]
	v_add_co_u32_e32 v24, vcc, 2, v24
	v_addc_co_u32_e32 v25, vcc, 0, v25, vcc
	flat_store_dwordx2 v[20:21], v[24:25]
.LBB2_1858:                             ;   in Loop: Header=BB2_1859 Depth=2
	s_or_b64 exec, exec, s[26:27]
	v_add_u32_e32 v15, v23, v15
	s_mov_b64 s[42:43], 0
	s_andn2_b64 exec, exec, s[40:41]
	s_cbranch_execz .LBB2_1926
.LBB2_1859:                             ;   Parent Loop BB2_47 Depth=1
                                        ; =>  This Loop Header: Depth=2
                                        ;       Child Loop BB2_1865 Depth 3
                                        ;       Child Loop BB2_1889 Depth 3
	;; [unrolled: 1-line block ×3, first 2 shown]
	v_sub_u32_e32 v2, v11, v15
	v_min_i32_e32 v23, v23, v2
	v_and_b32_e32 v2, 8, v34
	v_cmp_ne_u32_e32 vcc, 0, v2
	s_and_saveexec_b64 s[90:91], vcc
	s_cbranch_execz .LBB2_1881
; %bb.1860:                             ;   in Loop: Header=BB2_1859 Depth=2
	s_waitcnt lgkmcnt(0)
	v_add_co_u32_e32 v2, vcc, 8, v26
	v_addc_co_u32_e32 v3, vcc, 0, v27, vcc
	v_add_co_u32_e32 v4, vcc, 2, v24
	v_addc_co_u32_e32 v5, vcc, 0, v25, vcc
	v_cmp_lt_u64_e32 vcc, v[2:3], v[4:5]
	s_and_saveexec_b64 s[92:93], vcc
	s_cbranch_execz .LBB2_1872
; %bb.1861:                             ;   in Loop: Header=BB2_1859 Depth=2
	v_and_b32_e32 v2, 64, v34
	s_mov_b32 s8, 0
	v_cmp_eq_u32_e32 vcc, 0, v2
	s_mov_b64 s[94:95], 0
                                        ; implicit-def: $sgpr30_sgpr31
                                        ; implicit-def: $sgpr34_sgpr35
                                        ; implicit-def: $sgpr36_sgpr37
	s_branch .LBB2_1865
.LBB2_1862:                             ;   in Loop: Header=BB2_1865 Depth=3
	s_waitcnt vmcnt(0) lgkmcnt(0)
	v_add_co_u32_e64 v8, s[26:27], 8, v26
	v_addc_co_u32_e64 v9, s[26:27], 0, v27, s[26:27]
	v_cmp_ge_u64_e64 s[26:27], v[8:9], v[4:5]
	s_or_b64 s[50:51], s[50:51], exec
	s_orn2_b64 s[48:49], s[26:27], exec
.LBB2_1863:                             ;   in Loop: Header=BB2_1865 Depth=3
	s_or_b64 exec, exec, s[54:55]
	s_andn2_b64 s[26:27], s[36:37], exec
	s_and_b64 s[36:37], s[50:51], exec
	s_or_b64 s[36:37], s[26:27], s[36:37]
	s_andn2_b64 s[26:27], s[34:35], exec
	s_and_b64 s[34:35], s[48:49], exec
	s_or_b64 s[34:35], s[26:27], s[34:35]
.LBB2_1864:                             ;   in Loop: Header=BB2_1865 Depth=3
	s_or_b64 exec, exec, s[38:39]
	s_and_b64 s[26:27], exec, s[34:35]
	s_or_b64 s[94:95], s[26:27], s[94:95]
	s_andn2_b64 s[26:27], s[30:31], exec
	s_and_b64 s[30:31], s[36:37], exec
	s_or_b64 s[30:31], s[26:27], s[30:31]
	s_andn2_b64 exec, exec, s[94:95]
	s_cbranch_execz .LBB2_1869
.LBB2_1865:                             ;   Parent Loop BB2_47 Depth=1
                                        ;     Parent Loop BB2_1859 Depth=2
                                        ; =>    This Inner Loop Header: Depth=3
	s_sleep 1
	s_waitcnt vmcnt(0) lgkmcnt(0)
	flat_load_dwordx2 v[26:27], v[20:21] glc
	s_or_b64 s[36:37], s[36:37], exec
	s_or_b64 s[34:35], s[34:35], exec
                                        ; implicit-def: $vgpr2
	s_and_saveexec_b64 s[38:39], vcc
	s_cbranch_execz .LBB2_1864
; %bb.1866:                             ;   in Loop: Header=BB2_1865 Depth=3
	s_cmpk_lt_i32 s8, 0x270f
	s_cselect_b64 s[52:53], -1, 0
	s_cmpk_gt_i32 s8, 0x270e
	s_mov_b64 s[48:49], -1
	s_cbranch_scc0 .LBB2_1868
; %bb.1867:                             ;   in Loop: Header=BB2_1865 Depth=3
	s_trap 2
	ds_read_b64 v[2:3], v0
	s_andn2_b64 s[52:53], s[52:53], exec
	s_mov_b32 s8, 0
	s_mov_b64 s[50:51], 0
	s_waitcnt vmcnt(0) lgkmcnt(0)
	flat_load_dword v2, v[2:3] glc
	s_waitcnt vmcnt(0) lgkmcnt(0)
	buffer_wbinvl1_vol
	v_cmp_eq_u32_e64 s[26:27], 0, v2
	s_and_b64 s[26:27], s[26:27], exec
	s_or_b64 s[52:53], s[52:53], s[26:27]
	s_and_saveexec_b64 s[54:55], s[52:53]
	s_cbranch_execz .LBB2_1863
	s_branch .LBB2_1862
.LBB2_1868:                             ;   in Loop: Header=BB2_1865 Depth=3
	s_add_i32 s8, s8, 1
	s_mov_b64 s[50:51], -1
                                        ; implicit-def: $vgpr2
	s_and_saveexec_b64 s[54:55], s[52:53]
	s_cbranch_execz .LBB2_1863
	s_branch .LBB2_1862
.LBB2_1869:                             ;   in Loop: Header=BB2_1859 Depth=2
	s_or_b64 exec, exec, s[94:95]
	s_xor_b64 s[26:27], s[30:31], -1
	s_and_saveexec_b64 s[94:95], s[26:27]
	s_xor_b64 s[26:27], exec, s[94:95]
	s_cbranch_execz .LBB2_1871
; %bb.1870:                             ;   in Loop: Header=BB2_1859 Depth=2
	v_or_b32_e32 v34, 64, v34
	s_waitcnt lgkmcnt(0)
	ds_write_b32 v0, v2
	s_trap 2
.LBB2_1871:                             ;   in Loop: Header=BB2_1859 Depth=2
	s_or_b64 exec, exec, s[26:27]
.LBB2_1872:                             ;   in Loop: Header=BB2_1859 Depth=2
	s_or_b64 exec, exec, s[92:93]
	v_and_b32_e32 v2, 0x100, v34
	v_cmp_ne_u32_e32 vcc, 0, v2
	v_and_b32_e32 v10, 7, v24
	s_mov_b64 s[26:27], -1
	;;#ASMSTART
	s_wakeup
	;;#ASMEND
                                        ; implicit-def: $vgpr2_vgpr3
	s_and_saveexec_b64 s[92:93], vcc
	s_cbranch_execz .LBB2_1876
; %bb.1873:                             ;   in Loop: Header=BB2_1859 Depth=2
	buffer_load_dword v16, off, s[0:3], s33 offset:92 ; 4-byte Folded Reload
	buffer_load_dword v17, off, s[0:3], s33 offset:96 ; 4-byte Folded Reload
	buffer_load_dword v18, off, s[0:3], s33 offset:100 ; 4-byte Folded Reload
	buffer_load_dword v19, off, s[0:3], s33 offset:104 ; 4-byte Folded Reload
	v_ashrrev_i32_e32 v24, 31, v23
	s_waitcnt vmcnt(0)
	v_mad_u64_u32 v[8:9], s[26:27], v10, 24, v[16:17]
	flat_load_dword v2, v[8:9]
	s_nop 0
	flat_store_dwordx2 v[8:9], v[23:24] offset:8
	s_waitcnt vmcnt(0) lgkmcnt(0)
	v_cmp_ne_u32_e32 vcc, 1, v2
	v_cmp_eq_u32_e64 s[26:27], 1, v2
                                        ; implicit-def: $vgpr2_vgpr3
	s_and_saveexec_b64 s[94:95], s[26:27]
	s_cbranch_execz .LBB2_1875
; %bb.1874:                             ;   in Loop: Header=BB2_1859 Depth=2
	flat_load_dword v2, v[8:9] offset:4 glc
	s_waitcnt vmcnt(0) lgkmcnt(0)
	v_ashrrev_i32_e32 v3, 31, v2
.LBB2_1875:                             ;   in Loop: Header=BB2_1859 Depth=2
	s_or_b64 exec, exec, s[94:95]
	s_orn2_b64 s[26:27], vcc, exec
.LBB2_1876:                             ;   in Loop: Header=BB2_1859 Depth=2
	s_or_b64 exec, exec, s[92:93]
	s_and_saveexec_b64 s[92:93], s[26:27]
	s_cbranch_execz .LBB2_1878
; %bb.1877:                             ;   in Loop: Header=BB2_1859 Depth=2
	buffer_load_dword v2, off, s[0:3], s33 offset:116 ; 4-byte Folded Reload
	s_waitcnt vmcnt(0)
	v_mad_i64_i32 v[2:3], s[26:27], v10, v2, 0
.LBB2_1878:                             ;   in Loop: Header=BB2_1859 Depth=2
	s_or_b64 exec, exec, s[92:93]
	buffer_load_dword v8, off, s[0:3], s33 offset:84 ; 4-byte Folded Reload
	buffer_load_dword v9, off, s[0:3], s33 offset:88 ; 4-byte Folded Reload
	s_waitcnt vmcnt(0)
	v_add_co_u32_e32 v2, vcc, v8, v2
	v_addc_co_u32_e32 v3, vcc, v9, v3, vcc
	ds_write_b64 v0, v[2:3] offset:784
	v_and_b32_e32 v2, 0x2000, v34
	v_cmp_ne_u32_e32 vcc, 0, v2
	s_and_saveexec_b64 s[26:27], vcc
	s_cbranch_execz .LBB2_1880
; %bb.1879:                             ;   in Loop: Header=BB2_1859 Depth=2
	ds_read_b64 v[2:3], v0 offset:872
	s_waitcnt lgkmcnt(0)
	v_add_co_u32_e32 v2, vcc, 1, v2
	v_addc_co_u32_e32 v3, vcc, 0, v3, vcc
	ds_write_b64 v0, v[2:3] offset:872
.LBB2_1880:                             ;   in Loop: Header=BB2_1859 Depth=2
	s_or_b64 exec, exec, s[26:27]
	v_mov_b32_e32 v25, v5
	v_mov_b32_e32 v24, v4
.LBB2_1881:                             ;   in Loop: Header=BB2_1859 Depth=2
	s_or_b64 exec, exec, s[90:91]
	s_xor_b64 s[26:27], s[42:43], -1
	s_and_b64 s[26:27], exec, s[26:27]
	s_or_b64 s[40:41], s[26:27], s[40:41]
	s_and_saveexec_b64 s[26:27], s[12:13]
	s_cbranch_execz .LBB2_1900
; %bb.1882:                             ;   in Loop: Header=BB2_1859 Depth=2
	s_and_saveexec_b64 s[42:43], s[58:59]
	s_xor_b64 s[42:43], exec, s[42:43]
	s_cbranch_execz .LBB2_1897
; %bb.1883:                             ;   in Loop: Header=BB2_1859 Depth=2
	s_and_saveexec_b64 s[90:91], s[6:7]
	s_cbranch_execz .LBB2_1896
; %bb.1884:                             ;   in Loop: Header=BB2_1859 Depth=2
	s_mov_b64 s[94:95], exec
	v_mbcnt_lo_u32_b32 v2, s94, 0
	v_mbcnt_hi_u32_b32 v2, s95, v2
	v_cmp_eq_u32_e32 vcc, 0, v2
	s_waitcnt vmcnt(0) lgkmcnt(0)
	buffer_wbinvl1_vol
	s_and_saveexec_b64 s[92:93], vcc
	s_cbranch_execz .LBB2_1886
; %bb.1885:                             ;   in Loop: Header=BB2_1859 Depth=2
	s_bcnt1_i32_b64 s8, s[94:95]
	v_mov_b32_e32 v2, s8
	v_mov_b32_e32 v3, v29
	ds_add_u64 v0, v[2:3]
	s_trap 2
.LBB2_1886:                             ;   in Loop: Header=BB2_1859 Depth=2
	s_or_b64 exec, exec, s[92:93]
	s_trap 2
	ds_read_b64 v[2:3], v0
	s_waitcnt lgkmcnt(0)
	v_add_co_u32_e32 v12, vcc, v12, v36
	v_addc_co_u32_e32 v13, vcc, 0, v13, vcc
	v_cmp_lt_u64_e32 vcc, v[2:3], v[12:13]
	s_and_saveexec_b64 s[92:93], vcc
	s_cbranch_execz .LBB2_1895
; %bb.1887:                             ;   in Loop: Header=BB2_1859 Depth=2
	s_mov_b32 s8, 0
	s_mov_b64 s[94:95], 0
                                        ; implicit-def: $sgpr30_sgpr31
                                        ; implicit-def: $sgpr34_sgpr35
	s_branch .LBB2_1889
.LBB2_1888:                             ;   in Loop: Header=BB2_1889 Depth=3
	s_or_b64 exec, exec, s[38:39]
	s_and_b64 vcc, exec, vcc
	s_or_b64 s[94:95], vcc, s[94:95]
	s_andn2_b64 vcc, s[30:31], exec
	s_and_b64 s[30:31], s[34:35], exec
	s_or_b64 s[30:31], vcc, s[30:31]
	s_andn2_b64 exec, exec, s[94:95]
	s_cbranch_execz .LBB2_1893
.LBB2_1889:                             ;   Parent Loop BB2_47 Depth=1
                                        ;     Parent Loop BB2_1859 Depth=2
                                        ; =>    This Inner Loop Header: Depth=3
	s_add_i32 s8, s8, 1
	s_cmpk_lg_i32 s8, 0x2710
	s_cselect_b64 s[36:37], -1, 0
	s_and_b64 vcc, exec, s[36:37]
	s_cbranch_vccz .LBB2_1891
; %bb.1890:                             ;   in Loop: Header=BB2_1889 Depth=3
	s_mov_b64 vcc, -1
	s_or_b64 s[34:35], s[34:35], exec
	s_and_saveexec_b64 s[38:39], s[36:37]
	s_cbranch_execz .LBB2_1888
	s_branch .LBB2_1892
.LBB2_1891:                             ;   in Loop: Header=BB2_1889 Depth=3
	s_trap 2
	ds_read_b64 v[2:3], v0
	s_andn2_b64 s[36:37], s[36:37], exec
	s_mov_b32 s8, 0
	s_waitcnt lgkmcnt(0)
	flat_load_dword v2, v[2:3] glc
	s_waitcnt vmcnt(0) lgkmcnt(0)
	buffer_wbinvl1_vol
	v_cmp_eq_u32_e32 vcc, 0, v2
	s_and_b64 vcc, vcc, exec
	s_or_b64 s[36:37], s[36:37], vcc
	s_mov_b64 vcc, -1
	s_or_b64 s[34:35], s[34:35], exec
	s_and_saveexec_b64 s[38:39], s[36:37]
	s_cbranch_execz .LBB2_1888
.LBB2_1892:                             ;   in Loop: Header=BB2_1889 Depth=3
	s_sleep 1
	s_trap 2
	ds_read_b64 v[2:3], v0
	s_waitcnt lgkmcnt(0)
	s_andn2_b64 s[34:35], s[34:35], exec
	v_cmp_ge_u64_e32 vcc, v[2:3], v[12:13]
	s_orn2_b64 vcc, vcc, exec
	s_branch .LBB2_1888
.LBB2_1893:                             ;   in Loop: Header=BB2_1859 Depth=2
	s_or_b64 exec, exec, s[94:95]
	s_and_saveexec_b64 s[94:95], s[30:31]
	s_xor_b64 s[94:95], exec, s[94:95]
	s_cbranch_execz .LBB2_1895
; %bb.1894:                             ;   in Loop: Header=BB2_1859 Depth=2
	v_mov_b32_e32 v2, 1
	ds_write_b32 v0, v2
	s_trap 2
.LBB2_1895:                             ;   in Loop: Header=BB2_1859 Depth=2
	s_or_b64 exec, exec, s[92:93]
	;;#ASMSTART
	s_wakeup
	;;#ASMEND
.LBB2_1896:                             ;   in Loop: Header=BB2_1859 Depth=2
	s_or_b64 exec, exec, s[90:91]
.LBB2_1897:                             ;   in Loop: Header=BB2_1859 Depth=2
	s_andn2_saveexec_b64 s[42:43], s[42:43]
	s_cbranch_execz .LBB2_1899
; %bb.1898:                             ;   in Loop: Header=BB2_1859 Depth=2
	s_waitcnt vmcnt(0) lgkmcnt(0)
	buffer_wbinvl1_vol
	s_barrier
.LBB2_1899:                             ;   in Loop: Header=BB2_1859 Depth=2
	s_or_b64 exec, exec, s[42:43]
.LBB2_1900:                             ;   in Loop: Header=BB2_1859 Depth=2
	s_or_b64 exec, exec, s[26:27]
	v_and_b32_e32 v2, 16, v34
	s_and_saveexec_b64 s[26:27], s[18:19]
	s_xor_b64 s[26:27], exec, s[26:27]
	s_cbranch_execz .LBB2_1905
; %bb.1901:                             ;   in Loop: Header=BB2_1859 Depth=2
	s_trap 2
	ds_read_b32 v2, v0
	v_cmp_lt_i32_e32 vcc, 0, v23
	v_and_b32_e32 v3, 16, v34
	s_waitcnt lgkmcnt(0)
	v_readfirstlane_b32 s8, v2
	s_cmp_eq_u32 s8, 0
	s_cselect_b64 s[42:43], -1, 0
	s_and_b64 s[42:43], vcc, s[42:43]
	v_cmp_ne_u32_e32 vcc, 0, v3
	v_and_b32_e32 v2, 16, v34
	s_and_b64 s[90:91], vcc, s[42:43]
	s_and_saveexec_b64 s[42:43], s[90:91]
	s_cbranch_execz .LBB2_1903
; %bb.1902:                             ;   in Loop: Header=BB2_1859 Depth=2
	v_mov_b32_e32 v2, 1
	s_waitcnt vmcnt(0)
	buffer_wbinvl1_vol
.LBB2_1903:                             ;   in Loop: Header=BB2_1859 Depth=2
	s_or_b64 exec, exec, s[42:43]
	s_andn2_saveexec_b64 s[26:27], s[26:27]
	s_cbranch_execnz .LBB2_1906
.LBB2_1904:                             ;   in Loop: Header=BB2_1859 Depth=2
	s_or_b64 exec, exec, s[26:27]
	v_cmp_ne_u32_e32 vcc, 0, v2
	s_and_saveexec_b64 s[26:27], vcc
	s_cbranch_execz .LBB2_1858
	s_branch .LBB2_1924
.LBB2_1905:                             ;   in Loop: Header=BB2_1859 Depth=2
	s_andn2_saveexec_b64 s[26:27], s[26:27]
	s_cbranch_execz .LBB2_1904
.LBB2_1906:                             ;   in Loop: Header=BB2_1859 Depth=2
	s_and_saveexec_b64 s[42:43], s[58:59]
	s_xor_b64 s[42:43], exec, s[42:43]
	s_cbranch_execz .LBB2_1921
; %bb.1907:                             ;   in Loop: Header=BB2_1859 Depth=2
	s_and_saveexec_b64 s[90:91], s[6:7]
	s_cbranch_execz .LBB2_1920
; %bb.1908:                             ;   in Loop: Header=BB2_1859 Depth=2
	s_mov_b64 s[94:95], exec
	v_mbcnt_lo_u32_b32 v3, s94, 0
	v_mbcnt_hi_u32_b32 v3, s95, v3
	v_cmp_eq_u32_e32 vcc, 0, v3
	;;#ASMSTART
	s_waitcnt lgkmcnt(0) vmcnt(0)
	;;#ASMEND
	s_and_saveexec_b64 s[92:93], vcc
	s_cbranch_execz .LBB2_1910
; %bb.1909:                             ;   in Loop: Header=BB2_1859 Depth=2
	s_bcnt1_i32_b64 s8, s[94:95]
	v_mov_b32_e32 v3, s8
	v_mov_b32_e32 v4, v29
	s_waitcnt lgkmcnt(0)
	ds_add_u64 v0, v[3:4]
	s_trap 2
.LBB2_1910:                             ;   in Loop: Header=BB2_1859 Depth=2
	s_or_b64 exec, exec, s[92:93]
	s_trap 2
	ds_read_b64 v[3:4], v0
	s_waitcnt lgkmcnt(0)
	v_add_co_u32_e32 v12, vcc, v12, v36
	v_addc_co_u32_e32 v13, vcc, 0, v13, vcc
	v_cmp_lt_u64_e32 vcc, v[3:4], v[12:13]
	s_and_saveexec_b64 s[92:93], vcc
	s_cbranch_execz .LBB2_1919
; %bb.1911:                             ;   in Loop: Header=BB2_1859 Depth=2
	s_mov_b32 s8, 0
	s_mov_b64 s[94:95], 0
                                        ; implicit-def: $sgpr30_sgpr31
                                        ; implicit-def: $sgpr34_sgpr35
	s_branch .LBB2_1913
.LBB2_1912:                             ;   in Loop: Header=BB2_1913 Depth=3
	s_or_b64 exec, exec, s[38:39]
	s_and_b64 vcc, exec, vcc
	s_or_b64 s[94:95], vcc, s[94:95]
	s_andn2_b64 vcc, s[30:31], exec
	s_and_b64 s[30:31], s[34:35], exec
	s_or_b64 s[30:31], vcc, s[30:31]
	s_andn2_b64 exec, exec, s[94:95]
	s_cbranch_execz .LBB2_1917
.LBB2_1913:                             ;   Parent Loop BB2_47 Depth=1
                                        ;     Parent Loop BB2_1859 Depth=2
                                        ; =>    This Inner Loop Header: Depth=3
	s_add_i32 s8, s8, 1
	s_cmpk_lg_i32 s8, 0x2710
	s_cselect_b64 s[36:37], -1, 0
	s_and_b64 vcc, exec, s[36:37]
	s_cbranch_vccz .LBB2_1915
; %bb.1914:                             ;   in Loop: Header=BB2_1913 Depth=3
	s_mov_b64 vcc, -1
	s_or_b64 s[34:35], s[34:35], exec
	s_and_saveexec_b64 s[38:39], s[36:37]
	s_cbranch_execz .LBB2_1912
	s_branch .LBB2_1916
.LBB2_1915:                             ;   in Loop: Header=BB2_1913 Depth=3
	s_trap 2
	ds_read_b64 v[3:4], v0
	s_andn2_b64 s[36:37], s[36:37], exec
	s_mov_b32 s8, 0
	s_waitcnt vmcnt(0) lgkmcnt(0)
	flat_load_dword v3, v[3:4] glc
	s_waitcnt vmcnt(0) lgkmcnt(0)
	buffer_wbinvl1_vol
	v_cmp_eq_u32_e32 vcc, 0, v3
	s_and_b64 vcc, vcc, exec
	s_or_b64 s[36:37], s[36:37], vcc
	s_mov_b64 vcc, -1
	s_or_b64 s[34:35], s[34:35], exec
	s_and_saveexec_b64 s[38:39], s[36:37]
	s_cbranch_execz .LBB2_1912
.LBB2_1916:                             ;   in Loop: Header=BB2_1913 Depth=3
	s_sleep 1
	s_trap 2
	ds_read_b64 v[3:4], v0
	s_waitcnt lgkmcnt(0)
	s_andn2_b64 s[34:35], s[34:35], exec
	v_cmp_ge_u64_e32 vcc, v[3:4], v[12:13]
	s_orn2_b64 vcc, vcc, exec
	s_branch .LBB2_1912
.LBB2_1917:                             ;   in Loop: Header=BB2_1859 Depth=2
	s_or_b64 exec, exec, s[94:95]
	s_and_saveexec_b64 s[94:95], s[30:31]
	s_xor_b64 s[94:95], exec, s[94:95]
	s_cbranch_execz .LBB2_1919
; %bb.1918:                             ;   in Loop: Header=BB2_1859 Depth=2
	v_mov_b32_e32 v3, 1
	ds_write_b32 v0, v3
	s_trap 2
.LBB2_1919:                             ;   in Loop: Header=BB2_1859 Depth=2
	s_or_b64 exec, exec, s[92:93]
	;;#ASMSTART
	s_wakeup
	;;#ASMEND
.LBB2_1920:                             ;   in Loop: Header=BB2_1859 Depth=2
	s_or_b64 exec, exec, s[90:91]
.LBB2_1921:                             ;   in Loop: Header=BB2_1859 Depth=2
	s_andn2_saveexec_b64 s[42:43], s[42:43]
	s_cbranch_execz .LBB2_1923
; %bb.1922:                             ;   in Loop: Header=BB2_1859 Depth=2
	;;#ASMSTART
	s_waitcnt lgkmcnt(0) vmcnt(0)
	;;#ASMEND
	s_waitcnt vmcnt(0) lgkmcnt(0)
	s_barrier
.LBB2_1923:                             ;   in Loop: Header=BB2_1859 Depth=2
	s_or_b64 exec, exec, s[42:43]
	s_or_b64 exec, exec, s[26:27]
	v_cmp_ne_u32_e32 vcc, 0, v2
	s_and_saveexec_b64 s[26:27], vcc
	s_cbranch_execz .LBB2_1858
.LBB2_1924:                             ;   in Loop: Header=BB2_1859 Depth=2
	s_and_saveexec_b64 s[42:43], s[22:23]
	s_cbranch_execz .LBB2_1857
; %bb.1925:                             ;   in Loop: Header=BB2_1859 Depth=2
	buffer_load_dword v2, off, s[0:3], s33 offset:108 ; 4-byte Folded Reload
	buffer_load_dword v3, off, s[0:3], s33 offset:112 ; 4-byte Folded Reload
	v_mov_b32_e32 v4, 1
	s_waitcnt vmcnt(0)
	flat_store_dword v[2:3], v4
	s_branch .LBB2_1857
.LBB2_1926:                             ;   in Loop: Header=BB2_47 Depth=1
	s_or_b64 exec, exec, s[40:41]
.LBB2_1927:                             ;   in Loop: Header=BB2_47 Depth=1
	s_or_b64 exec, exec, s[28:29]
	v_cndmask_b32_e64 v2, 0, 1, s[62:63]
	v_cmp_ne_u32_e64 s[26:27], 1, v2
	s_andn2_b64 vcc, exec, s[62:63]
	s_cbranch_vccnz .LBB2_4810
; %bb.1928:                             ;   in Loop: Header=BB2_47 Depth=1
	s_mov_b32 s8, 2
	s_branch .LBB2_1931
.LBB2_1929:                             ;   in Loop: Header=BB2_1931 Depth=2
	s_or_b64 exec, exec, s[42:43]
.LBB2_1930:                             ;   in Loop: Header=BB2_1931 Depth=2
	s_or_b64 exec, exec, s[40:41]
	s_add_i32 s8, s8, 1
	s_cmp_eq_u32 s8, s66
	s_cbranch_scc1 .LBB2_4810
.LBB2_1931:                             ;   Parent Loop BB2_47 Depth=1
                                        ; =>  This Loop Header: Depth=2
                                        ;       Child Loop BB2_1934 Depth 3
                                        ;         Child Loop BB2_1942 Depth 4
                                        ;         Child Loop BB2_1970 Depth 4
	;; [unrolled: 1-line block ×9, first 2 shown]
                                        ;       Child Loop BB2_4738 Depth 3
                                        ;         Child Loop BB2_4744 Depth 4
                                        ;         Child Loop BB2_4772 Depth 4
	;; [unrolled: 1-line block ×3, first 2 shown]
	buffer_load_dword v4, off, s[0:3], s33 offset:228 ; 4-byte Folded Reload
	buffer_load_dword v5, off, s[0:3], s33 offset:232 ; 4-byte Folded Reload
	s_sub_i32 s28, s70, s8
	s_cmp_ge_i32 s28, s66
	s_cselect_b32 s29, s66, 0
	s_sub_i32 s28, s28, s29
	s_ashr_i32 s40, s28, 31
	v_mov_b32_e32 v61, 0
	s_waitcnt vmcnt(0)
	v_mul_lo_u32 v3, v4, s40
	v_mul_lo_u32 v2, v5, s28
	v_mad_u64_u32 v[8:9], s[28:29], v4, s28, 0
	v_add3_u32 v9, v9, v3, v2
	buffer_load_dword v2, off, s[0:3], s33 offset:220 ; 4-byte Folded Reload
	buffer_load_dword v3, off, s[0:3], s33 offset:224 ; 4-byte Folded Reload
	s_waitcnt vmcnt(0)
	v_sub_co_u32_e32 v2, vcc, v2, v8
	buffer_store_dword v8, off, s[0:3], s33 offset:160 ; 4-byte Folded Spill
	s_nop 0
	buffer_store_dword v9, off, s[0:3], s33 offset:164 ; 4-byte Folded Spill
	v_subb_co_u32_e32 v3, vcc, v3, v9, vcc
	v_cmp_lt_i64_e32 vcc, v[4:5], v[2:3]
	v_cndmask_b32_e32 v2, v2, v4, vcc
	v_max_i32_e32 v33, 0, v2
	v_add_u32_e32 v3, 31, v33
	v_lshrrev_b32_e32 v3, 1, v3
	v_and_b32_e32 v3, 0x3ffffff0, v3
	v_cmp_lt_i32_e32 vcc, 0, v2
	v_max_i32_e32 v50, s81, v3
	s_and_b64 s[28:29], s[74:75], vcc
	v_mov_b32_e32 v2, 0
	s_and_saveexec_b64 s[90:91], s[28:29]
	s_cbranch_execz .LBB2_4735
; %bb.1932:                             ;   in Loop: Header=BB2_1931 Depth=2
	s_mov_b32 s69, 1
	s_mov_b64 s[94:95], -1
	v_mov_b32_e32 v61, 0
	s_mov_b64 s[92:93], 0
	s_branch .LBB2_1934
.LBB2_1933:                             ;   in Loop: Header=BB2_1934 Depth=3
	s_or_b64 exec, exec, s[28:29]
	v_add_u32_e32 v61, v50, v61
	v_cmp_ge_i32_e32 vcc, v61, v33
	s_xor_b64 s[28:29], s[94:95], -1
	s_or_b64 s[28:29], s[28:29], vcc
	s_and_b64 s[28:29], exec, s[28:29]
	s_or_b64 s[92:93], s[28:29], s[92:93]
	s_mov_b64 s[94:95], 0
	v_mov_b32_e32 v2, s69
	s_mov_b32 s69, 2
	s_andn2_b64 exec, exec, s[92:93]
	s_cbranch_execz .LBB2_4734
.LBB2_1934:                             ;   Parent Loop BB2_47 Depth=1
                                        ;     Parent Loop BB2_1931 Depth=2
                                        ; =>    This Loop Header: Depth=3
                                        ;         Child Loop BB2_1942 Depth 4
                                        ;         Child Loop BB2_1970 Depth 4
	;; [unrolled: 1-line block ×9, first 2 shown]
	s_and_saveexec_b64 s[28:29], s[4:5]
	s_cbranch_execz .LBB2_1936
; %bb.1935:                             ;   in Loop: Header=BB2_1934 Depth=3
	s_trap 2
	buffer_load_dword v4, off, s[0:3], s33 offset:152 ; 4-byte Folded Reload
	ds_read_b64 v[2:3], v0
	s_waitcnt vmcnt(0) lgkmcnt(0)
	v_add_co_u32_e32 v2, vcc, v2, v4
	buffer_load_dword v4, off, s[0:3], s33 offset:156 ; 4-byte Folded Reload
	s_waitcnt vmcnt(0)
	v_addc_co_u32_e32 v3, vcc, v3, v4, vcc
	buffer_load_dword v4, off, s[0:3], s33 offset:160 ; 4-byte Folded Reload
	buffer_load_dword v5, off, s[0:3], s33 offset:164 ; 4-byte Folded Reload
	s_waitcnt vmcnt(1)
	v_add_co_u32_e32 v2, vcc, v2, v4
	s_waitcnt vmcnt(0)
	v_addc_co_u32_e32 v3, vcc, v3, v5, vcc
	v_ashrrev_i32_e32 v4, 31, v61
	v_add_co_u32_e32 v2, vcc, v2, v61
	v_addc_co_u32_e32 v3, vcc, v3, v4, vcc
	ds_write_b64 v0, v[2:3]
	v_mov_b32_e32 v2, v29
	v_mov_b32_e32 v3, v29
	ds_write_b64 v0, v[2:3]
.LBB2_1936:                             ;   in Loop: Header=BB2_1934 Depth=3
	s_or_b64 exec, exec, s[28:29]
	v_sub_u32_e32 v2, v33, v61
	v_min_i32_e32 v50, v50, v2
	v_and_b32_e32 v2, 12, v34
	v_cmp_ne_u32_e32 vcc, 0, v2
	s_and_saveexec_b64 s[40:41], vcc
	s_cbranch_execz .LBB2_1962
; %bb.1937:                             ;   in Loop: Header=BB2_1934 Depth=3
	v_and_b32_e32 v14, 8, v34
	s_waitcnt lgkmcnt(0)
	v_add_co_u32_e32 v2, vcc, v26, v14
	v_addc_co_u32_e32 v3, vcc, 0, v27, vcc
	v_add_co_u32_e32 v4, vcc, 2, v24
	v_addc_co_u32_e32 v5, vcc, 0, v25, vcc
	v_cmp_lt_u64_e32 vcc, v[2:3], v[4:5]
	s_and_saveexec_b64 s[42:43], vcc
	s_cbranch_execz .LBB2_1949
; %bb.1938:                             ;   in Loop: Header=BB2_1934 Depth=3
	v_and_b32_e32 v2, 64, v34
	s_mov_b32 s80, 0
	v_cmp_eq_u32_e32 vcc, 0, v2
	s_mov_b64 s[30:31], 0
                                        ; implicit-def: $sgpr34_sgpr35
                                        ; implicit-def: $sgpr36_sgpr37
                                        ; implicit-def: $sgpr38_sgpr39
	s_branch .LBB2_1942
.LBB2_1939:                             ;   in Loop: Header=BB2_1942 Depth=4
	s_waitcnt vmcnt(0) lgkmcnt(0)
	v_add_co_u32_e64 v8, s[28:29], v26, v14
	v_addc_co_u32_e64 v9, s[28:29], 0, v27, s[28:29]
	v_cmp_ge_u64_e64 s[28:29], v[8:9], v[4:5]
	s_or_b64 s[52:53], s[52:53], exec
	s_orn2_b64 s[50:51], s[28:29], exec
.LBB2_1940:                             ;   in Loop: Header=BB2_1942 Depth=4
	s_or_b64 exec, exec, s[64:65]
	s_andn2_b64 s[28:29], s[38:39], exec
	s_and_b64 s[38:39], s[52:53], exec
	s_or_b64 s[38:39], s[28:29], s[38:39]
	s_andn2_b64 s[28:29], s[36:37], exec
	s_and_b64 s[36:37], s[50:51], exec
	s_or_b64 s[36:37], s[28:29], s[36:37]
.LBB2_1941:                             ;   in Loop: Header=BB2_1942 Depth=4
	s_or_b64 exec, exec, s[48:49]
	s_and_b64 s[28:29], exec, s[36:37]
	s_or_b64 s[30:31], s[28:29], s[30:31]
	s_andn2_b64 s[28:29], s[34:35], exec
	s_and_b64 s[34:35], s[38:39], exec
	s_or_b64 s[34:35], s[28:29], s[34:35]
	s_andn2_b64 exec, exec, s[30:31]
	s_cbranch_execz .LBB2_1946
.LBB2_1942:                             ;   Parent Loop BB2_47 Depth=1
                                        ;     Parent Loop BB2_1931 Depth=2
                                        ;       Parent Loop BB2_1934 Depth=3
                                        ; =>      This Inner Loop Header: Depth=4
	s_sleep 1
	s_waitcnt vmcnt(0) lgkmcnt(0)
	flat_load_dwordx2 v[26:27], v[20:21] glc
	s_or_b64 s[38:39], s[38:39], exec
	s_or_b64 s[36:37], s[36:37], exec
                                        ; implicit-def: $vgpr2
	s_and_saveexec_b64 s[48:49], vcc
	s_cbranch_execz .LBB2_1941
; %bb.1943:                             ;   in Loop: Header=BB2_1942 Depth=4
	s_cmpk_lt_i32 s80, 0x270f
	s_cselect_b64 s[54:55], -1, 0
	s_cmpk_gt_i32 s80, 0x270e
	s_mov_b64 s[50:51], -1
	s_cbranch_scc0 .LBB2_1945
; %bb.1944:                             ;   in Loop: Header=BB2_1942 Depth=4
	s_trap 2
	ds_read_b64 v[2:3], v0
	s_andn2_b64 s[54:55], s[54:55], exec
	s_mov_b32 s80, 0
	s_mov_b64 s[52:53], 0
	s_waitcnt vmcnt(0) lgkmcnt(0)
	flat_load_dword v2, v[2:3] glc
	s_waitcnt vmcnt(0) lgkmcnt(0)
	buffer_wbinvl1_vol
	v_cmp_eq_u32_e64 s[28:29], 0, v2
	s_and_b64 s[28:29], s[28:29], exec
	s_or_b64 s[54:55], s[54:55], s[28:29]
	s_and_saveexec_b64 s[64:65], s[54:55]
	s_cbranch_execz .LBB2_1940
	s_branch .LBB2_1939
.LBB2_1945:                             ;   in Loop: Header=BB2_1942 Depth=4
	s_add_i32 s80, s80, 1
	s_mov_b64 s[52:53], -1
                                        ; implicit-def: $vgpr2
	s_and_saveexec_b64 s[64:65], s[54:55]
	s_cbranch_execz .LBB2_1940
	s_branch .LBB2_1939
.LBB2_1946:                             ;   in Loop: Header=BB2_1934 Depth=3
	s_or_b64 exec, exec, s[30:31]
	s_xor_b64 s[28:29], s[34:35], -1
	s_and_saveexec_b64 vcc, s[28:29]
	s_xor_b64 s[28:29], exec, vcc
	s_cbranch_execz .LBB2_1948
; %bb.1947:                             ;   in Loop: Header=BB2_1934 Depth=3
	v_or_b32_e32 v34, 64, v34
	s_waitcnt lgkmcnt(0)
	ds_write_b32 v0, v2
	s_trap 2
.LBB2_1948:                             ;   in Loop: Header=BB2_1934 Depth=3
	s_or_b64 exec, exec, s[28:29]
.LBB2_1949:                             ;   in Loop: Header=BB2_1934 Depth=3
	s_or_b64 exec, exec, s[42:43]
	v_and_b32_e32 v2, 0x108, v34
	v_cmp_ne_u32_e32 vcc, s9, v2
	;;#ASMSTART
	s_wakeup
	;;#ASMEND
                                        ; implicit-def: $vgpr2_vgpr3
	s_and_saveexec_b64 s[28:29], vcc
	s_xor_b64 s[28:29], exec, s[28:29]
; %bb.1950:                             ;   in Loop: Header=BB2_1934 Depth=3
	v_and_b32_e32 v2, 7, v24
	v_mov_b32_e32 v3, v29
                                        ; implicit-def: $vgpr24_vgpr25
; %bb.1951:                             ;   in Loop: Header=BB2_1934 Depth=3
	s_andn2_saveexec_b64 s[28:29], s[28:29]
	s_cbranch_execz .LBB2_1953
; %bb.1952:                             ;   in Loop: Header=BB2_1934 Depth=3
	buffer_load_dword v8, off, s[0:3], s33 offset:92 ; 4-byte Folded Reload
	buffer_load_dword v9, off, s[0:3], s33 offset:96 ; 4-byte Folded Reload
	;; [unrolled: 1-line block ×4, first 2 shown]
	v_and_b32_e32 v2, 7, v24
	v_mov_b32_e32 v3, v29
	v_ashrrev_i32_e32 v51, 31, v50
	s_waitcnt vmcnt(0)
	v_mad_u64_u32 v[8:9], s[42:43], v2, 24, v[8:9]
	flat_store_dwordx2 v[8:9], v[50:51] offset:8
.LBB2_1953:                             ;   in Loop: Header=BB2_1934 Depth=3
	s_or_b64 exec, exec, s[28:29]
	v_and_b32_e32 v8, 0x100, v34
	v_cmp_ne_u32_e32 vcc, 0, v8
	s_mov_b64 s[28:29], -1
                                        ; implicit-def: $vgpr8_vgpr9
	s_and_saveexec_b64 s[42:43], vcc
	s_cbranch_execz .LBB2_1957
; %bb.1954:                             ;   in Loop: Header=BB2_1934 Depth=3
	buffer_load_dword v8, off, s[0:3], s33 offset:92 ; 4-byte Folded Reload
	buffer_load_dword v9, off, s[0:3], s33 offset:96 ; 4-byte Folded Reload
	;; [unrolled: 1-line block ×4, first 2 shown]
	s_waitcnt vmcnt(0)
	v_mad_u64_u32 v[10:11], s[28:29], v2, 24, v[8:9]
	v_mov_b32_e32 v8, v11
	v_mad_u64_u32 v[8:9], s[28:29], v3, 24, v[8:9]
	v_mov_b32_e32 v11, v8
	flat_load_dword v8, v[10:11]
	s_waitcnt vmcnt(0) lgkmcnt(0)
	v_cmp_ne_u32_e32 vcc, 1, v8
	v_cmp_eq_u32_e64 s[28:29], 1, v8
                                        ; implicit-def: $vgpr8_vgpr9
	s_and_saveexec_b64 s[30:31], s[28:29]
	s_cbranch_execz .LBB2_1956
; %bb.1955:                             ;   in Loop: Header=BB2_1934 Depth=3
	flat_load_dword v8, v[10:11] offset:4 glc
	s_waitcnt vmcnt(0) lgkmcnt(0)
	v_ashrrev_i32_e32 v9, 31, v8
.LBB2_1956:                             ;   in Loop: Header=BB2_1934 Depth=3
	s_or_b64 exec, exec, s[30:31]
	s_orn2_b64 s[28:29], vcc, exec
.LBB2_1957:                             ;   in Loop: Header=BB2_1934 Depth=3
	s_or_b64 exec, exec, s[42:43]
	s_and_saveexec_b64 s[42:43], s[28:29]
	s_cbranch_execz .LBB2_1959
; %bb.1958:                             ;   in Loop: Header=BB2_1934 Depth=3
	buffer_load_dword v8, off, s[0:3], s33 offset:116 ; 4-byte Folded Reload
	buffer_load_dword v9, off, s[0:3], s33 offset:136 ; 4-byte Folded Reload
	s_waitcnt vmcnt(0)
	v_mul_lo_u32 v3, v3, v8
	v_mul_lo_u32 v10, v2, v9
	v_mad_u64_u32 v[8:9], s[28:29], v2, v8, 0
	v_add3_u32 v9, v9, v10, v3
.LBB2_1959:                             ;   in Loop: Header=BB2_1934 Depth=3
	s_or_b64 exec, exec, s[42:43]
	v_cmp_eq_u32_e32 vcc, 0, v14
	v_mov_b32_e32 v2, 0xc8
	v_mov_b32_e32 v3, 0x90
	v_cndmask_b32_e32 v10, v2, v3, vcc
	buffer_load_dword v2, off, s[0:3], s33 offset:84 ; 4-byte Folded Reload
	buffer_load_dword v3, off, s[0:3], s33 offset:88 ; 4-byte Folded Reload
	s_waitcnt vmcnt(0)
	v_add_co_u32_e32 v2, vcc, v2, v8
	v_addc_co_u32_e32 v3, vcc, v3, v9, vcc
	v_add_u32_e32 v8, v0, v10
	ds_write_b64 v8, v[2:3] offset:584
	v_and_b32_e32 v2, 0x2000, v34
	v_cmp_ne_u32_e32 vcc, 0, v2
	s_and_saveexec_b64 s[28:29], vcc
	s_cbranch_execz .LBB2_1961
; %bb.1960:                             ;   in Loop: Header=BB2_1934 Depth=3
	ds_read_b64 v[2:3], v0 offset:872
	s_waitcnt lgkmcnt(0)
	v_add_co_u32_e32 v2, vcc, 1, v2
	v_addc_co_u32_e32 v3, vcc, 0, v3, vcc
	ds_write_b64 v0, v[2:3] offset:872
.LBB2_1961:                             ;   in Loop: Header=BB2_1934 Depth=3
	s_or_b64 exec, exec, s[28:29]
	v_mov_b32_e32 v25, v5
	v_mov_b32_e32 v24, v4
.LBB2_1962:                             ;   in Loop: Header=BB2_1934 Depth=3
	s_or_b64 exec, exec, s[40:41]
	s_and_saveexec_b64 s[28:29], s[12:13]
	s_cbranch_execz .LBB2_1981
; %bb.1963:                             ;   in Loop: Header=BB2_1934 Depth=3
	s_and_saveexec_b64 s[40:41], s[58:59]
	s_xor_b64 s[40:41], exec, s[40:41]
	s_cbranch_execz .LBB2_1978
; %bb.1964:                             ;   in Loop: Header=BB2_1934 Depth=3
	s_and_saveexec_b64 s[42:43], s[6:7]
	s_cbranch_execz .LBB2_1977
; %bb.1965:                             ;   in Loop: Header=BB2_1934 Depth=3
	s_mov_b64 s[34:35], exec
	v_mbcnt_lo_u32_b32 v2, s34, 0
	v_mbcnt_hi_u32_b32 v2, s35, v2
	v_cmp_eq_u32_e32 vcc, 0, v2
	s_waitcnt vmcnt(0) lgkmcnt(0)
	buffer_wbinvl1_vol
	s_and_saveexec_b64 s[30:31], vcc
	s_cbranch_execz .LBB2_1967
; %bb.1966:                             ;   in Loop: Header=BB2_1934 Depth=3
	s_bcnt1_i32_b64 vcc_lo, s[34:35]
	v_mov_b32_e32 v2, vcc_lo
	v_mov_b32_e32 v3, v29
	ds_add_u64 v0, v[2:3]
	s_trap 2
.LBB2_1967:                             ;   in Loop: Header=BB2_1934 Depth=3
	s_or_b64 exec, exec, s[30:31]
	s_trap 2
	ds_read_b64 v[2:3], v0
	s_waitcnt lgkmcnt(0)
	v_add_co_u32_e32 v12, vcc, v12, v36
	v_addc_co_u32_e32 v13, vcc, 0, v13, vcc
	v_cmp_lt_u64_e32 vcc, v[2:3], v[12:13]
	s_and_saveexec_b64 s[30:31], vcc
	s_cbranch_execz .LBB2_1976
; %bb.1968:                             ;   in Loop: Header=BB2_1934 Depth=3
	s_mov_b32 s52, 0
	s_mov_b64 s[34:35], 0
                                        ; implicit-def: $sgpr36_sgpr37
                                        ; implicit-def: $sgpr38_sgpr39
	s_branch .LBB2_1970
.LBB2_1969:                             ;   in Loop: Header=BB2_1970 Depth=4
	s_or_b64 exec, exec, s[50:51]
	s_and_b64 vcc, exec, vcc
	s_or_b64 s[34:35], vcc, s[34:35]
	s_andn2_b64 vcc, s[36:37], exec
	s_and_b64 s[36:37], s[38:39], exec
	s_or_b64 s[36:37], vcc, s[36:37]
	s_andn2_b64 exec, exec, s[34:35]
	s_cbranch_execz .LBB2_1974
.LBB2_1970:                             ;   Parent Loop BB2_47 Depth=1
                                        ;     Parent Loop BB2_1931 Depth=2
                                        ;       Parent Loop BB2_1934 Depth=3
                                        ; =>      This Inner Loop Header: Depth=4
	s_add_i32 s52, s52, 1
	s_cmpk_lg_i32 s52, 0x2710
	s_cselect_b64 s[48:49], -1, 0
	s_and_b64 vcc, exec, s[48:49]
	s_cbranch_vccz .LBB2_1972
; %bb.1971:                             ;   in Loop: Header=BB2_1970 Depth=4
	s_mov_b64 vcc, -1
	s_or_b64 s[38:39], s[38:39], exec
	s_and_saveexec_b64 s[50:51], s[48:49]
	s_cbranch_execz .LBB2_1969
	s_branch .LBB2_1973
.LBB2_1972:                             ;   in Loop: Header=BB2_1970 Depth=4
	s_trap 2
	ds_read_b64 v[2:3], v0
	s_andn2_b64 s[48:49], s[48:49], exec
	s_mov_b32 s52, 0
	s_waitcnt lgkmcnt(0)
	flat_load_dword v2, v[2:3] glc
	s_waitcnt vmcnt(0) lgkmcnt(0)
	buffer_wbinvl1_vol
	v_cmp_eq_u32_e32 vcc, 0, v2
	s_and_b64 vcc, vcc, exec
	s_or_b64 s[48:49], s[48:49], vcc
	s_mov_b64 vcc, -1
	s_or_b64 s[38:39], s[38:39], exec
	s_and_saveexec_b64 s[50:51], s[48:49]
	s_cbranch_execz .LBB2_1969
.LBB2_1973:                             ;   in Loop: Header=BB2_1970 Depth=4
	s_sleep 1
	s_trap 2
	ds_read_b64 v[2:3], v0
	s_waitcnt lgkmcnt(0)
	s_andn2_b64 s[38:39], s[38:39], exec
	v_cmp_ge_u64_e32 vcc, v[2:3], v[12:13]
	s_orn2_b64 vcc, vcc, exec
	s_branch .LBB2_1969
.LBB2_1974:                             ;   in Loop: Header=BB2_1934 Depth=3
	s_or_b64 exec, exec, s[34:35]
	s_and_saveexec_b64 vcc, s[36:37]
	s_xor_b64 vcc, exec, vcc
	s_cbranch_execz .LBB2_1976
; %bb.1975:                             ;   in Loop: Header=BB2_1934 Depth=3
	v_mov_b32_e32 v2, 1
	ds_write_b32 v0, v2
	s_trap 2
.LBB2_1976:                             ;   in Loop: Header=BB2_1934 Depth=3
	s_or_b64 exec, exec, s[30:31]
	;;#ASMSTART
	s_wakeup
	;;#ASMEND
.LBB2_1977:                             ;   in Loop: Header=BB2_1934 Depth=3
	s_or_b64 exec, exec, s[42:43]
.LBB2_1978:                             ;   in Loop: Header=BB2_1934 Depth=3
	s_andn2_saveexec_b64 s[40:41], s[40:41]
	s_cbranch_execz .LBB2_1980
; %bb.1979:                             ;   in Loop: Header=BB2_1934 Depth=3
	s_waitcnt vmcnt(0) lgkmcnt(0)
	buffer_wbinvl1_vol
	s_barrier
.LBB2_1980:                             ;   in Loop: Header=BB2_1934 Depth=3
	s_or_b64 exec, exec, s[40:41]
.LBB2_1981:                             ;   in Loop: Header=BB2_1934 Depth=3
	s_or_b64 exec, exec, s[28:29]
	s_trap 2
	ds_read_b32 v2, v0
	v_and_b32_e32 v3, 0x4000, v34
	v_cmp_ne_u32_e32 vcc, 0, v3
	s_xor_b64 s[28:29], s[10:11], -1
	s_and_b64 s[40:41], s[28:29], vcc
	s_and_saveexec_b64 s[28:29], s[40:41]
	s_cbranch_execz .LBB2_2000
; %bb.1982:                             ;   in Loop: Header=BB2_1934 Depth=3
	s_and_saveexec_b64 s[40:41], s[58:59]
	s_xor_b64 s[40:41], exec, s[40:41]
	s_cbranch_execz .LBB2_1997
; %bb.1983:                             ;   in Loop: Header=BB2_1934 Depth=3
	s_and_saveexec_b64 s[42:43], s[6:7]
	s_cbranch_execz .LBB2_1996
; %bb.1984:                             ;   in Loop: Header=BB2_1934 Depth=3
	s_mov_b64 s[34:35], exec
	v_mbcnt_lo_u32_b32 v3, s34, 0
	v_mbcnt_hi_u32_b32 v3, s35, v3
	v_cmp_eq_u32_e32 vcc, 0, v3
	s_waitcnt vmcnt(0) lgkmcnt(0)
	buffer_wbinvl1_vol
	s_and_saveexec_b64 s[30:31], vcc
	s_cbranch_execz .LBB2_1986
; %bb.1985:                             ;   in Loop: Header=BB2_1934 Depth=3
	s_bcnt1_i32_b64 vcc_lo, s[34:35]
	v_mov_b32_e32 v3, vcc_lo
	v_mov_b32_e32 v4, v29
	ds_add_u64 v0, v[3:4]
	s_trap 2
.LBB2_1986:                             ;   in Loop: Header=BB2_1934 Depth=3
	s_or_b64 exec, exec, s[30:31]
	s_trap 2
	ds_read_b64 v[3:4], v0
	s_waitcnt lgkmcnt(0)
	v_add_co_u32_e32 v12, vcc, v12, v36
	v_addc_co_u32_e32 v13, vcc, 0, v13, vcc
	v_cmp_lt_u64_e32 vcc, v[3:4], v[12:13]
	s_and_saveexec_b64 s[30:31], vcc
	s_cbranch_execz .LBB2_1995
; %bb.1987:                             ;   in Loop: Header=BB2_1934 Depth=3
	s_mov_b32 s52, 0
	s_mov_b64 s[34:35], 0
                                        ; implicit-def: $sgpr36_sgpr37
                                        ; implicit-def: $sgpr38_sgpr39
	s_branch .LBB2_1989
.LBB2_1988:                             ;   in Loop: Header=BB2_1989 Depth=4
	s_or_b64 exec, exec, s[50:51]
	s_and_b64 vcc, exec, vcc
	s_or_b64 s[34:35], vcc, s[34:35]
	s_andn2_b64 vcc, s[36:37], exec
	s_and_b64 s[36:37], s[38:39], exec
	s_or_b64 s[36:37], vcc, s[36:37]
	s_andn2_b64 exec, exec, s[34:35]
	s_cbranch_execz .LBB2_1993
.LBB2_1989:                             ;   Parent Loop BB2_47 Depth=1
                                        ;     Parent Loop BB2_1931 Depth=2
                                        ;       Parent Loop BB2_1934 Depth=3
                                        ; =>      This Inner Loop Header: Depth=4
	s_add_i32 s52, s52, 1
	s_cmpk_lg_i32 s52, 0x2710
	s_cselect_b64 s[48:49], -1, 0
	s_and_b64 vcc, exec, s[48:49]
	s_cbranch_vccz .LBB2_1991
; %bb.1990:                             ;   in Loop: Header=BB2_1989 Depth=4
	s_mov_b64 vcc, -1
	s_or_b64 s[38:39], s[38:39], exec
	s_and_saveexec_b64 s[50:51], s[48:49]
	s_cbranch_execz .LBB2_1988
	s_branch .LBB2_1992
.LBB2_1991:                             ;   in Loop: Header=BB2_1989 Depth=4
	s_trap 2
	ds_read_b64 v[3:4], v0
	s_andn2_b64 s[48:49], s[48:49], exec
	s_mov_b32 s52, 0
	s_waitcnt lgkmcnt(0)
	flat_load_dword v3, v[3:4] glc
	s_waitcnt vmcnt(0) lgkmcnt(0)
	buffer_wbinvl1_vol
	v_cmp_eq_u32_e32 vcc, 0, v3
	s_and_b64 vcc, vcc, exec
	s_or_b64 s[48:49], s[48:49], vcc
	s_mov_b64 vcc, -1
	s_or_b64 s[38:39], s[38:39], exec
	s_and_saveexec_b64 s[50:51], s[48:49]
	s_cbranch_execz .LBB2_1988
.LBB2_1992:                             ;   in Loop: Header=BB2_1989 Depth=4
	s_sleep 1
	s_trap 2
	ds_read_b64 v[3:4], v0
	s_waitcnt lgkmcnt(0)
	s_andn2_b64 s[38:39], s[38:39], exec
	v_cmp_ge_u64_e32 vcc, v[3:4], v[12:13]
	s_orn2_b64 vcc, vcc, exec
	s_branch .LBB2_1988
.LBB2_1993:                             ;   in Loop: Header=BB2_1934 Depth=3
	s_or_b64 exec, exec, s[34:35]
	s_and_saveexec_b64 vcc, s[36:37]
	s_xor_b64 vcc, exec, vcc
	s_cbranch_execz .LBB2_1995
; %bb.1994:                             ;   in Loop: Header=BB2_1934 Depth=3
	v_mov_b32_e32 v3, 1
	ds_write_b32 v0, v3
	s_trap 2
.LBB2_1995:                             ;   in Loop: Header=BB2_1934 Depth=3
	s_or_b64 exec, exec, s[30:31]
	;;#ASMSTART
	s_wakeup
	;;#ASMEND
.LBB2_1996:                             ;   in Loop: Header=BB2_1934 Depth=3
	s_or_b64 exec, exec, s[42:43]
.LBB2_1997:                             ;   in Loop: Header=BB2_1934 Depth=3
	s_andn2_saveexec_b64 s[40:41], s[40:41]
	s_cbranch_execz .LBB2_1999
; %bb.1998:                             ;   in Loop: Header=BB2_1934 Depth=3
	s_waitcnt vmcnt(0) lgkmcnt(0)
	buffer_wbinvl1_vol
	s_barrier
.LBB2_1999:                             ;   in Loop: Header=BB2_1934 Depth=3
	s_or_b64 exec, exec, s[40:41]
.LBB2_2000:                             ;   in Loop: Header=BB2_1934 Depth=3
	s_or_b64 exec, exec, s[28:29]
	s_trap 2
	ds_read_b64 v[54:55], v0
	s_waitcnt lgkmcnt(0)
	v_cmp_eq_u64_e32 vcc, 0, v[54:55]
	s_cbranch_vccnz .LBB2_2008
; %bb.2001:                             ;   in Loop: Header=BB2_1934 Depth=3
	s_trap 2
	ds_read_b64 v[38:39], v0
	s_waitcnt lgkmcnt(0)
	v_cmp_eq_u64_e32 vcc, 0, v[38:39]
	s_cbranch_vccnz .LBB2_2008
; %bb.2002:                             ;   in Loop: Header=BB2_1934 Depth=3
	s_mov_b64 s[28:29], -1
	s_and_saveexec_b64 s[40:41], s[24:25]
	s_cbranch_execz .LBB2_2004
; %bb.2003:                             ;   in Loop: Header=BB2_1934 Depth=3
	ds_read_b32 v3, v0 offset:720
	s_waitcnt lgkmcnt(0)
	v_and_b32_e32 v3, 15, v3
	v_cmp_eq_u32_e32 vcc, 0, v3
	s_orn2_b64 s[28:29], vcc, exec
.LBB2_2004:                             ;   in Loop: Header=BB2_1934 Depth=3
	s_or_b64 exec, exec, s[40:41]
	s_and_saveexec_b64 s[40:41], s[16:17]
	s_cbranch_execz .LBB2_2006
; %bb.2005:                             ;   in Loop: Header=BB2_1934 Depth=3
	ds_read_b32 v3, v0 offset:784
	s_waitcnt lgkmcnt(0)
	v_and_b32_e32 v3, 15, v3
	v_cmp_eq_u32_e32 vcc, 0, v3
	s_and_b64 s[42:43], s[28:29], vcc
	s_andn2_b64 s[28:29], s[28:29], exec
	s_and_b64 s[42:43], s[42:43], exec
	s_or_b64 s[28:29], s[28:29], s[42:43]
.LBB2_2006:                             ;   in Loop: Header=BB2_1934 Depth=3
	s_or_b64 exec, exec, s[40:41]
	buffer_load_dword v52, off, s[0:3], s33 offset:140 ; 4-byte Folded Reload
	v_cmp_eq_u32_e32 vcc, 0, v2
	s_xor_b64 s[28:29], s[28:29], -1
	v_cndmask_b32_e32 v49, 0, v50, vcc
	v_cndmask_b32_e64 v2, 0, 1, s[28:29]
	s_mov_b64 s[42:43], -1
	v_cmp_ne_u32_e32 vcc, 0, v2
	v_mov_b32_e32 v5, 0
	v_mov_b32_e32 v51, v49
	buffer_store_dword v49, off, s[0:3], s33 offset:144 ; 4-byte Folded Spill
	s_cbranch_vccz .LBB2_2009
; %bb.2007:                             ;   in Loop: Header=BB2_1934 Depth=3
	s_and_saveexec_b64 s[40:41], s[42:43]
	s_cbranch_execnz .LBB2_4020
	s_branch .LBB2_4688
.LBB2_2008:                             ;   in Loop: Header=BB2_1934 Depth=3
	s_mov_b64 s[28:29], 0
	s_and_saveexec_b64 s[40:41], s[12:13]
	s_cbranch_execnz .LBB2_4689
	s_branch .LBB2_4707
.LBB2_2009:                             ;   in Loop: Header=BB2_1934 Depth=3
	buffer_load_dword v2, off, s[0:3], s33 offset:168 ; 4-byte Folded Reload
	s_waitcnt vmcnt(0)
	v_sub_u32_e32 v16, v49, v2
	v_ashrrev_i32_e32 v2, 31, v49
	v_lshrrev_b32_e32 v2, 22, v2
	v_add_u32_e32 v2, v49, v2
	v_ashrrev_i32_e32 v3, 10, v2
	v_and_b32_e32 v4, 0xfffffc00, v2
	buffer_load_dword v2, off, s[0:3], s33 offset:172 ; 4-byte Folded Reload
	v_sub_u32_e32 v8, v49, v4
	v_cmp_lt_i32_e64 s[28:29], 15, v8
	s_waitcnt vmcnt(0)
	v_sub_u32_e32 v2, v3, v2
	v_addc_co_u32_e64 v18, vcc, 0, v2, s[28:29]
	v_cmp_lt_i32_e32 vcc, 15, v16
	s_and_saveexec_b64 s[30:31], vcc
	s_cbranch_execz .LBB2_3013
; %bb.2010:                             ;   in Loop: Header=BB2_1934 Depth=3
	buffer_store_dword v8, off, s[0:3], s33 offset:184 ; 4-byte Folded Spill
	buffer_store_dword v4, off, s[0:3], s33 offset:148 ; 4-byte Folded Spill
	s_trap 2
	buffer_load_dword v4, off, s[0:3], s33 offset:168 ; 4-byte Folded Reload
	ds_read_b64 v[2:3], v0
	s_waitcnt lgkmcnt(0)
	v_readfirstlane_b32 s42, v2
	s_bfe_i32 s36, s42, 0x80000
	s_and_b32 s43, s42, 3
	s_bfe_u32 s40, s42, 0x50002
	s_and_b32 s41, s42, 0x7c
	s_cmpk_eq_i32 s41, 0x7c
	s_flbit_i32_b32 s41, s43
	s_waitcnt vmcnt(0)
	v_add_co_u32_e32 v42, vcc, v54, v4
	v_addc_co_u32_e32 v43, vcc, 0, v55, vcc
	v_add_co_u32_e32 v44, vcc, v2, v4
	v_addc_co_u32_e32 v45, vcc, 0, v3, vcc
	v_add_co_u32_e32 v46, vcc, v38, v4
	buffer_store_dword v38, off, s[0:3], s33 offset:176 ; 4-byte Folded Spill
	s_nop 0
	buffer_store_dword v39, off, s[0:3], s33 offset:180 ; 4-byte Folded Spill
	v_addc_co_u32_e32 v47, vcc, 0, v39, vcc
	s_cselect_b64 vcc, -1, 0
	s_min_u32 s41, s41, 32
	s_sub_i32 s34, s41, 29
	v_lshlrev_b64 v[2:3], s34, v[2:3]
	s_sub_i32 s41, 30, s41
	s_cmp_eq_u32 s40, 0
	v_and_b32_e32 v2, 3, v2
	s_cselect_b32 s34, s41, s40
	v_mov_b32_e32 v3, s43
	s_cselect_b64 s[40:41], -1, 0
	v_cndmask_b32_e64 v2, v3, v2, s[40:41]
	s_lshl_b32 s40, s42, 24
	s_and_b32 s40, s40, 0x80000000
	s_lshl_b32 s41, s34, 23
	s_add_i32 s41, s41, s40
	v_lshlrev_b32_e32 v2, 21, v2
	s_cmp_eq_u32 s43, 0
	s_sext_i32_i8 s42, s42
	v_or_b32_e32 v2, s41, v2
	s_cselect_b64 s[40:41], -1, 0
	s_cmp_gt_i32 s42, -1
	s_cselect_b64 s[42:43], -1, 0
	v_cndmask_b32_e64 v3, v7, v0, s[42:43]
	v_add_u32_e32 v2, 0x38000000, v2
	v_cndmask_b32_e64 v3, v35, v3, s[40:41]
	v_cndmask_b32_e32 v30, v2, v3, vcc
	s_mov_b64 s[34:35], 0
	s_and_b32 s50, s36, 0xff
	s_branch .LBB2_2013
.LBB2_2011:                             ;   in Loop: Header=BB2_2013 Depth=4
	s_or_b64 exec, exec, s[42:43]
.LBB2_2012:                             ;   in Loop: Header=BB2_2013 Depth=4
	s_or_b64 exec, exec, s[40:41]
	v_lshl_or_b32 v3, v15, 8, v14
	v_lshlrev_b32_e32 v4, 16, v17
	v_lshlrev_b32_e32 v10, 24, v19
	v_or3_b32 v39, v3, v4, v10
	v_lshl_or_b32 v3, v32, 8, v23
	v_lshlrev_b32_e32 v4, 16, v52
	v_lshlrev_b32_e32 v10, 24, v58
	v_or3_b32 v38, v3, v4, v10
	;; [unrolled: 4-line block ×3, first 2 shown]
	v_lshlrev_b32_e32 v2, 24, v2
	v_lshlrev_b32_e32 v3, 16, v9
	v_lshl_or_b32 v4, v8, 8, v5
	v_or3_b32 v41, v4, v3, v2
	buffer_load_dword v2, off, s[0:3], s33 offset:56 ; 4-byte Folded Reload
	v_sub_u32_e32 v18, v18, v36
	global_store_dwordx4 v[46:47], v[38:41], off glc slc
	s_waitcnt vmcnt(1)
	v_add_co_u32_e32 v42, vcc, v42, v2
	v_addc_co_u32_e32 v43, vcc, 0, v43, vcc
	v_add_co_u32_e32 v44, vcc, v44, v2
	v_addc_co_u32_e32 v45, vcc, 0, v45, vcc
	;; [unrolled: 2-line block ×3, first 2 shown]
	v_sub_u32_e32 v16, v16, v2
	v_cmp_gt_i32_e32 vcc, 16, v16
	s_or_b64 s[34:35], vcc, s[34:35]
	s_andn2_b64 exec, exec, s[34:35]
	s_cbranch_execz .LBB2_3012
.LBB2_2013:                             ;   Parent Loop BB2_47 Depth=1
                                        ;     Parent Loop BB2_1931 Depth=2
                                        ;       Parent Loop BB2_1934 Depth=3
                                        ; =>      This Inner Loop Header: Depth=4
	s_cmpk_lt_i32 s50, 0x80
	s_cbranch_scc1 .LBB2_2017
; %bb.2014:                             ;   in Loop: Header=BB2_2013 Depth=4
	s_and_b32 s42, 0xffff, s50
	s_mov_b64 s[40:41], -1
	s_cmpk_eq_i32 s42, 0x80
	s_cbranch_scc0 .LBB2_2016
; %bb.2015:                             ;   in Loop: Header=BB2_2013 Depth=4
	s_mov_b64 s[40:41], 0
.LBB2_2016:                             ;   in Loop: Header=BB2_2013 Depth=4
	s_brev_b32 s36, 1
	s_branch .LBB2_2019
.LBB2_2017:                             ;   in Loop: Header=BB2_2013 Depth=4
	s_mov_b64 s[40:41], 0
	s_brev_b32 s36, 1
	s_cbranch_execz .LBB2_2019
; %bb.2018:                             ;   in Loop: Header=BB2_2013 Depth=4
	s_and_b32 s40, 0xffff, s50
	s_cmp_lg_u32 s40, 0
	s_mov_b32 s36, 0
	s_cselect_b64 s[40:41], -1, 0
.LBB2_2019:                             ;   in Loop: Header=BB2_2013 Depth=4
	s_andn2_b64 vcc, exec, s[40:41]
	v_mov_b32_e32 v23, s36
	s_cbranch_vccnz .LBB2_2021
; %bb.2020:                             ;   in Loop: Header=BB2_2013 Depth=4
	v_mov_b32_e32 v23, v30
.LBB2_2021:                             ;   in Loop: Header=BB2_2013 Depth=4
	global_load_dwordx4 v[8:11], v[42:43], off glc slc
	v_mov_b32_e32 v2, 0
	s_waitcnt vmcnt(0)
	v_cmp_ne_u16_sdwa s[42:43], v8, v29 src0_sel:BYTE_0 src1_sel:DWORD
	s_and_saveexec_b64 s[40:41], s[42:43]
	s_cbranch_execz .LBB2_2029
; %bb.2022:                             ;   in Loop: Header=BB2_2013 Depth=4
	v_cmp_ne_u16_sdwa vcc, sext(v8), s97 src0_sel:BYTE_0 src1_sel:DWORD
	v_bfrev_b32_e32 v2, 1
	s_and_saveexec_b64 s[42:43], vcc
	s_cbranch_execz .LBB2_2028
; %bb.2023:                             ;   in Loop: Header=BB2_2013 Depth=4
	v_and_b32_e32 v2, 0x7c, v8
	v_and_b32_e32 v3, 3, v8
	v_cmp_ne_u32_e32 vcc, s85, v2
                                        ; implicit-def: $vgpr2
	s_and_saveexec_b64 s[36:37], vcc
	s_xor_b64 s[36:37], exec, s[36:37]
	s_cbranch_execz .LBB2_2025
; %bb.2024:                             ;   in Loop: Header=BB2_2013 Depth=4
	v_ffbh_u32_e32 v4, v3
	v_min_u32_e32 v14, 32, v4
	v_subrev_u32_e32 v4, 29, v14
	v_lshlrev_b64 v[4:5], v4, v[8:9]
	v_bfe_u32 v2, v8, 2, 5
	v_and_b32_e32 v4, 3, v4
	v_cmp_eq_u32_e32 vcc, 0, v2
	v_sub_u32_e32 v5, 30, v14
	v_cndmask_b32_e32 v3, v3, v4, vcc
	v_lshlrev_b32_e32 v4, 24, v8
	v_cndmask_b32_e32 v2, v2, v5, vcc
	v_and_b32_e32 v4, 0x80000000, v4
	v_lshl_add_u32 v2, v2, 23, v4
	v_lshl_or_b32 v2, v3, 21, v2
	v_add_u32_e32 v2, 0x38000000, v2
                                        ; implicit-def: $vgpr3
.LBB2_2025:                             ;   in Loop: Header=BB2_2013 Depth=4
	s_andn2_saveexec_b64 s[36:37], s[36:37]
; %bb.2026:                             ;   in Loop: Header=BB2_2013 Depth=4
	v_cmp_gt_i16_sdwa vcc, sext(v8), v48 src0_sel:BYTE_0 src1_sel:DWORD
	v_cndmask_b32_e32 v2, v7, v0, vcc
	v_cmp_eq_u32_e32 vcc, 0, v3
	v_cndmask_b32_e32 v2, v35, v2, vcc
; %bb.2027:                             ;   in Loop: Header=BB2_2013 Depth=4
	s_or_b64 exec, exec, s[36:37]
.LBB2_2028:                             ;   in Loop: Header=BB2_2013 Depth=4
	s_or_b64 exec, exec, s[42:43]
.LBB2_2029:                             ;   in Loop: Header=BB2_2013 Depth=4
	s_or_b64 exec, exec, s[40:41]
	v_mul_f32_e32 v2, v23, v2
	v_and_b32_e32 v3, 0x7f800000, v2
	v_mov_b32_e32 v4, v29
	v_cmp_ne_u64_e32 vcc, s[76:77], v[3:4]
	v_and_b32_e32 v28, 0x7fffff, v2
                                        ; implicit-def: $vgpr14
	s_and_saveexec_b64 s[40:41], vcc
	s_xor_b64 s[42:43], exec, s[40:41]
	s_cbranch_execz .LBB2_2043
; %bb.2030:                             ;   in Loop: Header=BB2_2013 Depth=4
	v_and_b32_e32 v3, 0x7fffffff, v2
	v_mov_b32_e32 v4, v29
	v_cmp_gt_u64_e32 vcc, s[78:79], v[3:4]
	v_and_b32_sdwa v5, v2, s96 dst_sel:DWORD dst_unused:UNUSED_PAD src0_sel:BYTE_3 src1_sel:DWORD
                                        ; implicit-def: $vgpr14
	s_and_saveexec_b64 s[40:41], vcc
	s_xor_b64 s[36:37], exec, s[40:41]
	s_cbranch_execz .LBB2_2040
; %bb.2031:                             ;   in Loop: Header=BB2_2013 Depth=4
	v_mov_b32_e32 v14, 0
	v_cmp_ne_u32_e32 vcc, 0, v2
	s_and_saveexec_b64 s[38:39], vcc
	s_cbranch_execz .LBB2_2039
; %bb.2032:                             ;   in Loop: Header=BB2_2013 Depth=4
	v_bfe_u32 v14, v2, 23, 8
	v_cmp_gt_u32_e64 s[40:41], s46, v14
	v_sub_u32_e32 v2, 0x71, v14
	v_cmp_eq_u32_e32 vcc, 0, v14
	v_cndmask_b32_e64 v2, 0, v2, s[40:41]
	v_mov_b32_e32 v4, 0x70
	v_cndmask_b32_e32 v15, v2, v4, vcc
	v_or_b32_e32 v3, 0x800000, v28
	v_add_u32_e32 v2, 21, v15
	v_cndmask_b32_e32 v28, v3, v28, vcc
	v_lshlrev_b64 v[2:3], v2, -1
	v_add_u32_e32 v4, 20, v15
	v_lshlrev_b64 v[31:32], v4, 1
	v_bfi_b32 v3, v3, 0, 0
	v_bfi_b32 v2, v2, 0, v28
	v_cmp_eq_u64_e64 s[40:41], v[2:3], v[31:32]
	v_lshrrev_b64 v[2:3], v15, v[28:29]
	v_mov_b32_e32 v4, v3
	v_mov_b32_e32 v3, v2
	s_and_saveexec_b64 s[48:49], s[40:41]
; %bb.2033:                             ;   in Loop: Header=BB2_2013 Depth=4
	v_bfe_u32 v3, v2, 21, 1
	v_add_co_u32_e64 v3, s[40:41], v2, v3
	v_add_co_u32_e64 v3, s[40:41], -1, v3
; %bb.2034:                             ;   in Loop: Header=BB2_2013 Depth=4
	s_or_b64 exec, exec, s[48:49]
	v_add_u32_e32 v4, 0xffffff81, v14
	v_cndmask_b32_e32 v4, v4, v1, vcc
	v_lshrrev_b32_e32 v14, 23, v2
	v_add3_u32 v15, v15, v4, v14
	v_add_u32_e32 v14, 14, v15
	v_and_b32_e32 v3, 0x1fffff, v3
	v_add_u32_e32 v28, v3, v2
	v_cmp_ne_u32_e32 vcc, 0, v14
                                        ; implicit-def: $vgpr2_vgpr3
                                        ; implicit-def: $vgpr4
	s_and_saveexec_b64 s[40:41], vcc
	s_xor_b64 s[40:41], exec, s[40:41]
; %bb.2035:                             ;   in Loop: Header=BB2_2013 Depth=4
	v_cmp_lt_u64_e32 vcc, s[88:89], v[28:29]
	v_add_u32_e32 v2, 15, v15
	v_cndmask_b32_e32 v4, v14, v2, vcc
	v_cndmask_b32_e64 v2, 0, 1, vcc
	v_lshrrev_b64 v[2:3], v2, v[28:29]
; %bb.2036:                             ;   in Loop: Header=BB2_2013 Depth=4
	s_andn2_saveexec_b64 s[40:41], s[40:41]
; %bb.2037:                             ;   in Loop: Header=BB2_2013 Depth=4
	v_mov_b32_e32 v2, v28
	v_bfe_u32 v4, v28, 23, 1
	v_mov_b32_e32 v3, v29
; %bb.2038:                             ;   in Loop: Header=BB2_2013 Depth=4
	s_or_b64 exec, exec, s[40:41]
	v_lshrrev_b64 v[2:3], 21, v[2:3]
	v_cmp_gt_i32_e32 vcc, 32, v4
	v_cndmask_b32_e32 v3, 0, v3, vcc
	v_cndmask_b32_e32 v2, 3, v2, vcc
	v_cmp_eq_u64_e64 s[40:41], 0, v[2:3]
	v_min_i32_e32 v3, 31, v4
	v_lshlrev_b32_e32 v3, 2, v3
	v_cmp_eq_u32_e32 vcc, 0, v4
	v_and_b32_e32 v3, 0xfc, v3
	v_and_or_b32 v2, v2, 3, v3
	s_and_b64 s[40:41], vcc, s[40:41]
	v_cndmask_b32_e64 v2, v2, 0, s[40:41]
	v_or_b32_e32 v14, v2, v5
.LBB2_2039:                             ;   in Loop: Header=BB2_2013 Depth=4
	s_or_b64 exec, exec, s[38:39]
                                        ; implicit-def: $vgpr5
.LBB2_2040:                             ;   in Loop: Header=BB2_2013 Depth=4
	s_andn2_saveexec_b64 s[40:41], s[36:37]
; %bb.2041:                             ;   in Loop: Header=BB2_2013 Depth=4
	v_or_b32_e32 v14, 0x7b, v5
; %bb.2042:                             ;   in Loop: Header=BB2_2013 Depth=4
	s_or_b64 exec, exec, s[40:41]
                                        ; implicit-def: $vgpr2
.LBB2_2043:                             ;   in Loop: Header=BB2_2013 Depth=4
	s_andn2_saveexec_b64 s[40:41], s[42:43]
	s_cbranch_execz .LBB2_2049
; %bb.2044:                             ;   in Loop: Header=BB2_2013 Depth=4
	v_cmp_ne_u64_e32 vcc, 0, v[28:29]
                                        ; implicit-def: $vgpr14
	s_and_saveexec_b64 s[42:43], vcc
	s_xor_b64 s[42:43], exec, s[42:43]
; %bb.2045:                             ;   in Loop: Header=BB2_2013 Depth=4
	v_or_b32_sdwa v14, v2, s47 dst_sel:DWORD dst_unused:UNUSED_PAD src0_sel:BYTE_3 src1_sel:DWORD
                                        ; implicit-def: $vgpr2
; %bb.2046:                             ;   in Loop: Header=BB2_2013 Depth=4
	s_andn2_saveexec_b64 s[42:43], s[42:43]
; %bb.2047:                             ;   in Loop: Header=BB2_2013 Depth=4
	v_cmp_lt_i32_e32 vcc, -1, v2
	v_cndmask_b32_e32 v14, v6, v22, vcc
; %bb.2048:                             ;   in Loop: Header=BB2_2013 Depth=4
	s_or_b64 exec, exec, s[42:43]
.LBB2_2049:                             ;   in Loop: Header=BB2_2013 Depth=4
	s_or_b64 exec, exec, s[40:41]
	v_lshrrev_b16_e32 v28, 8, v8
	v_cmp_ne_u16_e32 vcc, 0, v28
	v_mov_b32_e32 v2, 0
	s_and_saveexec_b64 s[40:41], vcc
	s_cbranch_execz .LBB2_2057
; %bb.2050:                             ;   in Loop: Header=BB2_2013 Depth=4
	v_cmp_ne_u16_e32 vcc, s96, v28
	v_bfrev_b32_e32 v2, 1
	s_and_saveexec_b64 s[42:43], vcc
	s_cbranch_execz .LBB2_2056
; %bb.2051:                             ;   in Loop: Header=BB2_2013 Depth=4
	v_and_b32_e32 v2, 0x7c, v28
	v_and_b32_e32 v3, 3, v28
	v_cmp_ne_u32_e32 vcc, s85, v2
                                        ; implicit-def: $vgpr2
	s_and_saveexec_b64 s[36:37], vcc
	s_xor_b64 s[36:37], exec, s[36:37]
	s_cbranch_execz .LBB2_2053
; %bb.2052:                             ;   in Loop: Header=BB2_2013 Depth=4
	v_ffbh_u32_e32 v4, v3
	v_min_u32_e32 v15, 32, v4
	v_subrev_u32_e32 v4, 29, v15
	v_lshlrev_b64 v[4:5], v4, v[28:29]
	v_bfe_u32 v2, v28, 2, 5
	v_and_b32_e32 v4, 3, v4
	v_cmp_eq_u32_e32 vcc, 0, v2
	v_sub_u32_e32 v5, 30, v15
	v_cndmask_b32_e32 v3, v3, v4, vcc
	v_lshlrev_b32_e32 v4, 16, v8
	v_cndmask_b32_e32 v2, v2, v5, vcc
	v_and_b32_e32 v4, 0x80000000, v4
	v_lshl_add_u32 v2, v2, 23, v4
	v_lshl_or_b32 v2, v3, 21, v2
	v_add_u32_e32 v2, 0x38000000, v2
                                        ; implicit-def: $vgpr3
.LBB2_2053:                             ;   in Loop: Header=BB2_2013 Depth=4
	s_andn2_saveexec_b64 s[36:37], s[36:37]
; %bb.2054:                             ;   in Loop: Header=BB2_2013 Depth=4
	v_cmp_lt_i16_e32 vcc, -1, v8
	v_cndmask_b32_e32 v2, v7, v0, vcc
	v_cmp_eq_u32_e32 vcc, 0, v3
	v_cndmask_b32_e32 v2, v35, v2, vcc
; %bb.2055:                             ;   in Loop: Header=BB2_2013 Depth=4
	s_or_b64 exec, exec, s[36:37]
.LBB2_2056:                             ;   in Loop: Header=BB2_2013 Depth=4
	s_or_b64 exec, exec, s[42:43]
.LBB2_2057:                             ;   in Loop: Header=BB2_2013 Depth=4
	s_or_b64 exec, exec, s[40:41]
	v_mul_f32_e32 v2, v23, v2
	v_and_b32_e32 v3, 0x7f800000, v2
	v_mov_b32_e32 v4, v29
	v_cmp_ne_u64_e32 vcc, s[76:77], v[3:4]
	v_and_b32_e32 v28, 0x7fffff, v2
                                        ; implicit-def: $vgpr32
	s_and_saveexec_b64 s[40:41], vcc
	s_xor_b64 s[42:43], exec, s[40:41]
	s_cbranch_execz .LBB2_2071
; %bb.2058:                             ;   in Loop: Header=BB2_2013 Depth=4
	v_and_b32_e32 v3, 0x7fffffff, v2
	v_mov_b32_e32 v4, v29
	v_cmp_gt_u64_e32 vcc, s[78:79], v[3:4]
	v_and_b32_sdwa v5, v2, s96 dst_sel:DWORD dst_unused:UNUSED_PAD src0_sel:BYTE_3 src1_sel:DWORD
                                        ; implicit-def: $vgpr32
	s_and_saveexec_b64 s[40:41], vcc
	s_xor_b64 s[36:37], exec, s[40:41]
	s_cbranch_execz .LBB2_2068
; %bb.2059:                             ;   in Loop: Header=BB2_2013 Depth=4
	v_mov_b32_e32 v32, 0
	v_cmp_ne_u32_e32 vcc, 0, v2
	s_and_saveexec_b64 s[38:39], vcc
	s_cbranch_execz .LBB2_2067
; %bb.2060:                             ;   in Loop: Header=BB2_2013 Depth=4
	v_bfe_u32 v15, v2, 23, 8
	v_cmp_gt_u32_e64 s[40:41], s46, v15
	v_sub_u32_e32 v2, 0x71, v15
	v_cmp_eq_u32_e32 vcc, 0, v15
	v_cndmask_b32_e64 v2, 0, v2, s[40:41]
	v_mov_b32_e32 v4, 0x70
	v_cndmask_b32_e32 v17, v2, v4, vcc
	v_or_b32_e32 v3, 0x800000, v28
	v_add_u32_e32 v2, 21, v17
	v_cndmask_b32_e32 v28, v3, v28, vcc
	v_lshlrev_b64 v[2:3], v2, -1
	v_add_u32_e32 v4, 20, v17
	v_lshlrev_b64 v[31:32], v4, 1
	v_bfi_b32 v3, v3, 0, 0
	v_bfi_b32 v2, v2, 0, v28
	v_cmp_eq_u64_e64 s[40:41], v[2:3], v[31:32]
	v_lshrrev_b64 v[2:3], v17, v[28:29]
	v_mov_b32_e32 v4, v3
	v_mov_b32_e32 v3, v2
	s_and_saveexec_b64 s[48:49], s[40:41]
; %bb.2061:                             ;   in Loop: Header=BB2_2013 Depth=4
	v_bfe_u32 v3, v2, 21, 1
	v_add_co_u32_e64 v3, s[40:41], v2, v3
	v_add_co_u32_e64 v3, s[40:41], -1, v3
; %bb.2062:                             ;   in Loop: Header=BB2_2013 Depth=4
	s_or_b64 exec, exec, s[48:49]
	v_add_u32_e32 v4, 0xffffff81, v15
	v_cndmask_b32_e32 v4, v4, v1, vcc
	v_lshrrev_b32_e32 v15, 23, v2
	v_add3_u32 v17, v17, v4, v15
	v_add_u32_e32 v15, 14, v17
	v_and_b32_e32 v3, 0x1fffff, v3
	v_add_u32_e32 v28, v3, v2
	v_cmp_ne_u32_e32 vcc, 0, v15
                                        ; implicit-def: $vgpr2_vgpr3
                                        ; implicit-def: $vgpr4
	s_and_saveexec_b64 s[40:41], vcc
	s_xor_b64 s[40:41], exec, s[40:41]
; %bb.2063:                             ;   in Loop: Header=BB2_2013 Depth=4
	v_cmp_lt_u64_e32 vcc, s[88:89], v[28:29]
	v_add_u32_e32 v2, 15, v17
	v_cndmask_b32_e32 v4, v15, v2, vcc
	v_cndmask_b32_e64 v2, 0, 1, vcc
	v_lshrrev_b64 v[2:3], v2, v[28:29]
; %bb.2064:                             ;   in Loop: Header=BB2_2013 Depth=4
	s_andn2_saveexec_b64 s[40:41], s[40:41]
; %bb.2065:                             ;   in Loop: Header=BB2_2013 Depth=4
	v_mov_b32_e32 v2, v28
	v_bfe_u32 v4, v28, 23, 1
	v_mov_b32_e32 v3, v29
; %bb.2066:                             ;   in Loop: Header=BB2_2013 Depth=4
	s_or_b64 exec, exec, s[40:41]
	v_lshrrev_b64 v[2:3], 21, v[2:3]
	v_cmp_gt_i32_e32 vcc, 32, v4
	v_cndmask_b32_e32 v3, 0, v3, vcc
	v_cndmask_b32_e32 v2, 3, v2, vcc
	v_cmp_eq_u64_e64 s[40:41], 0, v[2:3]
	v_min_i32_e32 v3, 31, v4
	v_lshlrev_b32_e32 v3, 2, v3
	v_cmp_eq_u32_e32 vcc, 0, v4
	v_and_b32_e32 v3, 0xfc, v3
	v_and_or_b32 v2, v2, 3, v3
	s_and_b64 s[40:41], vcc, s[40:41]
	v_cndmask_b32_e64 v2, v2, 0, s[40:41]
	v_or_b32_e32 v32, v2, v5
.LBB2_2067:                             ;   in Loop: Header=BB2_2013 Depth=4
	s_or_b64 exec, exec, s[38:39]
                                        ; implicit-def: $vgpr5
.LBB2_2068:                             ;   in Loop: Header=BB2_2013 Depth=4
	s_andn2_saveexec_b64 s[40:41], s[36:37]
; %bb.2069:                             ;   in Loop: Header=BB2_2013 Depth=4
	v_or_b32_e32 v32, 0x7b, v5
; %bb.2070:                             ;   in Loop: Header=BB2_2013 Depth=4
	s_or_b64 exec, exec, s[40:41]
                                        ; implicit-def: $vgpr2
.LBB2_2071:                             ;   in Loop: Header=BB2_2013 Depth=4
	s_andn2_saveexec_b64 s[40:41], s[42:43]
	s_cbranch_execz .LBB2_2077
; %bb.2072:                             ;   in Loop: Header=BB2_2013 Depth=4
	v_cmp_ne_u64_e32 vcc, 0, v[28:29]
                                        ; implicit-def: $vgpr32
	s_and_saveexec_b64 s[42:43], vcc
	s_xor_b64 s[42:43], exec, s[42:43]
; %bb.2073:                             ;   in Loop: Header=BB2_2013 Depth=4
	v_or_b32_sdwa v32, v2, s47 dst_sel:DWORD dst_unused:UNUSED_PAD src0_sel:BYTE_3 src1_sel:DWORD
                                        ; implicit-def: $vgpr2
; %bb.2074:                             ;   in Loop: Header=BB2_2013 Depth=4
	s_andn2_saveexec_b64 s[42:43], s[42:43]
; %bb.2075:                             ;   in Loop: Header=BB2_2013 Depth=4
	v_cmp_lt_i32_e32 vcc, -1, v2
	v_cndmask_b32_e32 v32, v6, v22, vcc
; %bb.2076:                             ;   in Loop: Header=BB2_2013 Depth=4
	s_or_b64 exec, exec, s[42:43]
.LBB2_2077:                             ;   in Loop: Header=BB2_2013 Depth=4
	s_or_b64 exec, exec, s[40:41]
	v_lshrrev_b32_e32 v2, 16, v8
	v_cmp_ne_u16_sdwa s[42:43], v2, v29 src0_sel:BYTE_0 src1_sel:DWORD
	v_mov_b32_e32 v3, 0
	s_and_saveexec_b64 s[40:41], s[42:43]
	s_cbranch_execz .LBB2_2085
; %bb.2078:                             ;   in Loop: Header=BB2_2013 Depth=4
	v_cmp_ne_u16_sdwa vcc, v2, s96 src0_sel:BYTE_0 src1_sel:DWORD
	v_bfrev_b32_e32 v3, 1
	s_and_saveexec_b64 s[42:43], vcc
	s_cbranch_execz .LBB2_2084
; %bb.2079:                             ;   in Loop: Header=BB2_2013 Depth=4
	v_and_b32_e32 v3, 0x7c0000, v8
	v_bfe_u32 v4, v8, 16, 2
	v_cmp_ne_u32_e32 vcc, s44, v3
                                        ; implicit-def: $vgpr3
	s_and_saveexec_b64 s[36:37], vcc
	s_xor_b64 s[36:37], exec, s[36:37]
	s_cbranch_execz .LBB2_2081
; %bb.2080:                             ;   in Loop: Header=BB2_2013 Depth=4
	v_ffbh_u32_e32 v3, v4
	v_min_u32_e32 v15, 32, v3
	v_subrev_u32_e32 v3, 29, v15
	v_lshlrev_b64 v[2:3], v3, v[2:3]
	v_bfe_u32 v5, v8, 18, 5
	v_and_b32_e32 v2, 3, v2
	v_cmp_eq_u32_e32 vcc, 0, v5
	v_sub_u32_e32 v3, 30, v15
	v_cndmask_b32_e32 v2, v4, v2, vcc
	v_lshlrev_b32_e32 v4, 8, v8
	v_cndmask_b32_e32 v3, v5, v3, vcc
	v_and_b32_e32 v4, 0x80000000, v4
	v_lshl_add_u32 v3, v3, 23, v4
	v_lshl_or_b32 v2, v2, 21, v3
	v_add_u32_e32 v3, 0x38000000, v2
                                        ; implicit-def: $vgpr4
                                        ; implicit-def: $vgpr2
.LBB2_2081:                             ;   in Loop: Header=BB2_2013 Depth=4
	s_andn2_saveexec_b64 s[36:37], s[36:37]
; %bb.2082:                             ;   in Loop: Header=BB2_2013 Depth=4
	v_cmp_gt_i16_sdwa vcc, sext(v2), v48 src0_sel:BYTE_0 src1_sel:DWORD
	v_cndmask_b32_e32 v2, v7, v0, vcc
	v_cmp_eq_u32_e32 vcc, 0, v4
	v_cndmask_b32_e32 v3, v35, v2, vcc
; %bb.2083:                             ;   in Loop: Header=BB2_2013 Depth=4
	s_or_b64 exec, exec, s[36:37]
.LBB2_2084:                             ;   in Loop: Header=BB2_2013 Depth=4
	s_or_b64 exec, exec, s[42:43]
.LBB2_2085:                             ;   in Loop: Header=BB2_2013 Depth=4
	s_or_b64 exec, exec, s[40:41]
	v_mul_f32_e32 v2, v23, v3
	v_and_b32_e32 v3, 0x7f800000, v2
	v_mov_b32_e32 v4, v29
	v_cmp_ne_u64_e32 vcc, s[76:77], v[3:4]
	v_and_b32_e32 v28, 0x7fffff, v2
                                        ; implicit-def: $vgpr52
	s_and_saveexec_b64 s[40:41], vcc
	s_xor_b64 s[42:43], exec, s[40:41]
	s_cbranch_execz .LBB2_2099
; %bb.2086:                             ;   in Loop: Header=BB2_2013 Depth=4
	v_and_b32_e32 v3, 0x7fffffff, v2
	v_mov_b32_e32 v4, v29
	v_cmp_gt_u64_e32 vcc, s[78:79], v[3:4]
	v_and_b32_sdwa v5, v2, s96 dst_sel:DWORD dst_unused:UNUSED_PAD src0_sel:BYTE_3 src1_sel:DWORD
                                        ; implicit-def: $vgpr52
	s_and_saveexec_b64 s[40:41], vcc
	s_xor_b64 s[36:37], exec, s[40:41]
	s_cbranch_execz .LBB2_2096
; %bb.2087:                             ;   in Loop: Header=BB2_2013 Depth=4
	v_mov_b32_e32 v52, 0
	v_cmp_ne_u32_e32 vcc, 0, v2
	s_and_saveexec_b64 s[38:39], vcc
	s_cbranch_execz .LBB2_2095
; %bb.2088:                             ;   in Loop: Header=BB2_2013 Depth=4
	v_bfe_u32 v15, v2, 23, 8
	v_cmp_gt_u32_e64 s[40:41], s46, v15
	v_sub_u32_e32 v2, 0x71, v15
	v_cmp_eq_u32_e32 vcc, 0, v15
	v_cndmask_b32_e64 v2, 0, v2, s[40:41]
	v_mov_b32_e32 v4, 0x70
	v_cndmask_b32_e32 v17, v2, v4, vcc
	v_or_b32_e32 v3, 0x800000, v28
	v_add_u32_e32 v2, 21, v17
	v_cndmask_b32_e32 v28, v3, v28, vcc
	v_lshlrev_b64 v[2:3], v2, -1
	v_add_u32_e32 v4, 20, v17
	v_lshlrev_b64 v[37:38], v4, 1
	v_bfi_b32 v3, v3, 0, 0
	v_bfi_b32 v2, v2, 0, v28
	v_cmp_eq_u64_e64 s[40:41], v[2:3], v[37:38]
	v_lshrrev_b64 v[2:3], v17, v[28:29]
	v_mov_b32_e32 v4, v3
	v_mov_b32_e32 v3, v2
	s_and_saveexec_b64 s[48:49], s[40:41]
; %bb.2089:                             ;   in Loop: Header=BB2_2013 Depth=4
	v_bfe_u32 v3, v2, 21, 1
	v_add_co_u32_e64 v3, s[40:41], v2, v3
	v_add_co_u32_e64 v3, s[40:41], -1, v3
; %bb.2090:                             ;   in Loop: Header=BB2_2013 Depth=4
	s_or_b64 exec, exec, s[48:49]
	v_add_u32_e32 v4, 0xffffff81, v15
	v_cndmask_b32_e32 v4, v4, v1, vcc
	v_lshrrev_b32_e32 v15, 23, v2
	v_add3_u32 v17, v17, v4, v15
	v_add_u32_e32 v15, 14, v17
	v_and_b32_e32 v3, 0x1fffff, v3
	v_add_u32_e32 v28, v3, v2
	v_cmp_ne_u32_e32 vcc, 0, v15
                                        ; implicit-def: $vgpr2_vgpr3
                                        ; implicit-def: $vgpr4
	s_and_saveexec_b64 s[40:41], vcc
	s_xor_b64 s[40:41], exec, s[40:41]
; %bb.2091:                             ;   in Loop: Header=BB2_2013 Depth=4
	v_cmp_lt_u64_e32 vcc, s[88:89], v[28:29]
	v_add_u32_e32 v2, 15, v17
	v_cndmask_b32_e32 v4, v15, v2, vcc
	v_cndmask_b32_e64 v2, 0, 1, vcc
	v_lshrrev_b64 v[2:3], v2, v[28:29]
; %bb.2092:                             ;   in Loop: Header=BB2_2013 Depth=4
	s_andn2_saveexec_b64 s[40:41], s[40:41]
; %bb.2093:                             ;   in Loop: Header=BB2_2013 Depth=4
	v_mov_b32_e32 v2, v28
	v_bfe_u32 v4, v28, 23, 1
	v_mov_b32_e32 v3, v29
; %bb.2094:                             ;   in Loop: Header=BB2_2013 Depth=4
	s_or_b64 exec, exec, s[40:41]
	v_lshrrev_b64 v[2:3], 21, v[2:3]
	v_cmp_gt_i32_e32 vcc, 32, v4
	v_cndmask_b32_e32 v3, 0, v3, vcc
	v_cndmask_b32_e32 v2, 3, v2, vcc
	v_cmp_eq_u64_e64 s[40:41], 0, v[2:3]
	v_min_i32_e32 v3, 31, v4
	v_lshlrev_b32_e32 v3, 2, v3
	v_cmp_eq_u32_e32 vcc, 0, v4
	v_and_b32_e32 v3, 0xfc, v3
	v_and_or_b32 v2, v2, 3, v3
	s_and_b64 s[40:41], vcc, s[40:41]
	v_cndmask_b32_e64 v2, v2, 0, s[40:41]
	v_or_b32_e32 v52, v2, v5
.LBB2_2095:                             ;   in Loop: Header=BB2_2013 Depth=4
	s_or_b64 exec, exec, s[38:39]
                                        ; implicit-def: $vgpr5
.LBB2_2096:                             ;   in Loop: Header=BB2_2013 Depth=4
	s_andn2_saveexec_b64 s[40:41], s[36:37]
; %bb.2097:                             ;   in Loop: Header=BB2_2013 Depth=4
	v_or_b32_e32 v52, 0x7b, v5
; %bb.2098:                             ;   in Loop: Header=BB2_2013 Depth=4
	s_or_b64 exec, exec, s[40:41]
                                        ; implicit-def: $vgpr2
.LBB2_2099:                             ;   in Loop: Header=BB2_2013 Depth=4
	s_andn2_saveexec_b64 s[40:41], s[42:43]
	s_cbranch_execz .LBB2_2105
; %bb.2100:                             ;   in Loop: Header=BB2_2013 Depth=4
	v_cmp_ne_u64_e32 vcc, 0, v[28:29]
                                        ; implicit-def: $vgpr52
	s_and_saveexec_b64 s[42:43], vcc
	s_xor_b64 s[42:43], exec, s[42:43]
; %bb.2101:                             ;   in Loop: Header=BB2_2013 Depth=4
	v_or_b32_sdwa v52, v2, s47 dst_sel:DWORD dst_unused:UNUSED_PAD src0_sel:BYTE_3 src1_sel:DWORD
                                        ; implicit-def: $vgpr2
; %bb.2102:                             ;   in Loop: Header=BB2_2013 Depth=4
	s_andn2_saveexec_b64 s[42:43], s[42:43]
; %bb.2103:                             ;   in Loop: Header=BB2_2013 Depth=4
	v_cmp_lt_i32_e32 vcc, -1, v2
	v_cndmask_b32_e32 v52, v6, v22, vcc
; %bb.2104:                             ;   in Loop: Header=BB2_2013 Depth=4
	s_or_b64 exec, exec, s[42:43]
.LBB2_2105:                             ;   in Loop: Header=BB2_2013 Depth=4
	s_or_b64 exec, exec, s[40:41]
	v_cmp_lt_u32_e32 vcc, s57, v8
	v_mov_b32_e32 v3, 0
	s_and_saveexec_b64 s[40:41], vcc
	s_cbranch_execz .LBB2_2113
; %bb.2106:                             ;   in Loop: Header=BB2_2013 Depth=4
	v_lshrrev_b32_e32 v2, 24, v8
	v_cmp_ne_u32_e32 vcc, s96, v2
	v_bfrev_b32_e32 v3, 1
	s_and_saveexec_b64 s[42:43], vcc
	s_cbranch_execz .LBB2_2112
; %bb.2107:                             ;   in Loop: Header=BB2_2013 Depth=4
	v_and_b32_e32 v3, 0x7c000000, v8
	v_bfe_u32 v4, v8, 24, 2
	v_cmp_ne_u32_e32 vcc, s45, v3
                                        ; implicit-def: $vgpr3
	s_and_saveexec_b64 s[36:37], vcc
	s_xor_b64 s[36:37], exec, s[36:37]
	s_cbranch_execz .LBB2_2109
; %bb.2108:                             ;   in Loop: Header=BB2_2013 Depth=4
	v_ffbh_u32_e32 v3, v4
	v_min_u32_e32 v15, 32, v3
	v_subrev_u32_e32 v3, 29, v15
	v_lshlrev_b64 v[2:3], v3, v[2:3]
	v_bfe_u32 v5, v8, 26, 5
	v_sub_u32_e32 v3, 30, v15
	v_and_b32_e32 v2, 3, v2
	v_cmp_eq_u32_e32 vcc, 0, v5
	v_cndmask_b32_e32 v3, v5, v3, vcc
	v_cndmask_b32_e32 v2, v4, v2, vcc
	v_and_b32_e32 v4, 0x80000000, v8
	v_lshl_add_u32 v3, v3, 23, v4
	v_lshl_or_b32 v2, v2, 21, v3
	v_add_u32_e32 v3, 0x38000000, v2
                                        ; implicit-def: $vgpr4
.LBB2_2109:                             ;   in Loop: Header=BB2_2013 Depth=4
	s_andn2_saveexec_b64 s[36:37], s[36:37]
; %bb.2110:                             ;   in Loop: Header=BB2_2013 Depth=4
	v_cmp_lt_i32_e32 vcc, -1, v8
	v_cndmask_b32_e32 v2, v7, v0, vcc
	v_cmp_eq_u32_e32 vcc, 0, v4
	v_cndmask_b32_e32 v3, v35, v2, vcc
; %bb.2111:                             ;   in Loop: Header=BB2_2013 Depth=4
	s_or_b64 exec, exec, s[36:37]
.LBB2_2112:                             ;   in Loop: Header=BB2_2013 Depth=4
	s_or_b64 exec, exec, s[42:43]
.LBB2_2113:                             ;   in Loop: Header=BB2_2013 Depth=4
	s_or_b64 exec, exec, s[40:41]
	v_mul_f32_e32 v2, v23, v3
	v_and_b32_e32 v3, 0x7f800000, v2
	v_mov_b32_e32 v4, v29
	v_cmp_ne_u64_e32 vcc, s[76:77], v[3:4]
	v_and_b32_e32 v28, 0x7fffff, v2
                                        ; implicit-def: $vgpr58
	s_and_saveexec_b64 s[40:41], vcc
	s_xor_b64 s[42:43], exec, s[40:41]
	s_cbranch_execz .LBB2_2127
; %bb.2114:                             ;   in Loop: Header=BB2_2013 Depth=4
	v_and_b32_e32 v3, 0x7fffffff, v2
	v_mov_b32_e32 v4, v29
	v_cmp_gt_u64_e32 vcc, s[78:79], v[3:4]
	v_and_b32_sdwa v5, v2, s96 dst_sel:DWORD dst_unused:UNUSED_PAD src0_sel:BYTE_3 src1_sel:DWORD
                                        ; implicit-def: $vgpr58
	s_and_saveexec_b64 s[40:41], vcc
	s_xor_b64 s[36:37], exec, s[40:41]
	s_cbranch_execz .LBB2_2124
; %bb.2115:                             ;   in Loop: Header=BB2_2013 Depth=4
	v_mov_b32_e32 v58, 0
	v_cmp_ne_u32_e32 vcc, 0, v2
	s_and_saveexec_b64 s[38:39], vcc
	s_cbranch_execz .LBB2_2123
; %bb.2116:                             ;   in Loop: Header=BB2_2013 Depth=4
	v_bfe_u32 v15, v2, 23, 8
	v_cmp_gt_u32_e64 s[40:41], s46, v15
	v_sub_u32_e32 v2, 0x71, v15
	v_cmp_eq_u32_e32 vcc, 0, v15
	v_cndmask_b32_e64 v2, 0, v2, s[40:41]
	v_mov_b32_e32 v4, 0x70
	v_cndmask_b32_e32 v17, v2, v4, vcc
	v_or_b32_e32 v3, 0x800000, v28
	v_add_u32_e32 v2, 21, v17
	v_cndmask_b32_e32 v28, v3, v28, vcc
	v_lshlrev_b64 v[2:3], v2, -1
	v_add_u32_e32 v4, 20, v17
	v_lshlrev_b64 v[37:38], v4, 1
	v_bfi_b32 v3, v3, 0, 0
	v_bfi_b32 v2, v2, 0, v28
	v_cmp_eq_u64_e64 s[40:41], v[2:3], v[37:38]
	v_lshrrev_b64 v[2:3], v17, v[28:29]
	v_mov_b32_e32 v4, v3
	v_mov_b32_e32 v3, v2
	s_and_saveexec_b64 s[48:49], s[40:41]
; %bb.2117:                             ;   in Loop: Header=BB2_2013 Depth=4
	v_bfe_u32 v3, v2, 21, 1
	v_add_co_u32_e64 v3, s[40:41], v2, v3
	v_add_co_u32_e64 v3, s[40:41], -1, v3
; %bb.2118:                             ;   in Loop: Header=BB2_2013 Depth=4
	s_or_b64 exec, exec, s[48:49]
	v_add_u32_e32 v4, 0xffffff81, v15
	v_cndmask_b32_e32 v4, v4, v1, vcc
	v_lshrrev_b32_e32 v15, 23, v2
	v_add3_u32 v17, v17, v4, v15
	v_add_u32_e32 v15, 14, v17
	v_and_b32_e32 v3, 0x1fffff, v3
	v_add_u32_e32 v28, v3, v2
	v_cmp_ne_u32_e32 vcc, 0, v15
                                        ; implicit-def: $vgpr2_vgpr3
                                        ; implicit-def: $vgpr4
	s_and_saveexec_b64 s[40:41], vcc
	s_xor_b64 s[40:41], exec, s[40:41]
; %bb.2119:                             ;   in Loop: Header=BB2_2013 Depth=4
	v_cmp_lt_u64_e32 vcc, s[88:89], v[28:29]
	v_add_u32_e32 v2, 15, v17
	v_cndmask_b32_e32 v4, v15, v2, vcc
	v_cndmask_b32_e64 v2, 0, 1, vcc
	v_lshrrev_b64 v[2:3], v2, v[28:29]
; %bb.2120:                             ;   in Loop: Header=BB2_2013 Depth=4
	s_andn2_saveexec_b64 s[40:41], s[40:41]
; %bb.2121:                             ;   in Loop: Header=BB2_2013 Depth=4
	v_mov_b32_e32 v2, v28
	v_bfe_u32 v4, v28, 23, 1
	v_mov_b32_e32 v3, v29
; %bb.2122:                             ;   in Loop: Header=BB2_2013 Depth=4
	s_or_b64 exec, exec, s[40:41]
	v_lshrrev_b64 v[2:3], 21, v[2:3]
	v_cmp_gt_i32_e32 vcc, 32, v4
	v_cndmask_b32_e32 v3, 0, v3, vcc
	v_cndmask_b32_e32 v2, 3, v2, vcc
	v_cmp_eq_u64_e64 s[40:41], 0, v[2:3]
	v_min_i32_e32 v3, 31, v4
	v_lshlrev_b32_e32 v3, 2, v3
	v_cmp_eq_u32_e32 vcc, 0, v4
	v_and_b32_e32 v3, 0xfc, v3
	v_and_or_b32 v2, v2, 3, v3
	s_and_b64 s[40:41], vcc, s[40:41]
	v_cndmask_b32_e64 v2, v2, 0, s[40:41]
	v_or_b32_e32 v58, v2, v5
.LBB2_2123:                             ;   in Loop: Header=BB2_2013 Depth=4
	s_or_b64 exec, exec, s[38:39]
                                        ; implicit-def: $vgpr5
.LBB2_2124:                             ;   in Loop: Header=BB2_2013 Depth=4
	s_andn2_saveexec_b64 s[40:41], s[36:37]
; %bb.2125:                             ;   in Loop: Header=BB2_2013 Depth=4
	v_or_b32_e32 v58, 0x7b, v5
; %bb.2126:                             ;   in Loop: Header=BB2_2013 Depth=4
	s_or_b64 exec, exec, s[40:41]
                                        ; implicit-def: $vgpr2
.LBB2_2127:                             ;   in Loop: Header=BB2_2013 Depth=4
	s_andn2_saveexec_b64 s[40:41], s[42:43]
	s_cbranch_execz .LBB2_2133
; %bb.2128:                             ;   in Loop: Header=BB2_2013 Depth=4
	v_cmp_ne_u64_e32 vcc, 0, v[28:29]
                                        ; implicit-def: $vgpr58
	s_and_saveexec_b64 s[42:43], vcc
	s_xor_b64 s[42:43], exec, s[42:43]
; %bb.2129:                             ;   in Loop: Header=BB2_2013 Depth=4
	v_or_b32_sdwa v58, v2, s47 dst_sel:DWORD dst_unused:UNUSED_PAD src0_sel:BYTE_3 src1_sel:DWORD
                                        ; implicit-def: $vgpr2
; %bb.2130:                             ;   in Loop: Header=BB2_2013 Depth=4
	s_andn2_saveexec_b64 s[42:43], s[42:43]
; %bb.2131:                             ;   in Loop: Header=BB2_2013 Depth=4
	v_cmp_lt_i32_e32 vcc, -1, v2
	v_cndmask_b32_e32 v58, v6, v22, vcc
; %bb.2132:                             ;   in Loop: Header=BB2_2013 Depth=4
	s_or_b64 exec, exec, s[42:43]
.LBB2_2133:                             ;   in Loop: Header=BB2_2013 Depth=4
	s_or_b64 exec, exec, s[40:41]
	v_mov_b32_e32 v28, v9
	v_cmp_ne_u16_sdwa s[42:43], v9, v29 src0_sel:BYTE_0 src1_sel:DWORD
	v_mov_b32_e32 v2, 0
	s_and_saveexec_b64 s[40:41], s[42:43]
	s_cbranch_execz .LBB2_2141
; %bb.2134:                             ;   in Loop: Header=BB2_2013 Depth=4
	v_cmp_ne_u16_sdwa vcc, v9, s96 src0_sel:BYTE_0 src1_sel:DWORD
	v_bfrev_b32_e32 v2, 1
	s_and_saveexec_b64 s[42:43], vcc
	s_cbranch_execz .LBB2_2140
; %bb.2135:                             ;   in Loop: Header=BB2_2013 Depth=4
	v_and_b32_e32 v2, 0x7c, v9
	v_and_b32_e32 v3, 3, v9
	v_cmp_ne_u32_e32 vcc, s85, v2
                                        ; implicit-def: $vgpr2
	s_and_saveexec_b64 s[36:37], vcc
	s_xor_b64 s[36:37], exec, s[36:37]
	s_cbranch_execz .LBB2_2137
; %bb.2136:                             ;   in Loop: Header=BB2_2013 Depth=4
	v_ffbh_u32_e32 v4, v3
	v_min_u32_e32 v15, 32, v4
	v_subrev_u32_e32 v4, 29, v15
	v_lshlrev_b64 v[4:5], v4, v[28:29]
	v_bfe_u32 v2, v9, 2, 5
	v_and_b32_e32 v4, 3, v4
	v_cmp_eq_u32_e32 vcc, 0, v2
	v_sub_u32_e32 v5, 30, v15
	v_cndmask_b32_e32 v3, v3, v4, vcc
	v_lshlrev_b32_e32 v4, 24, v9
	v_cndmask_b32_e32 v2, v2, v5, vcc
	v_and_b32_e32 v4, 0x80000000, v4
	v_lshl_add_u32 v2, v2, 23, v4
	v_lshl_or_b32 v2, v3, 21, v2
	v_add_u32_e32 v2, 0x38000000, v2
                                        ; implicit-def: $vgpr3
.LBB2_2137:                             ;   in Loop: Header=BB2_2013 Depth=4
	s_andn2_saveexec_b64 s[36:37], s[36:37]
; %bb.2138:                             ;   in Loop: Header=BB2_2013 Depth=4
	v_cmp_gt_i16_sdwa vcc, sext(v9), v48 src0_sel:BYTE_0 src1_sel:DWORD
	v_cndmask_b32_e32 v2, v7, v0, vcc
	v_cmp_eq_u32_e32 vcc, 0, v3
	v_cndmask_b32_e32 v2, v35, v2, vcc
; %bb.2139:                             ;   in Loop: Header=BB2_2013 Depth=4
	s_or_b64 exec, exec, s[36:37]
.LBB2_2140:                             ;   in Loop: Header=BB2_2013 Depth=4
	s_or_b64 exec, exec, s[42:43]
.LBB2_2141:                             ;   in Loop: Header=BB2_2013 Depth=4
	s_or_b64 exec, exec, s[40:41]
	v_mul_f32_e32 v4, v23, v2
	v_and_b32_e32 v37, 0x7f800000, v4
	v_mov_b32_e32 v38, v29
	v_cmp_ne_u64_e32 vcc, s[76:77], v[37:38]
	v_and_b32_e32 v2, 0x7fffff, v4
	v_mov_b32_e32 v3, v29
                                        ; implicit-def: $vgpr5
	s_and_saveexec_b64 s[40:41], vcc
	s_xor_b64 s[42:43], exec, s[40:41]
	s_cbranch_execz .LBB2_2155
; %bb.2142:                             ;   in Loop: Header=BB2_2013 Depth=4
	v_and_b32_e32 v37, 0x7fffffff, v4
	v_mov_b32_e32 v38, v29
	v_cmp_gt_u64_e32 vcc, s[78:79], v[37:38]
	v_and_b32_sdwa v15, v4, s96 dst_sel:DWORD dst_unused:UNUSED_PAD src0_sel:BYTE_3 src1_sel:DWORD
                                        ; implicit-def: $vgpr5
	s_and_saveexec_b64 s[40:41], vcc
	s_xor_b64 s[36:37], exec, s[40:41]
	s_cbranch_execz .LBB2_2152
; %bb.2143:                             ;   in Loop: Header=BB2_2013 Depth=4
	v_mov_b32_e32 v5, 0
	v_cmp_ne_u32_e32 vcc, 0, v4
	s_and_saveexec_b64 s[38:39], vcc
	s_cbranch_execz .LBB2_2151
; %bb.2144:                             ;   in Loop: Header=BB2_2013 Depth=4
	v_bfe_u32 v5, v4, 23, 8
	v_cmp_gt_u32_e64 s[40:41], s46, v5
	v_sub_u32_e32 v4, 0x71, v5
	v_cmp_eq_u32_e32 vcc, 0, v5
	v_cndmask_b32_e64 v4, 0, v4, s[40:41]
	v_mov_b32_e32 v17, 0x70
	v_cndmask_b32_e32 v17, v4, v17, vcc
	v_add_u32_e32 v4, 21, v17
	v_or_b32_e32 v19, 0x800000, v2
	v_lshlrev_b64 v[37:38], v4, -1
	v_cndmask_b32_e32 v2, v19, v2, vcc
	v_add_u32_e32 v4, 20, v17
	v_bfi_b32 v37, v37, 0, v2
	v_lshlrev_b64 v[39:40], v4, 1
	v_lshrrev_b64 v[2:3], v17, v[2:3]
	v_bfi_b32 v38, v38, 0, 0
	v_cmp_eq_u64_e64 s[40:41], v[37:38], v[39:40]
	v_mov_b32_e32 v4, v3
	v_mov_b32_e32 v3, v2
	s_and_saveexec_b64 s[48:49], s[40:41]
; %bb.2145:                             ;   in Loop: Header=BB2_2013 Depth=4
	v_bfe_u32 v3, v2, 21, 1
	v_add_co_u32_e64 v3, s[40:41], v2, v3
	v_add_co_u32_e64 v3, s[40:41], -1, v3
; %bb.2146:                             ;   in Loop: Header=BB2_2013 Depth=4
	s_or_b64 exec, exec, s[48:49]
	v_add_u32_e32 v4, 0xffffff81, v5
	v_cndmask_b32_e32 v4, v4, v1, vcc
	v_lshrrev_b32_e32 v5, 23, v2
	v_add3_u32 v17, v17, v4, v5
	v_add_u32_e32 v5, 14, v17
	v_and_b32_e32 v3, 0x1fffff, v3
	v_add_u32_e32 v2, v3, v2
	v_mov_b32_e32 v3, v29
	v_cmp_ne_u32_e32 vcc, 0, v5
                                        ; implicit-def: $vgpr4
	s_and_saveexec_b64 s[40:41], vcc
	s_xor_b64 s[40:41], exec, s[40:41]
; %bb.2147:                             ;   in Loop: Header=BB2_2013 Depth=4
	v_cmp_lt_u64_e32 vcc, s[88:89], v[2:3]
	v_add_u32_e32 v4, 15, v17
	v_cndmask_b32_e32 v4, v5, v4, vcc
	v_cndmask_b32_e64 v5, 0, 1, vcc
	v_lshrrev_b64 v[2:3], v5, v[2:3]
; %bb.2148:                             ;   in Loop: Header=BB2_2013 Depth=4
	s_andn2_saveexec_b64 s[40:41], s[40:41]
; %bb.2149:                             ;   in Loop: Header=BB2_2013 Depth=4
	v_bfe_u32 v4, v2, 23, 1
; %bb.2150:                             ;   in Loop: Header=BB2_2013 Depth=4
	s_or_b64 exec, exec, s[40:41]
	v_lshrrev_b64 v[2:3], 21, v[2:3]
	v_cmp_gt_i32_e32 vcc, 32, v4
	v_cndmask_b32_e32 v3, 0, v3, vcc
	v_cndmask_b32_e32 v2, 3, v2, vcc
	v_cmp_eq_u64_e64 s[40:41], 0, v[2:3]
	v_min_i32_e32 v3, 31, v4
	v_lshlrev_b32_e32 v3, 2, v3
	v_cmp_eq_u32_e32 vcc, 0, v4
	v_and_b32_e32 v3, 0xfc, v3
	v_and_or_b32 v2, v2, 3, v3
	s_and_b64 s[40:41], vcc, s[40:41]
	v_cndmask_b32_e64 v2, v2, 0, s[40:41]
	v_or_b32_e32 v5, v2, v15
.LBB2_2151:                             ;   in Loop: Header=BB2_2013 Depth=4
	s_or_b64 exec, exec, s[38:39]
                                        ; implicit-def: $vgpr15
.LBB2_2152:                             ;   in Loop: Header=BB2_2013 Depth=4
	s_andn2_saveexec_b64 s[40:41], s[36:37]
; %bb.2153:                             ;   in Loop: Header=BB2_2013 Depth=4
	v_or_b32_e32 v5, 0x7b, v15
; %bb.2154:                             ;   in Loop: Header=BB2_2013 Depth=4
	s_or_b64 exec, exec, s[40:41]
                                        ; implicit-def: $vgpr4
                                        ; implicit-def: $vgpr2_vgpr3
.LBB2_2155:                             ;   in Loop: Header=BB2_2013 Depth=4
	s_andn2_saveexec_b64 s[40:41], s[42:43]
	s_cbranch_execz .LBB2_2161
; %bb.2156:                             ;   in Loop: Header=BB2_2013 Depth=4
	v_cmp_ne_u64_e32 vcc, 0, v[2:3]
                                        ; implicit-def: $vgpr5
	s_and_saveexec_b64 s[42:43], vcc
	s_xor_b64 s[42:43], exec, s[42:43]
; %bb.2157:                             ;   in Loop: Header=BB2_2013 Depth=4
	v_or_b32_sdwa v5, v4, s47 dst_sel:DWORD dst_unused:UNUSED_PAD src0_sel:BYTE_3 src1_sel:DWORD
                                        ; implicit-def: $vgpr4
; %bb.2158:                             ;   in Loop: Header=BB2_2013 Depth=4
	s_andn2_saveexec_b64 s[42:43], s[42:43]
; %bb.2159:                             ;   in Loop: Header=BB2_2013 Depth=4
	v_cmp_lt_i32_e32 vcc, -1, v4
	v_cndmask_b32_e32 v5, v6, v22, vcc
; %bb.2160:                             ;   in Loop: Header=BB2_2013 Depth=4
	s_or_b64 exec, exec, s[42:43]
.LBB2_2161:                             ;   in Loop: Header=BB2_2013 Depth=4
	s_or_b64 exec, exec, s[40:41]
	v_lshrrev_b16_e32 v2, 8, v28
	v_cmp_ne_u16_e32 vcc, 0, v2
	v_mov_b32_e32 v3, 0
	s_and_saveexec_b64 s[40:41], vcc
	s_cbranch_execz .LBB2_2169
; %bb.2162:                             ;   in Loop: Header=BB2_2013 Depth=4
	v_cmp_ne_u16_e32 vcc, s96, v2
	v_bfrev_b32_e32 v3, 1
	s_and_saveexec_b64 s[42:43], vcc
	s_cbranch_execz .LBB2_2168
; %bb.2163:                             ;   in Loop: Header=BB2_2013 Depth=4
	v_and_b32_e32 v3, 0x7c, v2
	v_and_b32_e32 v4, 3, v2
	v_cmp_ne_u32_e32 vcc, s85, v3
                                        ; implicit-def: $vgpr3
	s_and_saveexec_b64 s[36:37], vcc
	s_xor_b64 s[36:37], exec, s[36:37]
	s_cbranch_execz .LBB2_2165
; %bb.2164:                             ;   in Loop: Header=BB2_2013 Depth=4
	v_ffbh_u32_e32 v17, v4
	v_min_u32_e32 v17, 32, v17
	v_mov_b32_e32 v3, v29
	v_subrev_u32_e32 v19, 29, v17
	v_bfe_u32 v15, v2, 2, 5
	v_lshlrev_b64 v[2:3], v19, v[2:3]
	v_cmp_eq_u32_e32 vcc, 0, v15
	v_and_b32_e32 v2, 3, v2
	v_sub_u32_e32 v3, 30, v17
	v_cndmask_b32_e32 v2, v4, v2, vcc
	v_lshlrev_b32_e32 v4, 16, v28
	v_cndmask_b32_e32 v3, v15, v3, vcc
	v_and_b32_e32 v4, 0x80000000, v4
	v_lshl_add_u32 v3, v3, 23, v4
	v_lshl_or_b32 v2, v2, 21, v3
	v_add_u32_e32 v3, 0x38000000, v2
                                        ; implicit-def: $vgpr4
.LBB2_2165:                             ;   in Loop: Header=BB2_2013 Depth=4
	s_andn2_saveexec_b64 s[36:37], s[36:37]
; %bb.2166:                             ;   in Loop: Header=BB2_2013 Depth=4
	v_cmp_lt_i16_e32 vcc, -1, v28
	v_cndmask_b32_e32 v2, v7, v0, vcc
	v_cmp_eq_u32_e32 vcc, 0, v4
	v_cndmask_b32_e32 v3, v35, v2, vcc
; %bb.2167:                             ;   in Loop: Header=BB2_2013 Depth=4
	s_or_b64 exec, exec, s[36:37]
.LBB2_2168:                             ;   in Loop: Header=BB2_2013 Depth=4
	s_or_b64 exec, exec, s[42:43]
.LBB2_2169:                             ;   in Loop: Header=BB2_2013 Depth=4
	s_or_b64 exec, exec, s[40:41]
	v_mul_f32_e32 v2, v23, v3
	v_and_b32_e32 v3, 0x7f800000, v2
	v_mov_b32_e32 v4, v29
	v_cmp_ne_u64_e32 vcc, s[76:77], v[3:4]
	v_and_b32_e32 v28, 0x7fffff, v2
                                        ; implicit-def: $vgpr15
	s_and_saveexec_b64 s[40:41], vcc
	s_xor_b64 s[42:43], exec, s[40:41]
	s_cbranch_execz .LBB2_2183
; %bb.2170:                             ;   in Loop: Header=BB2_2013 Depth=4
	v_and_b32_e32 v3, 0x7fffffff, v2
	v_mov_b32_e32 v4, v29
	v_cmp_gt_u64_e32 vcc, s[78:79], v[3:4]
	v_and_b32_sdwa v17, v2, s96 dst_sel:DWORD dst_unused:UNUSED_PAD src0_sel:BYTE_3 src1_sel:DWORD
                                        ; implicit-def: $vgpr15
	s_and_saveexec_b64 s[40:41], vcc
	s_xor_b64 s[36:37], exec, s[40:41]
	s_cbranch_execz .LBB2_2180
; %bb.2171:                             ;   in Loop: Header=BB2_2013 Depth=4
	v_mov_b32_e32 v15, 0
	v_cmp_ne_u32_e32 vcc, 0, v2
	s_and_saveexec_b64 s[38:39], vcc
	s_cbranch_execz .LBB2_2179
; %bb.2172:                             ;   in Loop: Header=BB2_2013 Depth=4
	v_bfe_u32 v15, v2, 23, 8
	v_cmp_gt_u32_e64 s[40:41], s46, v15
	v_sub_u32_e32 v2, 0x71, v15
	v_cmp_eq_u32_e32 vcc, 0, v15
	v_cndmask_b32_e64 v2, 0, v2, s[40:41]
	v_mov_b32_e32 v4, 0x70
	v_cndmask_b32_e32 v19, v2, v4, vcc
	v_or_b32_e32 v3, 0x800000, v28
	v_add_u32_e32 v2, 21, v19
	v_cndmask_b32_e32 v28, v3, v28, vcc
	v_lshlrev_b64 v[2:3], v2, -1
	v_add_u32_e32 v4, 20, v19
	v_lshlrev_b64 v[37:38], v4, 1
	v_bfi_b32 v3, v3, 0, 0
	v_bfi_b32 v2, v2, 0, v28
	v_cmp_eq_u64_e64 s[40:41], v[2:3], v[37:38]
	v_lshrrev_b64 v[2:3], v19, v[28:29]
	v_mov_b32_e32 v4, v3
	v_mov_b32_e32 v3, v2
	s_and_saveexec_b64 s[48:49], s[40:41]
; %bb.2173:                             ;   in Loop: Header=BB2_2013 Depth=4
	v_bfe_u32 v3, v2, 21, 1
	v_add_co_u32_e64 v3, s[40:41], v2, v3
	v_add_co_u32_e64 v3, s[40:41], -1, v3
; %bb.2174:                             ;   in Loop: Header=BB2_2013 Depth=4
	s_or_b64 exec, exec, s[48:49]
	v_add_u32_e32 v4, 0xffffff81, v15
	v_cndmask_b32_e32 v4, v4, v1, vcc
	v_lshrrev_b32_e32 v15, 23, v2
	v_add3_u32 v19, v19, v4, v15
	v_add_u32_e32 v15, 14, v19
	v_and_b32_e32 v3, 0x1fffff, v3
	v_add_u32_e32 v28, v3, v2
	v_cmp_ne_u32_e32 vcc, 0, v15
                                        ; implicit-def: $vgpr2_vgpr3
                                        ; implicit-def: $vgpr4
	s_and_saveexec_b64 s[40:41], vcc
	s_xor_b64 s[40:41], exec, s[40:41]
; %bb.2175:                             ;   in Loop: Header=BB2_2013 Depth=4
	v_cmp_lt_u64_e32 vcc, s[88:89], v[28:29]
	v_add_u32_e32 v2, 15, v19
	v_cndmask_b32_e32 v4, v15, v2, vcc
	v_cndmask_b32_e64 v2, 0, 1, vcc
	v_lshrrev_b64 v[2:3], v2, v[28:29]
; %bb.2176:                             ;   in Loop: Header=BB2_2013 Depth=4
	s_andn2_saveexec_b64 s[40:41], s[40:41]
; %bb.2177:                             ;   in Loop: Header=BB2_2013 Depth=4
	v_mov_b32_e32 v2, v28
	v_bfe_u32 v4, v28, 23, 1
	v_mov_b32_e32 v3, v29
; %bb.2178:                             ;   in Loop: Header=BB2_2013 Depth=4
	s_or_b64 exec, exec, s[40:41]
	v_lshrrev_b64 v[2:3], 21, v[2:3]
	v_cmp_gt_i32_e32 vcc, 32, v4
	v_cndmask_b32_e32 v3, 0, v3, vcc
	v_cndmask_b32_e32 v2, 3, v2, vcc
	v_cmp_eq_u64_e64 s[40:41], 0, v[2:3]
	v_min_i32_e32 v3, 31, v4
	v_lshlrev_b32_e32 v3, 2, v3
	v_cmp_eq_u32_e32 vcc, 0, v4
	v_and_b32_e32 v3, 0xfc, v3
	v_and_or_b32 v2, v2, 3, v3
	s_and_b64 s[40:41], vcc, s[40:41]
	v_cndmask_b32_e64 v2, v2, 0, s[40:41]
	v_or_b32_e32 v15, v2, v17
.LBB2_2179:                             ;   in Loop: Header=BB2_2013 Depth=4
	s_or_b64 exec, exec, s[38:39]
                                        ; implicit-def: $vgpr17
.LBB2_2180:                             ;   in Loop: Header=BB2_2013 Depth=4
	s_andn2_saveexec_b64 s[40:41], s[36:37]
; %bb.2181:                             ;   in Loop: Header=BB2_2013 Depth=4
	v_or_b32_e32 v15, 0x7b, v17
; %bb.2182:                             ;   in Loop: Header=BB2_2013 Depth=4
	s_or_b64 exec, exec, s[40:41]
                                        ; implicit-def: $vgpr2
.LBB2_2183:                             ;   in Loop: Header=BB2_2013 Depth=4
	s_andn2_saveexec_b64 s[40:41], s[42:43]
	s_cbranch_execz .LBB2_2189
; %bb.2184:                             ;   in Loop: Header=BB2_2013 Depth=4
	v_cmp_ne_u64_e32 vcc, 0, v[28:29]
                                        ; implicit-def: $vgpr15
	s_and_saveexec_b64 s[42:43], vcc
	s_xor_b64 s[42:43], exec, s[42:43]
; %bb.2185:                             ;   in Loop: Header=BB2_2013 Depth=4
	v_or_b32_sdwa v15, v2, s47 dst_sel:DWORD dst_unused:UNUSED_PAD src0_sel:BYTE_3 src1_sel:DWORD
                                        ; implicit-def: $vgpr2
; %bb.2186:                             ;   in Loop: Header=BB2_2013 Depth=4
	s_andn2_saveexec_b64 s[42:43], s[42:43]
; %bb.2187:                             ;   in Loop: Header=BB2_2013 Depth=4
	v_cmp_lt_i32_e32 vcc, -1, v2
	v_cndmask_b32_e32 v15, v6, v22, vcc
; %bb.2188:                             ;   in Loop: Header=BB2_2013 Depth=4
	s_or_b64 exec, exec, s[42:43]
.LBB2_2189:                             ;   in Loop: Header=BB2_2013 Depth=4
	s_or_b64 exec, exec, s[40:41]
	v_lshrrev_b32_e32 v2, 16, v9
	v_cmp_ne_u16_sdwa s[42:43], v2, v29 src0_sel:BYTE_0 src1_sel:DWORD
	v_mov_b32_e32 v3, 0
	s_and_saveexec_b64 s[40:41], s[42:43]
	s_cbranch_execz .LBB2_2197
; %bb.2190:                             ;   in Loop: Header=BB2_2013 Depth=4
	v_cmp_ne_u16_sdwa vcc, v2, s96 src0_sel:BYTE_0 src1_sel:DWORD
	v_bfrev_b32_e32 v3, 1
	s_and_saveexec_b64 s[42:43], vcc
	s_cbranch_execz .LBB2_2196
; %bb.2191:                             ;   in Loop: Header=BB2_2013 Depth=4
	v_and_b32_e32 v3, 0x7c0000, v9
	v_bfe_u32 v4, v9, 16, 2
	v_cmp_ne_u32_e32 vcc, s44, v3
                                        ; implicit-def: $vgpr3
	s_and_saveexec_b64 s[36:37], vcc
	s_xor_b64 s[36:37], exec, s[36:37]
	s_cbranch_execz .LBB2_2193
; %bb.2192:                             ;   in Loop: Header=BB2_2013 Depth=4
	v_ffbh_u32_e32 v3, v4
	v_min_u32_e32 v19, 32, v3
	v_subrev_u32_e32 v3, 29, v19
	v_lshlrev_b64 v[2:3], v3, v[2:3]
	v_bfe_u32 v17, v9, 18, 5
	v_and_b32_e32 v2, 3, v2
	v_cmp_eq_u32_e32 vcc, 0, v17
	v_sub_u32_e32 v3, 30, v19
	v_cndmask_b32_e32 v2, v4, v2, vcc
	v_lshlrev_b32_e32 v4, 8, v9
	v_cndmask_b32_e32 v3, v17, v3, vcc
	v_and_b32_e32 v4, 0x80000000, v4
	v_lshl_add_u32 v3, v3, 23, v4
	v_lshl_or_b32 v2, v2, 21, v3
	v_add_u32_e32 v3, 0x38000000, v2
                                        ; implicit-def: $vgpr4
                                        ; implicit-def: $vgpr2
.LBB2_2193:                             ;   in Loop: Header=BB2_2013 Depth=4
	s_andn2_saveexec_b64 s[36:37], s[36:37]
; %bb.2194:                             ;   in Loop: Header=BB2_2013 Depth=4
	v_cmp_gt_i16_sdwa vcc, sext(v2), v48 src0_sel:BYTE_0 src1_sel:DWORD
	v_cndmask_b32_e32 v2, v7, v0, vcc
	v_cmp_eq_u32_e32 vcc, 0, v4
	v_cndmask_b32_e32 v3, v35, v2, vcc
; %bb.2195:                             ;   in Loop: Header=BB2_2013 Depth=4
	s_or_b64 exec, exec, s[36:37]
.LBB2_2196:                             ;   in Loop: Header=BB2_2013 Depth=4
	s_or_b64 exec, exec, s[42:43]
.LBB2_2197:                             ;   in Loop: Header=BB2_2013 Depth=4
	s_or_b64 exec, exec, s[40:41]
	v_mul_f32_e32 v2, v23, v3
	v_and_b32_e32 v3, 0x7f800000, v2
	v_mov_b32_e32 v4, v29
	v_cmp_ne_u64_e32 vcc, s[76:77], v[3:4]
	v_and_b32_e32 v28, 0x7fffff, v2
                                        ; implicit-def: $vgpr19
	s_and_saveexec_b64 s[40:41], vcc
	s_xor_b64 s[42:43], exec, s[40:41]
	s_cbranch_execz .LBB2_2211
; %bb.2198:                             ;   in Loop: Header=BB2_2013 Depth=4
	v_and_b32_e32 v3, 0x7fffffff, v2
	v_mov_b32_e32 v4, v29
	v_cmp_gt_u64_e32 vcc, s[78:79], v[3:4]
	v_and_b32_sdwa v17, v2, s96 dst_sel:DWORD dst_unused:UNUSED_PAD src0_sel:BYTE_3 src1_sel:DWORD
                                        ; implicit-def: $vgpr19
	s_and_saveexec_b64 s[40:41], vcc
	s_xor_b64 s[36:37], exec, s[40:41]
	s_cbranch_execz .LBB2_2208
; %bb.2199:                             ;   in Loop: Header=BB2_2013 Depth=4
	v_mov_b32_e32 v19, 0
	v_cmp_ne_u32_e32 vcc, 0, v2
	s_and_saveexec_b64 s[38:39], vcc
	s_cbranch_execz .LBB2_2207
; %bb.2200:                             ;   in Loop: Header=BB2_2013 Depth=4
	v_bfe_u32 v19, v2, 23, 8
	v_cmp_gt_u32_e64 s[40:41], s46, v19
	v_sub_u32_e32 v2, 0x71, v19
	v_cmp_eq_u32_e32 vcc, 0, v19
	v_cndmask_b32_e64 v2, 0, v2, s[40:41]
	v_mov_b32_e32 v4, 0x70
	v_cndmask_b32_e32 v31, v2, v4, vcc
	v_or_b32_e32 v3, 0x800000, v28
	v_add_u32_e32 v2, 21, v31
	v_cndmask_b32_e32 v28, v3, v28, vcc
	v_lshlrev_b64 v[2:3], v2, -1
	v_add_u32_e32 v4, 20, v31
	v_lshlrev_b64 v[37:38], v4, 1
	v_bfi_b32 v3, v3, 0, 0
	v_bfi_b32 v2, v2, 0, v28
	v_cmp_eq_u64_e64 s[40:41], v[2:3], v[37:38]
	v_lshrrev_b64 v[2:3], v31, v[28:29]
	v_mov_b32_e32 v4, v3
	v_mov_b32_e32 v3, v2
	s_and_saveexec_b64 s[48:49], s[40:41]
; %bb.2201:                             ;   in Loop: Header=BB2_2013 Depth=4
	v_bfe_u32 v3, v2, 21, 1
	v_add_co_u32_e64 v3, s[40:41], v2, v3
	v_add_co_u32_e64 v3, s[40:41], -1, v3
; %bb.2202:                             ;   in Loop: Header=BB2_2013 Depth=4
	s_or_b64 exec, exec, s[48:49]
	v_add_u32_e32 v4, 0xffffff81, v19
	v_cndmask_b32_e32 v4, v4, v1, vcc
	v_lshrrev_b32_e32 v19, 23, v2
	v_add3_u32 v31, v31, v4, v19
	v_add_u32_e32 v19, 14, v31
	v_and_b32_e32 v3, 0x1fffff, v3
	v_add_u32_e32 v28, v3, v2
	v_cmp_ne_u32_e32 vcc, 0, v19
                                        ; implicit-def: $vgpr2_vgpr3
                                        ; implicit-def: $vgpr4
	s_and_saveexec_b64 s[40:41], vcc
	s_xor_b64 s[40:41], exec, s[40:41]
; %bb.2203:                             ;   in Loop: Header=BB2_2013 Depth=4
	v_cmp_lt_u64_e32 vcc, s[88:89], v[28:29]
	v_add_u32_e32 v2, 15, v31
	v_cndmask_b32_e32 v4, v19, v2, vcc
	v_cndmask_b32_e64 v2, 0, 1, vcc
	v_lshrrev_b64 v[2:3], v2, v[28:29]
; %bb.2204:                             ;   in Loop: Header=BB2_2013 Depth=4
	s_andn2_saveexec_b64 s[40:41], s[40:41]
; %bb.2205:                             ;   in Loop: Header=BB2_2013 Depth=4
	v_mov_b32_e32 v2, v28
	v_bfe_u32 v4, v28, 23, 1
	v_mov_b32_e32 v3, v29
; %bb.2206:                             ;   in Loop: Header=BB2_2013 Depth=4
	s_or_b64 exec, exec, s[40:41]
	v_lshrrev_b64 v[2:3], 21, v[2:3]
	v_cmp_gt_i32_e32 vcc, 32, v4
	v_cndmask_b32_e32 v3, 0, v3, vcc
	v_cndmask_b32_e32 v2, 3, v2, vcc
	v_cmp_eq_u64_e64 s[40:41], 0, v[2:3]
	v_min_i32_e32 v3, 31, v4
	v_lshlrev_b32_e32 v3, 2, v3
	v_cmp_eq_u32_e32 vcc, 0, v4
	v_and_b32_e32 v3, 0xfc, v3
	v_and_or_b32 v2, v2, 3, v3
	s_and_b64 s[40:41], vcc, s[40:41]
	v_cndmask_b32_e64 v2, v2, 0, s[40:41]
	v_or_b32_e32 v19, v2, v17
.LBB2_2207:                             ;   in Loop: Header=BB2_2013 Depth=4
	s_or_b64 exec, exec, s[38:39]
                                        ; implicit-def: $vgpr17
.LBB2_2208:                             ;   in Loop: Header=BB2_2013 Depth=4
	s_andn2_saveexec_b64 s[40:41], s[36:37]
; %bb.2209:                             ;   in Loop: Header=BB2_2013 Depth=4
	v_or_b32_e32 v19, 0x7b, v17
; %bb.2210:                             ;   in Loop: Header=BB2_2013 Depth=4
	s_or_b64 exec, exec, s[40:41]
                                        ; implicit-def: $vgpr2
.LBB2_2211:                             ;   in Loop: Header=BB2_2013 Depth=4
	s_andn2_saveexec_b64 s[40:41], s[42:43]
	s_cbranch_execz .LBB2_2217
; %bb.2212:                             ;   in Loop: Header=BB2_2013 Depth=4
	v_cmp_ne_u64_e32 vcc, 0, v[28:29]
                                        ; implicit-def: $vgpr19
	s_and_saveexec_b64 s[42:43], vcc
	s_xor_b64 s[42:43], exec, s[42:43]
; %bb.2213:                             ;   in Loop: Header=BB2_2013 Depth=4
	v_or_b32_sdwa v19, v2, s47 dst_sel:DWORD dst_unused:UNUSED_PAD src0_sel:BYTE_3 src1_sel:DWORD
                                        ; implicit-def: $vgpr2
; %bb.2214:                             ;   in Loop: Header=BB2_2013 Depth=4
	s_andn2_saveexec_b64 s[42:43], s[42:43]
; %bb.2215:                             ;   in Loop: Header=BB2_2013 Depth=4
	v_cmp_lt_i32_e32 vcc, -1, v2
	v_cndmask_b32_e32 v19, v6, v22, vcc
; %bb.2216:                             ;   in Loop: Header=BB2_2013 Depth=4
	s_or_b64 exec, exec, s[42:43]
.LBB2_2217:                             ;   in Loop: Header=BB2_2013 Depth=4
	s_or_b64 exec, exec, s[40:41]
	v_cmp_lt_u64_e32 vcc, s[56:57], v[8:9]
	v_mov_b32_e32 v3, 0
	s_and_saveexec_b64 s[40:41], vcc
	s_cbranch_execz .LBB2_2225
; %bb.2218:                             ;   in Loop: Header=BB2_2013 Depth=4
	v_lshrrev_b32_e32 v2, 24, v9
	v_cmp_ne_u32_e32 vcc, s96, v2
	v_bfrev_b32_e32 v3, 1
	s_and_saveexec_b64 s[42:43], vcc
	s_cbranch_execz .LBB2_2224
; %bb.2219:                             ;   in Loop: Header=BB2_2013 Depth=4
	v_and_b32_e32 v3, 0x7c000000, v9
	v_bfe_u32 v4, v9, 24, 2
	v_cmp_ne_u32_e32 vcc, s45, v3
                                        ; implicit-def: $vgpr3
	s_and_saveexec_b64 s[36:37], vcc
	s_xor_b64 s[36:37], exec, s[36:37]
	s_cbranch_execz .LBB2_2221
; %bb.2220:                             ;   in Loop: Header=BB2_2013 Depth=4
	v_ffbh_u32_e32 v3, v4
	v_min_u32_e32 v28, 32, v3
	v_subrev_u32_e32 v3, 29, v28
	v_lshlrev_b64 v[2:3], v3, v[2:3]
	v_bfe_u32 v17, v9, 26, 5
	v_sub_u32_e32 v3, 30, v28
	v_and_b32_e32 v2, 3, v2
	v_cmp_eq_u32_e32 vcc, 0, v17
	v_cndmask_b32_e32 v3, v17, v3, vcc
	v_cndmask_b32_e32 v2, v4, v2, vcc
	v_and_b32_e32 v4, 0x80000000, v9
	v_lshl_add_u32 v3, v3, 23, v4
	v_lshl_or_b32 v2, v2, 21, v3
	v_add_u32_e32 v3, 0x38000000, v2
                                        ; implicit-def: $vgpr4
.LBB2_2221:                             ;   in Loop: Header=BB2_2013 Depth=4
	s_andn2_saveexec_b64 s[36:37], s[36:37]
; %bb.2222:                             ;   in Loop: Header=BB2_2013 Depth=4
	v_cmp_lt_i64_e32 vcc, -1, v[8:9]
	v_cndmask_b32_e32 v2, v7, v0, vcc
	v_cmp_eq_u32_e32 vcc, 0, v4
	v_cndmask_b32_e32 v3, v35, v2, vcc
; %bb.2223:                             ;   in Loop: Header=BB2_2013 Depth=4
	s_or_b64 exec, exec, s[36:37]
.LBB2_2224:                             ;   in Loop: Header=BB2_2013 Depth=4
	s_or_b64 exec, exec, s[42:43]
.LBB2_2225:                             ;   in Loop: Header=BB2_2013 Depth=4
	s_or_b64 exec, exec, s[40:41]
	v_mul_f32_e32 v2, v23, v3
	v_and_b32_e32 v3, 0x7f800000, v2
	v_mov_b32_e32 v4, v29
	v_cmp_ne_u64_e32 vcc, s[76:77], v[3:4]
	v_and_b32_e32 v28, 0x7fffff, v2
                                        ; implicit-def: $vgpr17
	s_and_saveexec_b64 s[40:41], vcc
	s_xor_b64 s[42:43], exec, s[40:41]
	s_cbranch_execz .LBB2_2239
; %bb.2226:                             ;   in Loop: Header=BB2_2013 Depth=4
	v_and_b32_e32 v3, 0x7fffffff, v2
	v_mov_b32_e32 v4, v29
	v_cmp_gt_u64_e32 vcc, s[78:79], v[3:4]
	v_and_b32_sdwa v8, v2, s96 dst_sel:DWORD dst_unused:UNUSED_PAD src0_sel:BYTE_3 src1_sel:DWORD
                                        ; implicit-def: $vgpr17
	s_and_saveexec_b64 s[40:41], vcc
	s_xor_b64 s[36:37], exec, s[40:41]
	s_cbranch_execz .LBB2_2236
; %bb.2227:                             ;   in Loop: Header=BB2_2013 Depth=4
	v_mov_b32_e32 v17, 0
	v_cmp_ne_u32_e32 vcc, 0, v2
	s_and_saveexec_b64 s[38:39], vcc
	s_cbranch_execz .LBB2_2235
; %bb.2228:                             ;   in Loop: Header=BB2_2013 Depth=4
	v_bfe_u32 v9, v2, 23, 8
	v_cmp_gt_u32_e64 s[40:41], s46, v9
	v_sub_u32_e32 v2, 0x71, v9
	v_cmp_eq_u32_e32 vcc, 0, v9
	v_cndmask_b32_e64 v2, 0, v2, s[40:41]
	v_mov_b32_e32 v4, 0x70
	v_cndmask_b32_e32 v17, v2, v4, vcc
	v_or_b32_e32 v3, 0x800000, v28
	v_add_u32_e32 v2, 21, v17
	v_cndmask_b32_e32 v28, v3, v28, vcc
	v_lshlrev_b64 v[2:3], v2, -1
	v_add_u32_e32 v4, 20, v17
	v_lshlrev_b64 v[37:38], v4, 1
	v_bfi_b32 v3, v3, 0, 0
	v_bfi_b32 v2, v2, 0, v28
	v_cmp_eq_u64_e64 s[40:41], v[2:3], v[37:38]
	v_lshrrev_b64 v[2:3], v17, v[28:29]
	v_mov_b32_e32 v4, v3
	v_mov_b32_e32 v3, v2
	s_and_saveexec_b64 s[48:49], s[40:41]
; %bb.2229:                             ;   in Loop: Header=BB2_2013 Depth=4
	v_bfe_u32 v3, v2, 21, 1
	v_add_co_u32_e64 v3, s[40:41], v2, v3
	v_add_co_u32_e64 v3, s[40:41], -1, v3
; %bb.2230:                             ;   in Loop: Header=BB2_2013 Depth=4
	s_or_b64 exec, exec, s[48:49]
	v_add_u32_e32 v4, 0xffffff81, v9
	v_cndmask_b32_e32 v4, v4, v1, vcc
	v_lshrrev_b32_e32 v9, 23, v2
	v_add3_u32 v17, v17, v4, v9
	v_add_u32_e32 v9, 14, v17
	v_and_b32_e32 v3, 0x1fffff, v3
	v_add_u32_e32 v28, v3, v2
	v_cmp_ne_u32_e32 vcc, 0, v9
                                        ; implicit-def: $vgpr2_vgpr3
                                        ; implicit-def: $vgpr4
	s_and_saveexec_b64 s[40:41], vcc
	s_xor_b64 s[40:41], exec, s[40:41]
; %bb.2231:                             ;   in Loop: Header=BB2_2013 Depth=4
	v_cmp_lt_u64_e32 vcc, s[88:89], v[28:29]
	v_add_u32_e32 v2, 15, v17
	v_cndmask_b32_e32 v4, v9, v2, vcc
	v_cndmask_b32_e64 v2, 0, 1, vcc
	v_lshrrev_b64 v[2:3], v2, v[28:29]
; %bb.2232:                             ;   in Loop: Header=BB2_2013 Depth=4
	s_andn2_saveexec_b64 s[40:41], s[40:41]
; %bb.2233:                             ;   in Loop: Header=BB2_2013 Depth=4
	v_mov_b32_e32 v2, v28
	v_bfe_u32 v4, v28, 23, 1
	v_mov_b32_e32 v3, v29
; %bb.2234:                             ;   in Loop: Header=BB2_2013 Depth=4
	s_or_b64 exec, exec, s[40:41]
	v_lshrrev_b64 v[2:3], 21, v[2:3]
	v_cmp_gt_i32_e32 vcc, 32, v4
	v_cndmask_b32_e32 v3, 0, v3, vcc
	v_cndmask_b32_e32 v2, 3, v2, vcc
	v_cmp_eq_u64_e64 s[40:41], 0, v[2:3]
	v_min_i32_e32 v3, 31, v4
	v_lshlrev_b32_e32 v3, 2, v3
	v_cmp_eq_u32_e32 vcc, 0, v4
	v_and_b32_e32 v3, 0xfc, v3
	v_and_or_b32 v2, v2, 3, v3
	s_and_b64 s[40:41], vcc, s[40:41]
	v_cndmask_b32_e64 v2, v2, 0, s[40:41]
	v_or_b32_e32 v17, v2, v8
.LBB2_2235:                             ;   in Loop: Header=BB2_2013 Depth=4
	s_or_b64 exec, exec, s[38:39]
                                        ; implicit-def: $vgpr8
.LBB2_2236:                             ;   in Loop: Header=BB2_2013 Depth=4
	s_andn2_saveexec_b64 s[40:41], s[36:37]
; %bb.2237:                             ;   in Loop: Header=BB2_2013 Depth=4
	v_or_b32_e32 v17, 0x7b, v8
; %bb.2238:                             ;   in Loop: Header=BB2_2013 Depth=4
	s_or_b64 exec, exec, s[40:41]
                                        ; implicit-def: $vgpr2
.LBB2_2239:                             ;   in Loop: Header=BB2_2013 Depth=4
	s_andn2_saveexec_b64 s[40:41], s[42:43]
	s_cbranch_execz .LBB2_2245
; %bb.2240:                             ;   in Loop: Header=BB2_2013 Depth=4
	v_cmp_ne_u64_e32 vcc, 0, v[28:29]
                                        ; implicit-def: $vgpr17
	s_and_saveexec_b64 s[42:43], vcc
	s_xor_b64 s[42:43], exec, s[42:43]
; %bb.2241:                             ;   in Loop: Header=BB2_2013 Depth=4
	v_or_b32_sdwa v17, v2, s47 dst_sel:DWORD dst_unused:UNUSED_PAD src0_sel:BYTE_3 src1_sel:DWORD
                                        ; implicit-def: $vgpr2
; %bb.2242:                             ;   in Loop: Header=BB2_2013 Depth=4
	s_andn2_saveexec_b64 s[42:43], s[42:43]
; %bb.2243:                             ;   in Loop: Header=BB2_2013 Depth=4
	v_cmp_lt_i32_e32 vcc, -1, v2
	v_cndmask_b32_e32 v17, v6, v22, vcc
; %bb.2244:                             ;   in Loop: Header=BB2_2013 Depth=4
	s_or_b64 exec, exec, s[42:43]
.LBB2_2245:                             ;   in Loop: Header=BB2_2013 Depth=4
	s_or_b64 exec, exec, s[40:41]
	v_cmp_ne_u16_sdwa s[42:43], v10, v29 src0_sel:BYTE_0 src1_sel:DWORD
	v_mov_b32_e32 v2, 0
	s_and_saveexec_b64 s[40:41], s[42:43]
	s_cbranch_execz .LBB2_2253
; %bb.2246:                             ;   in Loop: Header=BB2_2013 Depth=4
	v_cmp_ne_u16_sdwa vcc, sext(v10), s97 src0_sel:BYTE_0 src1_sel:DWORD
	v_bfrev_b32_e32 v2, 1
	s_and_saveexec_b64 s[42:43], vcc
	s_cbranch_execz .LBB2_2252
; %bb.2247:                             ;   in Loop: Header=BB2_2013 Depth=4
	v_and_b32_e32 v2, 0x7c, v10
	v_and_b32_e32 v3, 3, v10
	v_cmp_ne_u32_e32 vcc, s85, v2
                                        ; implicit-def: $vgpr2
	s_and_saveexec_b64 s[36:37], vcc
	s_xor_b64 s[36:37], exec, s[36:37]
	s_cbranch_execz .LBB2_2249
; %bb.2248:                             ;   in Loop: Header=BB2_2013 Depth=4
	v_ffbh_u32_e32 v4, v3
	v_min_u32_e32 v4, 32, v4
	v_bfe_u32 v2, v10, 2, 5
	v_subrev_u32_e32 v8, 29, v4
	v_lshlrev_b64 v[8:9], v8, v[10:11]
	v_sub_u32_e32 v4, 30, v4
	v_cmp_eq_u32_e32 vcc, 0, v2
	v_cndmask_b32_e32 v2, v2, v4, vcc
	v_lshlrev_b32_e32 v4, 24, v10
	v_and_b32_e32 v8, 3, v8
	v_and_b32_e32 v4, 0x80000000, v4
	v_cndmask_b32_e32 v3, v3, v8, vcc
	v_lshl_add_u32 v2, v2, 23, v4
	v_lshl_or_b32 v2, v3, 21, v2
	v_add_u32_e32 v2, 0x38000000, v2
                                        ; implicit-def: $vgpr3
.LBB2_2249:                             ;   in Loop: Header=BB2_2013 Depth=4
	s_andn2_saveexec_b64 s[36:37], s[36:37]
; %bb.2250:                             ;   in Loop: Header=BB2_2013 Depth=4
	v_cmp_gt_i16_sdwa vcc, sext(v10), v48 src0_sel:BYTE_0 src1_sel:DWORD
	v_cndmask_b32_e32 v2, v7, v0, vcc
	v_cmp_eq_u32_e32 vcc, 0, v3
	v_cndmask_b32_e32 v2, v35, v2, vcc
; %bb.2251:                             ;   in Loop: Header=BB2_2013 Depth=4
	s_or_b64 exec, exec, s[36:37]
.LBB2_2252:                             ;   in Loop: Header=BB2_2013 Depth=4
	s_or_b64 exec, exec, s[42:43]
.LBB2_2253:                             ;   in Loop: Header=BB2_2013 Depth=4
	s_or_b64 exec, exec, s[40:41]
	v_mul_f32_e32 v2, v23, v2
	v_and_b32_e32 v3, 0x7f800000, v2
	v_mov_b32_e32 v4, v29
	v_cmp_ne_u64_e32 vcc, s[76:77], v[3:4]
	v_and_b32_e32 v28, 0x7fffff, v2
                                        ; implicit-def: $vgpr37
	s_and_saveexec_b64 s[40:41], vcc
	s_xor_b64 s[42:43], exec, s[40:41]
	s_cbranch_execz .LBB2_2267
; %bb.2254:                             ;   in Loop: Header=BB2_2013 Depth=4
	v_and_b32_e32 v3, 0x7fffffff, v2
	v_mov_b32_e32 v4, v29
	v_cmp_gt_u64_e32 vcc, s[78:79], v[3:4]
	v_and_b32_sdwa v8, v2, s96 dst_sel:DWORD dst_unused:UNUSED_PAD src0_sel:BYTE_3 src1_sel:DWORD
                                        ; implicit-def: $vgpr37
	s_and_saveexec_b64 s[40:41], vcc
	s_xor_b64 s[36:37], exec, s[40:41]
	s_cbranch_execz .LBB2_2264
; %bb.2255:                             ;   in Loop: Header=BB2_2013 Depth=4
	v_mov_b32_e32 v37, 0
	v_cmp_ne_u32_e32 vcc, 0, v2
	s_and_saveexec_b64 s[38:39], vcc
	s_cbranch_execz .LBB2_2263
; %bb.2256:                             ;   in Loop: Header=BB2_2013 Depth=4
	v_bfe_u32 v9, v2, 23, 8
	v_cmp_gt_u32_e64 s[40:41], s46, v9
	v_sub_u32_e32 v2, 0x71, v9
	v_cmp_eq_u32_e32 vcc, 0, v9
	v_cndmask_b32_e64 v2, 0, v2, s[40:41]
	v_mov_b32_e32 v4, 0x70
	v_cndmask_b32_e32 v31, v2, v4, vcc
	v_or_b32_e32 v3, 0x800000, v28
	v_add_u32_e32 v2, 21, v31
	v_cndmask_b32_e32 v28, v3, v28, vcc
	v_lshlrev_b64 v[2:3], v2, -1
	v_add_u32_e32 v4, 20, v31
	v_lshlrev_b64 v[37:38], v4, 1
	v_bfi_b32 v3, v3, 0, 0
	v_bfi_b32 v2, v2, 0, v28
	v_cmp_eq_u64_e64 s[40:41], v[2:3], v[37:38]
	v_lshrrev_b64 v[2:3], v31, v[28:29]
	v_mov_b32_e32 v4, v3
	v_mov_b32_e32 v3, v2
	s_and_saveexec_b64 s[48:49], s[40:41]
; %bb.2257:                             ;   in Loop: Header=BB2_2013 Depth=4
	v_bfe_u32 v3, v2, 21, 1
	v_add_co_u32_e64 v3, s[40:41], v2, v3
	v_add_co_u32_e64 v3, s[40:41], -1, v3
; %bb.2258:                             ;   in Loop: Header=BB2_2013 Depth=4
	s_or_b64 exec, exec, s[48:49]
	v_add_u32_e32 v4, 0xffffff81, v9
	v_cndmask_b32_e32 v4, v4, v1, vcc
	v_lshrrev_b32_e32 v9, 23, v2
	v_add3_u32 v31, v31, v4, v9
	v_add_u32_e32 v9, 14, v31
	v_and_b32_e32 v3, 0x1fffff, v3
	v_add_u32_e32 v28, v3, v2
	v_cmp_ne_u32_e32 vcc, 0, v9
                                        ; implicit-def: $vgpr2_vgpr3
                                        ; implicit-def: $vgpr4
	s_and_saveexec_b64 s[40:41], vcc
	s_xor_b64 s[40:41], exec, s[40:41]
; %bb.2259:                             ;   in Loop: Header=BB2_2013 Depth=4
	v_cmp_lt_u64_e32 vcc, s[88:89], v[28:29]
	v_add_u32_e32 v2, 15, v31
	v_cndmask_b32_e32 v4, v9, v2, vcc
	v_cndmask_b32_e64 v2, 0, 1, vcc
	v_lshrrev_b64 v[2:3], v2, v[28:29]
; %bb.2260:                             ;   in Loop: Header=BB2_2013 Depth=4
	s_andn2_saveexec_b64 s[40:41], s[40:41]
; %bb.2261:                             ;   in Loop: Header=BB2_2013 Depth=4
	v_mov_b32_e32 v2, v28
	v_bfe_u32 v4, v28, 23, 1
	v_mov_b32_e32 v3, v29
; %bb.2262:                             ;   in Loop: Header=BB2_2013 Depth=4
	s_or_b64 exec, exec, s[40:41]
	v_lshrrev_b64 v[2:3], 21, v[2:3]
	v_cmp_gt_i32_e32 vcc, 32, v4
	v_cndmask_b32_e32 v3, 0, v3, vcc
	v_cndmask_b32_e32 v2, 3, v2, vcc
	v_cmp_eq_u64_e64 s[40:41], 0, v[2:3]
	v_min_i32_e32 v3, 31, v4
	v_lshlrev_b32_e32 v3, 2, v3
	v_cmp_eq_u32_e32 vcc, 0, v4
	v_and_b32_e32 v3, 0xfc, v3
	v_and_or_b32 v2, v2, 3, v3
	s_and_b64 s[40:41], vcc, s[40:41]
	v_cndmask_b32_e64 v2, v2, 0, s[40:41]
	v_or_b32_e32 v37, v2, v8
.LBB2_2263:                             ;   in Loop: Header=BB2_2013 Depth=4
	s_or_b64 exec, exec, s[38:39]
                                        ; implicit-def: $vgpr8
.LBB2_2264:                             ;   in Loop: Header=BB2_2013 Depth=4
	s_andn2_saveexec_b64 s[40:41], s[36:37]
; %bb.2265:                             ;   in Loop: Header=BB2_2013 Depth=4
	v_or_b32_e32 v37, 0x7b, v8
; %bb.2266:                             ;   in Loop: Header=BB2_2013 Depth=4
	s_or_b64 exec, exec, s[40:41]
                                        ; implicit-def: $vgpr2
.LBB2_2267:                             ;   in Loop: Header=BB2_2013 Depth=4
	s_andn2_saveexec_b64 s[40:41], s[42:43]
	s_cbranch_execz .LBB2_2273
; %bb.2268:                             ;   in Loop: Header=BB2_2013 Depth=4
	v_cmp_ne_u64_e32 vcc, 0, v[28:29]
                                        ; implicit-def: $vgpr37
	s_and_saveexec_b64 s[42:43], vcc
	s_xor_b64 s[42:43], exec, s[42:43]
; %bb.2269:                             ;   in Loop: Header=BB2_2013 Depth=4
	v_or_b32_sdwa v37, v2, s47 dst_sel:DWORD dst_unused:UNUSED_PAD src0_sel:BYTE_3 src1_sel:DWORD
                                        ; implicit-def: $vgpr2
; %bb.2270:                             ;   in Loop: Header=BB2_2013 Depth=4
	s_andn2_saveexec_b64 s[42:43], s[42:43]
; %bb.2271:                             ;   in Loop: Header=BB2_2013 Depth=4
	v_cmp_lt_i32_e32 vcc, -1, v2
	v_cndmask_b32_e32 v37, v6, v22, vcc
; %bb.2272:                             ;   in Loop: Header=BB2_2013 Depth=4
	s_or_b64 exec, exec, s[42:43]
.LBB2_2273:                             ;   in Loop: Header=BB2_2013 Depth=4
	s_or_b64 exec, exec, s[40:41]
	v_lshrrev_b16_e32 v28, 8, v10
	v_cmp_ne_u16_e32 vcc, 0, v28
	v_mov_b32_e32 v2, 0
	s_and_saveexec_b64 s[40:41], vcc
	s_cbranch_execz .LBB2_2281
; %bb.2274:                             ;   in Loop: Header=BB2_2013 Depth=4
	v_cmp_ne_u16_e32 vcc, s96, v28
	v_bfrev_b32_e32 v2, 1
	s_and_saveexec_b64 s[42:43], vcc
	s_cbranch_execz .LBB2_2280
; %bb.2275:                             ;   in Loop: Header=BB2_2013 Depth=4
	v_and_b32_e32 v2, 0x7c, v28
	v_and_b32_e32 v3, 3, v28
	v_cmp_ne_u32_e32 vcc, s85, v2
                                        ; implicit-def: $vgpr2
	s_and_saveexec_b64 s[36:37], vcc
	s_xor_b64 s[36:37], exec, s[36:37]
	s_cbranch_execz .LBB2_2277
; %bb.2276:                             ;   in Loop: Header=BB2_2013 Depth=4
	v_ffbh_u32_e32 v4, v3
	v_min_u32_e32 v4, 32, v4
	v_bfe_u32 v2, v28, 2, 5
	v_subrev_u32_e32 v8, 29, v4
	v_lshlrev_b64 v[8:9], v8, v[28:29]
	v_sub_u32_e32 v4, 30, v4
	v_cmp_eq_u32_e32 vcc, 0, v2
	v_cndmask_b32_e32 v2, v2, v4, vcc
	v_lshlrev_b32_e32 v4, 16, v10
	v_and_b32_e32 v8, 3, v8
	v_and_b32_e32 v4, 0x80000000, v4
	v_cndmask_b32_e32 v3, v3, v8, vcc
	v_lshl_add_u32 v2, v2, 23, v4
	v_lshl_or_b32 v2, v3, 21, v2
	v_add_u32_e32 v2, 0x38000000, v2
                                        ; implicit-def: $vgpr3
.LBB2_2277:                             ;   in Loop: Header=BB2_2013 Depth=4
	s_andn2_saveexec_b64 s[36:37], s[36:37]
; %bb.2278:                             ;   in Loop: Header=BB2_2013 Depth=4
	v_cmp_lt_i16_e32 vcc, -1, v10
	v_cndmask_b32_e32 v2, v7, v0, vcc
	v_cmp_eq_u32_e32 vcc, 0, v3
	v_cndmask_b32_e32 v2, v35, v2, vcc
; %bb.2279:                             ;   in Loop: Header=BB2_2013 Depth=4
	s_or_b64 exec, exec, s[36:37]
.LBB2_2280:                             ;   in Loop: Header=BB2_2013 Depth=4
	s_or_b64 exec, exec, s[42:43]
.LBB2_2281:                             ;   in Loop: Header=BB2_2013 Depth=4
	s_or_b64 exec, exec, s[40:41]
	v_mul_f32_e32 v2, v23, v2
	v_and_b32_e32 v3, 0x7f800000, v2
	v_mov_b32_e32 v4, v29
	v_cmp_ne_u64_e32 vcc, s[76:77], v[3:4]
	v_and_b32_e32 v28, 0x7fffff, v2
                                        ; implicit-def: $vgpr56
	s_and_saveexec_b64 s[40:41], vcc
	s_xor_b64 s[42:43], exec, s[40:41]
	s_cbranch_execz .LBB2_2295
; %bb.2282:                             ;   in Loop: Header=BB2_2013 Depth=4
	v_and_b32_e32 v3, 0x7fffffff, v2
	v_mov_b32_e32 v4, v29
	v_cmp_gt_u64_e32 vcc, s[78:79], v[3:4]
	v_and_b32_sdwa v8, v2, s96 dst_sel:DWORD dst_unused:UNUSED_PAD src0_sel:BYTE_3 src1_sel:DWORD
                                        ; implicit-def: $vgpr56
	s_and_saveexec_b64 s[40:41], vcc
	s_xor_b64 s[36:37], exec, s[40:41]
	s_cbranch_execz .LBB2_2292
; %bb.2283:                             ;   in Loop: Header=BB2_2013 Depth=4
	v_mov_b32_e32 v56, 0
	v_cmp_ne_u32_e32 vcc, 0, v2
	s_and_saveexec_b64 s[38:39], vcc
	s_cbranch_execz .LBB2_2291
; %bb.2284:                             ;   in Loop: Header=BB2_2013 Depth=4
	v_bfe_u32 v9, v2, 23, 8
	v_cmp_gt_u32_e64 s[40:41], s46, v9
	v_sub_u32_e32 v2, 0x71, v9
	v_cmp_eq_u32_e32 vcc, 0, v9
	v_cndmask_b32_e64 v2, 0, v2, s[40:41]
	v_mov_b32_e32 v4, 0x70
	v_cndmask_b32_e32 v31, v2, v4, vcc
	v_or_b32_e32 v3, 0x800000, v28
	v_add_u32_e32 v2, 21, v31
	v_cndmask_b32_e32 v28, v3, v28, vcc
	v_lshlrev_b64 v[2:3], v2, -1
	v_add_u32_e32 v4, 20, v31
	v_lshlrev_b64 v[38:39], v4, 1
	v_bfi_b32 v3, v3, 0, 0
	v_bfi_b32 v2, v2, 0, v28
	v_cmp_eq_u64_e64 s[40:41], v[2:3], v[38:39]
	v_lshrrev_b64 v[2:3], v31, v[28:29]
	v_mov_b32_e32 v4, v3
	v_mov_b32_e32 v3, v2
	s_and_saveexec_b64 s[48:49], s[40:41]
; %bb.2285:                             ;   in Loop: Header=BB2_2013 Depth=4
	v_bfe_u32 v3, v2, 21, 1
	v_add_co_u32_e64 v3, s[40:41], v2, v3
	v_add_co_u32_e64 v3, s[40:41], -1, v3
; %bb.2286:                             ;   in Loop: Header=BB2_2013 Depth=4
	s_or_b64 exec, exec, s[48:49]
	v_add_u32_e32 v4, 0xffffff81, v9
	v_cndmask_b32_e32 v4, v4, v1, vcc
	v_lshrrev_b32_e32 v9, 23, v2
	v_add3_u32 v31, v31, v4, v9
	v_add_u32_e32 v9, 14, v31
	v_and_b32_e32 v3, 0x1fffff, v3
	v_add_u32_e32 v28, v3, v2
	v_cmp_ne_u32_e32 vcc, 0, v9
                                        ; implicit-def: $vgpr2_vgpr3
                                        ; implicit-def: $vgpr4
	s_and_saveexec_b64 s[40:41], vcc
	s_xor_b64 s[40:41], exec, s[40:41]
; %bb.2287:                             ;   in Loop: Header=BB2_2013 Depth=4
	v_cmp_lt_u64_e32 vcc, s[88:89], v[28:29]
	v_add_u32_e32 v2, 15, v31
	v_cndmask_b32_e32 v4, v9, v2, vcc
	v_cndmask_b32_e64 v2, 0, 1, vcc
	v_lshrrev_b64 v[2:3], v2, v[28:29]
; %bb.2288:                             ;   in Loop: Header=BB2_2013 Depth=4
	s_andn2_saveexec_b64 s[40:41], s[40:41]
; %bb.2289:                             ;   in Loop: Header=BB2_2013 Depth=4
	v_mov_b32_e32 v2, v28
	v_bfe_u32 v4, v28, 23, 1
	v_mov_b32_e32 v3, v29
; %bb.2290:                             ;   in Loop: Header=BB2_2013 Depth=4
	s_or_b64 exec, exec, s[40:41]
	v_lshrrev_b64 v[2:3], 21, v[2:3]
	v_cmp_gt_i32_e32 vcc, 32, v4
	v_cndmask_b32_e32 v3, 0, v3, vcc
	v_cndmask_b32_e32 v2, 3, v2, vcc
	v_cmp_eq_u64_e64 s[40:41], 0, v[2:3]
	v_min_i32_e32 v3, 31, v4
	v_lshlrev_b32_e32 v3, 2, v3
	v_cmp_eq_u32_e32 vcc, 0, v4
	v_and_b32_e32 v3, 0xfc, v3
	v_and_or_b32 v2, v2, 3, v3
	s_and_b64 s[40:41], vcc, s[40:41]
	v_cndmask_b32_e64 v2, v2, 0, s[40:41]
	v_or_b32_e32 v56, v2, v8
.LBB2_2291:                             ;   in Loop: Header=BB2_2013 Depth=4
	s_or_b64 exec, exec, s[38:39]
                                        ; implicit-def: $vgpr8
.LBB2_2292:                             ;   in Loop: Header=BB2_2013 Depth=4
	s_andn2_saveexec_b64 s[40:41], s[36:37]
; %bb.2293:                             ;   in Loop: Header=BB2_2013 Depth=4
	v_or_b32_e32 v56, 0x7b, v8
; %bb.2294:                             ;   in Loop: Header=BB2_2013 Depth=4
	s_or_b64 exec, exec, s[40:41]
                                        ; implicit-def: $vgpr2
.LBB2_2295:                             ;   in Loop: Header=BB2_2013 Depth=4
	s_andn2_saveexec_b64 s[40:41], s[42:43]
	s_cbranch_execz .LBB2_2301
; %bb.2296:                             ;   in Loop: Header=BB2_2013 Depth=4
	v_cmp_ne_u64_e32 vcc, 0, v[28:29]
                                        ; implicit-def: $vgpr56
	s_and_saveexec_b64 s[42:43], vcc
	s_xor_b64 s[42:43], exec, s[42:43]
; %bb.2297:                             ;   in Loop: Header=BB2_2013 Depth=4
	v_or_b32_sdwa v56, v2, s47 dst_sel:DWORD dst_unused:UNUSED_PAD src0_sel:BYTE_3 src1_sel:DWORD
                                        ; implicit-def: $vgpr2
; %bb.2298:                             ;   in Loop: Header=BB2_2013 Depth=4
	s_andn2_saveexec_b64 s[42:43], s[42:43]
; %bb.2299:                             ;   in Loop: Header=BB2_2013 Depth=4
	v_cmp_lt_i32_e32 vcc, -1, v2
	v_cndmask_b32_e32 v56, v6, v22, vcc
; %bb.2300:                             ;   in Loop: Header=BB2_2013 Depth=4
	s_or_b64 exec, exec, s[42:43]
.LBB2_2301:                             ;   in Loop: Header=BB2_2013 Depth=4
	s_or_b64 exec, exec, s[40:41]
	v_lshrrev_b32_e32 v2, 16, v10
	v_cmp_ne_u16_sdwa s[42:43], v2, v29 src0_sel:BYTE_0 src1_sel:DWORD
	v_mov_b32_e32 v3, 0
	s_and_saveexec_b64 s[40:41], s[42:43]
	s_cbranch_execz .LBB2_2309
; %bb.2302:                             ;   in Loop: Header=BB2_2013 Depth=4
	v_cmp_ne_u16_sdwa vcc, v2, s96 src0_sel:BYTE_0 src1_sel:DWORD
	v_bfrev_b32_e32 v3, 1
	s_and_saveexec_b64 s[42:43], vcc
	s_cbranch_execz .LBB2_2308
; %bb.2303:                             ;   in Loop: Header=BB2_2013 Depth=4
	v_and_b32_e32 v3, 0x7c0000, v10
	v_bfe_u32 v4, v10, 16, 2
	v_cmp_ne_u32_e32 vcc, s44, v3
                                        ; implicit-def: $vgpr3
	s_and_saveexec_b64 s[36:37], vcc
	s_xor_b64 s[36:37], exec, s[36:37]
	s_cbranch_execz .LBB2_2305
; %bb.2304:                             ;   in Loop: Header=BB2_2013 Depth=4
	v_ffbh_u32_e32 v3, v4
	v_min_u32_e32 v9, 32, v3
	v_subrev_u32_e32 v3, 29, v9
	v_lshlrev_b64 v[2:3], v3, v[2:3]
	v_bfe_u32 v8, v10, 18, 5
	v_and_b32_e32 v2, 3, v2
	v_cmp_eq_u32_e32 vcc, 0, v8
	v_sub_u32_e32 v3, 30, v9
	v_cndmask_b32_e32 v2, v4, v2, vcc
	v_lshlrev_b32_e32 v4, 8, v10
	v_cndmask_b32_e32 v3, v8, v3, vcc
	v_and_b32_e32 v4, 0x80000000, v4
	v_lshl_add_u32 v3, v3, 23, v4
	v_lshl_or_b32 v2, v2, 21, v3
	v_add_u32_e32 v3, 0x38000000, v2
                                        ; implicit-def: $vgpr4
                                        ; implicit-def: $vgpr2
.LBB2_2305:                             ;   in Loop: Header=BB2_2013 Depth=4
	s_andn2_saveexec_b64 s[36:37], s[36:37]
; %bb.2306:                             ;   in Loop: Header=BB2_2013 Depth=4
	v_cmp_gt_i16_sdwa vcc, sext(v2), v48 src0_sel:BYTE_0 src1_sel:DWORD
	v_cndmask_b32_e32 v2, v7, v0, vcc
	v_cmp_eq_u32_e32 vcc, 0, v4
	v_cndmask_b32_e32 v3, v35, v2, vcc
; %bb.2307:                             ;   in Loop: Header=BB2_2013 Depth=4
	s_or_b64 exec, exec, s[36:37]
.LBB2_2308:                             ;   in Loop: Header=BB2_2013 Depth=4
	s_or_b64 exec, exec, s[42:43]
.LBB2_2309:                             ;   in Loop: Header=BB2_2013 Depth=4
	s_or_b64 exec, exec, s[40:41]
	v_mul_f32_e32 v2, v23, v3
	v_and_b32_e32 v3, 0x7f800000, v2
	v_mov_b32_e32 v4, v29
	v_cmp_ne_u64_e32 vcc, s[76:77], v[3:4]
	v_and_b32_e32 v28, 0x7fffff, v2
                                        ; implicit-def: $vgpr59
	s_and_saveexec_b64 s[40:41], vcc
	s_xor_b64 s[42:43], exec, s[40:41]
	s_cbranch_execz .LBB2_2323
; %bb.2310:                             ;   in Loop: Header=BB2_2013 Depth=4
	v_and_b32_e32 v3, 0x7fffffff, v2
	v_mov_b32_e32 v4, v29
	v_cmp_gt_u64_e32 vcc, s[78:79], v[3:4]
	v_and_b32_sdwa v8, v2, s96 dst_sel:DWORD dst_unused:UNUSED_PAD src0_sel:BYTE_3 src1_sel:DWORD
                                        ; implicit-def: $vgpr59
	s_and_saveexec_b64 s[40:41], vcc
	s_xor_b64 s[36:37], exec, s[40:41]
	s_cbranch_execz .LBB2_2320
; %bb.2311:                             ;   in Loop: Header=BB2_2013 Depth=4
	v_mov_b32_e32 v59, 0
	v_cmp_ne_u32_e32 vcc, 0, v2
	s_and_saveexec_b64 s[38:39], vcc
	s_cbranch_execz .LBB2_2319
; %bb.2312:                             ;   in Loop: Header=BB2_2013 Depth=4
	v_bfe_u32 v9, v2, 23, 8
	v_cmp_gt_u32_e64 s[40:41], s46, v9
	v_sub_u32_e32 v2, 0x71, v9
	v_cmp_eq_u32_e32 vcc, 0, v9
	v_cndmask_b32_e64 v2, 0, v2, s[40:41]
	v_mov_b32_e32 v4, 0x70
	v_cndmask_b32_e32 v31, v2, v4, vcc
	v_or_b32_e32 v3, 0x800000, v28
	v_add_u32_e32 v2, 21, v31
	v_cndmask_b32_e32 v28, v3, v28, vcc
	v_lshlrev_b64 v[2:3], v2, -1
	v_add_u32_e32 v4, 20, v31
	v_lshlrev_b64 v[38:39], v4, 1
	v_bfi_b32 v3, v3, 0, 0
	v_bfi_b32 v2, v2, 0, v28
	v_cmp_eq_u64_e64 s[40:41], v[2:3], v[38:39]
	v_lshrrev_b64 v[2:3], v31, v[28:29]
	v_mov_b32_e32 v4, v3
	v_mov_b32_e32 v3, v2
	s_and_saveexec_b64 s[48:49], s[40:41]
; %bb.2313:                             ;   in Loop: Header=BB2_2013 Depth=4
	v_bfe_u32 v3, v2, 21, 1
	v_add_co_u32_e64 v3, s[40:41], v2, v3
	v_add_co_u32_e64 v3, s[40:41], -1, v3
; %bb.2314:                             ;   in Loop: Header=BB2_2013 Depth=4
	s_or_b64 exec, exec, s[48:49]
	v_add_u32_e32 v4, 0xffffff81, v9
	v_cndmask_b32_e32 v4, v4, v1, vcc
	v_lshrrev_b32_e32 v9, 23, v2
	v_add3_u32 v31, v31, v4, v9
	v_add_u32_e32 v9, 14, v31
	v_and_b32_e32 v3, 0x1fffff, v3
	v_add_u32_e32 v28, v3, v2
	v_cmp_ne_u32_e32 vcc, 0, v9
                                        ; implicit-def: $vgpr2_vgpr3
                                        ; implicit-def: $vgpr4
	s_and_saveexec_b64 s[40:41], vcc
	s_xor_b64 s[40:41], exec, s[40:41]
; %bb.2315:                             ;   in Loop: Header=BB2_2013 Depth=4
	v_cmp_lt_u64_e32 vcc, s[88:89], v[28:29]
	v_add_u32_e32 v2, 15, v31
	v_cndmask_b32_e32 v4, v9, v2, vcc
	v_cndmask_b32_e64 v2, 0, 1, vcc
	v_lshrrev_b64 v[2:3], v2, v[28:29]
; %bb.2316:                             ;   in Loop: Header=BB2_2013 Depth=4
	s_andn2_saveexec_b64 s[40:41], s[40:41]
; %bb.2317:                             ;   in Loop: Header=BB2_2013 Depth=4
	v_mov_b32_e32 v2, v28
	v_bfe_u32 v4, v28, 23, 1
	v_mov_b32_e32 v3, v29
; %bb.2318:                             ;   in Loop: Header=BB2_2013 Depth=4
	s_or_b64 exec, exec, s[40:41]
	v_lshrrev_b64 v[2:3], 21, v[2:3]
	v_cmp_gt_i32_e32 vcc, 32, v4
	v_cndmask_b32_e32 v3, 0, v3, vcc
	v_cndmask_b32_e32 v2, 3, v2, vcc
	v_cmp_eq_u64_e64 s[40:41], 0, v[2:3]
	v_min_i32_e32 v3, 31, v4
	v_lshlrev_b32_e32 v3, 2, v3
	v_cmp_eq_u32_e32 vcc, 0, v4
	v_and_b32_e32 v3, 0xfc, v3
	v_and_or_b32 v2, v2, 3, v3
	s_and_b64 s[40:41], vcc, s[40:41]
	v_cndmask_b32_e64 v2, v2, 0, s[40:41]
	v_or_b32_e32 v59, v2, v8
.LBB2_2319:                             ;   in Loop: Header=BB2_2013 Depth=4
	s_or_b64 exec, exec, s[38:39]
                                        ; implicit-def: $vgpr8
.LBB2_2320:                             ;   in Loop: Header=BB2_2013 Depth=4
	s_andn2_saveexec_b64 s[40:41], s[36:37]
; %bb.2321:                             ;   in Loop: Header=BB2_2013 Depth=4
	v_or_b32_e32 v59, 0x7b, v8
; %bb.2322:                             ;   in Loop: Header=BB2_2013 Depth=4
	s_or_b64 exec, exec, s[40:41]
                                        ; implicit-def: $vgpr2
.LBB2_2323:                             ;   in Loop: Header=BB2_2013 Depth=4
	s_andn2_saveexec_b64 s[40:41], s[42:43]
	s_cbranch_execz .LBB2_2329
; %bb.2324:                             ;   in Loop: Header=BB2_2013 Depth=4
	v_cmp_ne_u64_e32 vcc, 0, v[28:29]
                                        ; implicit-def: $vgpr59
	s_and_saveexec_b64 s[42:43], vcc
	s_xor_b64 s[42:43], exec, s[42:43]
; %bb.2325:                             ;   in Loop: Header=BB2_2013 Depth=4
	v_or_b32_sdwa v59, v2, s47 dst_sel:DWORD dst_unused:UNUSED_PAD src0_sel:BYTE_3 src1_sel:DWORD
                                        ; implicit-def: $vgpr2
; %bb.2326:                             ;   in Loop: Header=BB2_2013 Depth=4
	s_andn2_saveexec_b64 s[42:43], s[42:43]
; %bb.2327:                             ;   in Loop: Header=BB2_2013 Depth=4
	v_cmp_lt_i32_e32 vcc, -1, v2
	v_cndmask_b32_e32 v59, v6, v22, vcc
; %bb.2328:                             ;   in Loop: Header=BB2_2013 Depth=4
	s_or_b64 exec, exec, s[42:43]
.LBB2_2329:                             ;   in Loop: Header=BB2_2013 Depth=4
	s_or_b64 exec, exec, s[40:41]
	v_cmp_lt_u32_e32 vcc, s57, v10
	v_mov_b32_e32 v3, 0
	s_and_saveexec_b64 s[40:41], vcc
	s_cbranch_execz .LBB2_2337
; %bb.2330:                             ;   in Loop: Header=BB2_2013 Depth=4
	v_lshrrev_b32_e32 v2, 24, v10
	v_cmp_ne_u32_e32 vcc, s96, v2
	v_bfrev_b32_e32 v3, 1
	s_and_saveexec_b64 s[42:43], vcc
	s_cbranch_execz .LBB2_2336
; %bb.2331:                             ;   in Loop: Header=BB2_2013 Depth=4
	v_and_b32_e32 v3, 0x7c000000, v10
	v_bfe_u32 v4, v10, 24, 2
	v_cmp_ne_u32_e32 vcc, s45, v3
                                        ; implicit-def: $vgpr3
	s_and_saveexec_b64 s[36:37], vcc
	s_xor_b64 s[36:37], exec, s[36:37]
	s_cbranch_execz .LBB2_2333
; %bb.2332:                             ;   in Loop: Header=BB2_2013 Depth=4
	v_ffbh_u32_e32 v3, v4
	v_min_u32_e32 v9, 32, v3
	v_subrev_u32_e32 v3, 29, v9
	v_lshlrev_b64 v[2:3], v3, v[2:3]
	v_bfe_u32 v8, v10, 26, 5
	v_sub_u32_e32 v3, 30, v9
	v_and_b32_e32 v2, 3, v2
	v_cmp_eq_u32_e32 vcc, 0, v8
	v_cndmask_b32_e32 v3, v8, v3, vcc
	v_cndmask_b32_e32 v2, v4, v2, vcc
	v_and_b32_e32 v4, 0x80000000, v10
	v_lshl_add_u32 v3, v3, 23, v4
	v_lshl_or_b32 v2, v2, 21, v3
	v_add_u32_e32 v3, 0x38000000, v2
                                        ; implicit-def: $vgpr4
.LBB2_2333:                             ;   in Loop: Header=BB2_2013 Depth=4
	s_andn2_saveexec_b64 s[36:37], s[36:37]
; %bb.2334:                             ;   in Loop: Header=BB2_2013 Depth=4
	v_cmp_lt_i32_e32 vcc, -1, v10
	v_cndmask_b32_e32 v2, v7, v0, vcc
	v_cmp_eq_u32_e32 vcc, 0, v4
	v_cndmask_b32_e32 v3, v35, v2, vcc
; %bb.2335:                             ;   in Loop: Header=BB2_2013 Depth=4
	s_or_b64 exec, exec, s[36:37]
.LBB2_2336:                             ;   in Loop: Header=BB2_2013 Depth=4
	s_or_b64 exec, exec, s[42:43]
.LBB2_2337:                             ;   in Loop: Header=BB2_2013 Depth=4
	s_or_b64 exec, exec, s[40:41]
	v_mul_f32_e32 v2, v23, v3
	v_and_b32_e32 v3, 0x7f800000, v2
	v_mov_b32_e32 v4, v29
	v_cmp_ne_u64_e32 vcc, s[76:77], v[3:4]
	v_and_b32_e32 v28, 0x7fffff, v2
                                        ; implicit-def: $vgpr60
	s_and_saveexec_b64 s[40:41], vcc
	s_xor_b64 s[42:43], exec, s[40:41]
	s_cbranch_execz .LBB2_2351
; %bb.2338:                             ;   in Loop: Header=BB2_2013 Depth=4
	v_and_b32_e32 v3, 0x7fffffff, v2
	v_mov_b32_e32 v4, v29
	v_cmp_gt_u64_e32 vcc, s[78:79], v[3:4]
	v_and_b32_sdwa v8, v2, s96 dst_sel:DWORD dst_unused:UNUSED_PAD src0_sel:BYTE_3 src1_sel:DWORD
                                        ; implicit-def: $vgpr60
	s_and_saveexec_b64 s[40:41], vcc
	s_xor_b64 s[36:37], exec, s[40:41]
	s_cbranch_execz .LBB2_2348
; %bb.2339:                             ;   in Loop: Header=BB2_2013 Depth=4
	v_mov_b32_e32 v60, 0
	v_cmp_ne_u32_e32 vcc, 0, v2
	s_and_saveexec_b64 s[38:39], vcc
	s_cbranch_execz .LBB2_2347
; %bb.2340:                             ;   in Loop: Header=BB2_2013 Depth=4
	v_bfe_u32 v9, v2, 23, 8
	v_cmp_gt_u32_e64 s[40:41], s46, v9
	v_sub_u32_e32 v2, 0x71, v9
	v_cmp_eq_u32_e32 vcc, 0, v9
	v_cndmask_b32_e64 v2, 0, v2, s[40:41]
	v_mov_b32_e32 v4, 0x70
	v_cndmask_b32_e32 v31, v2, v4, vcc
	v_or_b32_e32 v3, 0x800000, v28
	v_add_u32_e32 v2, 21, v31
	v_cndmask_b32_e32 v28, v3, v28, vcc
	v_lshlrev_b64 v[2:3], v2, -1
	v_add_u32_e32 v4, 20, v31
	v_lshlrev_b64 v[38:39], v4, 1
	v_bfi_b32 v3, v3, 0, 0
	v_bfi_b32 v2, v2, 0, v28
	v_cmp_eq_u64_e64 s[40:41], v[2:3], v[38:39]
	v_lshrrev_b64 v[2:3], v31, v[28:29]
	v_mov_b32_e32 v4, v3
	v_mov_b32_e32 v3, v2
	s_and_saveexec_b64 s[48:49], s[40:41]
; %bb.2341:                             ;   in Loop: Header=BB2_2013 Depth=4
	v_bfe_u32 v3, v2, 21, 1
	v_add_co_u32_e64 v3, s[40:41], v2, v3
	v_add_co_u32_e64 v3, s[40:41], -1, v3
; %bb.2342:                             ;   in Loop: Header=BB2_2013 Depth=4
	s_or_b64 exec, exec, s[48:49]
	v_add_u32_e32 v4, 0xffffff81, v9
	v_cndmask_b32_e32 v4, v4, v1, vcc
	v_lshrrev_b32_e32 v9, 23, v2
	v_add3_u32 v31, v31, v4, v9
	v_add_u32_e32 v9, 14, v31
	v_and_b32_e32 v3, 0x1fffff, v3
	v_add_u32_e32 v28, v3, v2
	v_cmp_ne_u32_e32 vcc, 0, v9
                                        ; implicit-def: $vgpr2_vgpr3
                                        ; implicit-def: $vgpr4
	s_and_saveexec_b64 s[40:41], vcc
	s_xor_b64 s[40:41], exec, s[40:41]
; %bb.2343:                             ;   in Loop: Header=BB2_2013 Depth=4
	v_cmp_lt_u64_e32 vcc, s[88:89], v[28:29]
	v_add_u32_e32 v2, 15, v31
	v_cndmask_b32_e32 v4, v9, v2, vcc
	v_cndmask_b32_e64 v2, 0, 1, vcc
	v_lshrrev_b64 v[2:3], v2, v[28:29]
; %bb.2344:                             ;   in Loop: Header=BB2_2013 Depth=4
	s_andn2_saveexec_b64 s[40:41], s[40:41]
; %bb.2345:                             ;   in Loop: Header=BB2_2013 Depth=4
	v_mov_b32_e32 v2, v28
	v_bfe_u32 v4, v28, 23, 1
	v_mov_b32_e32 v3, v29
; %bb.2346:                             ;   in Loop: Header=BB2_2013 Depth=4
	s_or_b64 exec, exec, s[40:41]
	v_lshrrev_b64 v[2:3], 21, v[2:3]
	v_cmp_gt_i32_e32 vcc, 32, v4
	v_cndmask_b32_e32 v3, 0, v3, vcc
	v_cndmask_b32_e32 v2, 3, v2, vcc
	v_cmp_eq_u64_e64 s[40:41], 0, v[2:3]
	v_min_i32_e32 v3, 31, v4
	v_lshlrev_b32_e32 v3, 2, v3
	v_cmp_eq_u32_e32 vcc, 0, v4
	v_and_b32_e32 v3, 0xfc, v3
	v_and_or_b32 v2, v2, 3, v3
	s_and_b64 s[40:41], vcc, s[40:41]
	v_cndmask_b32_e64 v2, v2, 0, s[40:41]
	v_or_b32_e32 v60, v2, v8
.LBB2_2347:                             ;   in Loop: Header=BB2_2013 Depth=4
	s_or_b64 exec, exec, s[38:39]
                                        ; implicit-def: $vgpr8
.LBB2_2348:                             ;   in Loop: Header=BB2_2013 Depth=4
	s_andn2_saveexec_b64 s[40:41], s[36:37]
; %bb.2349:                             ;   in Loop: Header=BB2_2013 Depth=4
	v_or_b32_e32 v60, 0x7b, v8
; %bb.2350:                             ;   in Loop: Header=BB2_2013 Depth=4
	s_or_b64 exec, exec, s[40:41]
                                        ; implicit-def: $vgpr2
.LBB2_2351:                             ;   in Loop: Header=BB2_2013 Depth=4
	s_andn2_saveexec_b64 s[40:41], s[42:43]
	s_cbranch_execz .LBB2_2357
; %bb.2352:                             ;   in Loop: Header=BB2_2013 Depth=4
	v_cmp_ne_u64_e32 vcc, 0, v[28:29]
                                        ; implicit-def: $vgpr60
	s_and_saveexec_b64 s[42:43], vcc
	s_xor_b64 s[42:43], exec, s[42:43]
; %bb.2353:                             ;   in Loop: Header=BB2_2013 Depth=4
	v_or_b32_sdwa v60, v2, s47 dst_sel:DWORD dst_unused:UNUSED_PAD src0_sel:BYTE_3 src1_sel:DWORD
                                        ; implicit-def: $vgpr2
; %bb.2354:                             ;   in Loop: Header=BB2_2013 Depth=4
	s_andn2_saveexec_b64 s[42:43], s[42:43]
; %bb.2355:                             ;   in Loop: Header=BB2_2013 Depth=4
	v_cmp_lt_i32_e32 vcc, -1, v2
	v_cndmask_b32_e32 v60, v6, v22, vcc
; %bb.2356:                             ;   in Loop: Header=BB2_2013 Depth=4
	s_or_b64 exec, exec, s[42:43]
.LBB2_2357:                             ;   in Loop: Header=BB2_2013 Depth=4
	s_or_b64 exec, exec, s[40:41]
	v_mov_b32_e32 v28, v11
	v_cmp_ne_u16_sdwa s[42:43], v11, v29 src0_sel:BYTE_0 src1_sel:DWORD
	v_mov_b32_e32 v2, 0
	s_and_saveexec_b64 s[40:41], s[42:43]
	s_cbranch_execz .LBB2_2365
; %bb.2358:                             ;   in Loop: Header=BB2_2013 Depth=4
	v_cmp_ne_u16_sdwa vcc, v11, s96 src0_sel:BYTE_0 src1_sel:DWORD
	v_bfrev_b32_e32 v2, 1
	s_and_saveexec_b64 s[42:43], vcc
	s_cbranch_execz .LBB2_2364
; %bb.2359:                             ;   in Loop: Header=BB2_2013 Depth=4
	v_and_b32_e32 v2, 0x7c, v11
	v_and_b32_e32 v3, 3, v11
	v_cmp_ne_u32_e32 vcc, s85, v2
                                        ; implicit-def: $vgpr2
	s_and_saveexec_b64 s[36:37], vcc
	s_xor_b64 s[36:37], exec, s[36:37]
	s_cbranch_execz .LBB2_2361
; %bb.2360:                             ;   in Loop: Header=BB2_2013 Depth=4
	v_ffbh_u32_e32 v4, v3
	v_min_u32_e32 v4, 32, v4
	v_bfe_u32 v2, v11, 2, 5
	v_subrev_u32_e32 v8, 29, v4
	v_lshlrev_b64 v[8:9], v8, v[28:29]
	v_sub_u32_e32 v4, 30, v4
	v_cmp_eq_u32_e32 vcc, 0, v2
	v_cndmask_b32_e32 v2, v2, v4, vcc
	v_lshlrev_b32_e32 v4, 24, v11
	v_and_b32_e32 v8, 3, v8
	v_and_b32_e32 v4, 0x80000000, v4
	v_cndmask_b32_e32 v3, v3, v8, vcc
	v_lshl_add_u32 v2, v2, 23, v4
	v_lshl_or_b32 v2, v3, 21, v2
	v_add_u32_e32 v2, 0x38000000, v2
                                        ; implicit-def: $vgpr3
.LBB2_2361:                             ;   in Loop: Header=BB2_2013 Depth=4
	s_andn2_saveexec_b64 s[36:37], s[36:37]
; %bb.2362:                             ;   in Loop: Header=BB2_2013 Depth=4
	v_cmp_gt_i16_sdwa vcc, sext(v11), v48 src0_sel:BYTE_0 src1_sel:DWORD
	v_cndmask_b32_e32 v2, v7, v0, vcc
	v_cmp_eq_u32_e32 vcc, 0, v3
	v_cndmask_b32_e32 v2, v35, v2, vcc
; %bb.2363:                             ;   in Loop: Header=BB2_2013 Depth=4
	s_or_b64 exec, exec, s[36:37]
.LBB2_2364:                             ;   in Loop: Header=BB2_2013 Depth=4
	s_or_b64 exec, exec, s[42:43]
.LBB2_2365:                             ;   in Loop: Header=BB2_2013 Depth=4
	s_or_b64 exec, exec, s[40:41]
	v_mul_f32_e32 v4, v23, v2
	v_and_b32_e32 v8, 0x7f800000, v4
	v_mov_b32_e32 v9, v29
	v_cmp_ne_u64_e32 vcc, s[76:77], v[8:9]
	v_and_b32_e32 v2, 0x7fffff, v4
	v_mov_b32_e32 v3, v29
                                        ; implicit-def: $vgpr31
	s_and_saveexec_b64 s[40:41], vcc
	s_xor_b64 s[42:43], exec, s[40:41]
	s_cbranch_execz .LBB2_2379
; %bb.2366:                             ;   in Loop: Header=BB2_2013 Depth=4
	v_and_b32_e32 v8, 0x7fffffff, v4
	v_mov_b32_e32 v9, v29
	v_cmp_gt_u64_e32 vcc, s[78:79], v[8:9]
	v_and_b32_sdwa v8, v4, s96 dst_sel:DWORD dst_unused:UNUSED_PAD src0_sel:BYTE_3 src1_sel:DWORD
                                        ; implicit-def: $vgpr31
	s_and_saveexec_b64 s[40:41], vcc
	s_xor_b64 s[36:37], exec, s[40:41]
	s_cbranch_execz .LBB2_2376
; %bb.2367:                             ;   in Loop: Header=BB2_2013 Depth=4
	v_mov_b32_e32 v31, 0
	v_cmp_ne_u32_e32 vcc, 0, v4
	s_and_saveexec_b64 s[38:39], vcc
	s_cbranch_execz .LBB2_2375
; %bb.2368:                             ;   in Loop: Header=BB2_2013 Depth=4
	v_bfe_u32 v9, v4, 23, 8
	v_cmp_gt_u32_e64 s[40:41], s46, v9
	v_sub_u32_e32 v4, 0x71, v9
	v_cmp_eq_u32_e32 vcc, 0, v9
	v_cndmask_b32_e64 v4, 0, v4, s[40:41]
	v_mov_b32_e32 v31, 0x70
	v_cndmask_b32_e32 v31, v4, v31, vcc
	v_or_b32_e32 v38, 0x800000, v2
	v_add_u32_e32 v4, 21, v31
	v_cndmask_b32_e32 v2, v38, v2, vcc
	v_lshlrev_b64 v[38:39], v4, -1
	v_add_u32_e32 v4, 20, v31
	v_bfi_b32 v38, v38, 0, v2
	v_lshlrev_b64 v[40:41], v4, 1
	v_lshrrev_b64 v[2:3], v31, v[2:3]
	v_bfi_b32 v39, v39, 0, 0
	v_cmp_eq_u64_e64 s[40:41], v[38:39], v[40:41]
	v_mov_b32_e32 v4, v3
	v_mov_b32_e32 v3, v2
	s_and_saveexec_b64 s[48:49], s[40:41]
; %bb.2369:                             ;   in Loop: Header=BB2_2013 Depth=4
	v_bfe_u32 v3, v2, 21, 1
	v_add_co_u32_e64 v3, s[40:41], v2, v3
	v_add_co_u32_e64 v3, s[40:41], -1, v3
; %bb.2370:                             ;   in Loop: Header=BB2_2013 Depth=4
	s_or_b64 exec, exec, s[48:49]
	v_add_u32_e32 v4, 0xffffff81, v9
	v_cndmask_b32_e32 v4, v4, v1, vcc
	v_lshrrev_b32_e32 v9, 23, v2
	v_add3_u32 v31, v31, v4, v9
	v_add_u32_e32 v9, 14, v31
	v_and_b32_e32 v3, 0x1fffff, v3
	v_add_u32_e32 v2, v3, v2
	v_mov_b32_e32 v3, v29
	v_cmp_ne_u32_e32 vcc, 0, v9
                                        ; implicit-def: $vgpr4
	s_and_saveexec_b64 s[40:41], vcc
	s_xor_b64 s[40:41], exec, s[40:41]
; %bb.2371:                             ;   in Loop: Header=BB2_2013 Depth=4
	v_cmp_lt_u64_e32 vcc, s[88:89], v[2:3]
	v_add_u32_e32 v4, 15, v31
	v_cndmask_b32_e32 v4, v9, v4, vcc
	v_cndmask_b32_e64 v9, 0, 1, vcc
	v_lshrrev_b64 v[2:3], v9, v[2:3]
; %bb.2372:                             ;   in Loop: Header=BB2_2013 Depth=4
	s_andn2_saveexec_b64 s[40:41], s[40:41]
; %bb.2373:                             ;   in Loop: Header=BB2_2013 Depth=4
	v_bfe_u32 v4, v2, 23, 1
; %bb.2374:                             ;   in Loop: Header=BB2_2013 Depth=4
	s_or_b64 exec, exec, s[40:41]
	v_lshrrev_b64 v[2:3], 21, v[2:3]
	v_cmp_gt_i32_e32 vcc, 32, v4
	v_cndmask_b32_e32 v3, 0, v3, vcc
	v_cndmask_b32_e32 v2, 3, v2, vcc
	v_cmp_eq_u64_e64 s[40:41], 0, v[2:3]
	v_min_i32_e32 v3, 31, v4
	v_lshlrev_b32_e32 v3, 2, v3
	v_cmp_eq_u32_e32 vcc, 0, v4
	v_and_b32_e32 v3, 0xfc, v3
	v_and_or_b32 v2, v2, 3, v3
	s_and_b64 s[40:41], vcc, s[40:41]
	v_cndmask_b32_e64 v2, v2, 0, s[40:41]
	v_or_b32_e32 v31, v2, v8
.LBB2_2375:                             ;   in Loop: Header=BB2_2013 Depth=4
	s_or_b64 exec, exec, s[38:39]
                                        ; implicit-def: $vgpr8
.LBB2_2376:                             ;   in Loop: Header=BB2_2013 Depth=4
	s_andn2_saveexec_b64 s[40:41], s[36:37]
; %bb.2377:                             ;   in Loop: Header=BB2_2013 Depth=4
	v_or_b32_e32 v31, 0x7b, v8
; %bb.2378:                             ;   in Loop: Header=BB2_2013 Depth=4
	s_or_b64 exec, exec, s[40:41]
                                        ; implicit-def: $vgpr4
                                        ; implicit-def: $vgpr2_vgpr3
.LBB2_2379:                             ;   in Loop: Header=BB2_2013 Depth=4
	s_andn2_saveexec_b64 s[40:41], s[42:43]
	s_cbranch_execz .LBB2_2385
; %bb.2380:                             ;   in Loop: Header=BB2_2013 Depth=4
	v_cmp_ne_u64_e32 vcc, 0, v[2:3]
                                        ; implicit-def: $vgpr31
	s_and_saveexec_b64 s[42:43], vcc
	s_xor_b64 s[42:43], exec, s[42:43]
; %bb.2381:                             ;   in Loop: Header=BB2_2013 Depth=4
	v_or_b32_sdwa v31, v4, s47 dst_sel:DWORD dst_unused:UNUSED_PAD src0_sel:BYTE_3 src1_sel:DWORD
                                        ; implicit-def: $vgpr4
; %bb.2382:                             ;   in Loop: Header=BB2_2013 Depth=4
	s_andn2_saveexec_b64 s[42:43], s[42:43]
; %bb.2383:                             ;   in Loop: Header=BB2_2013 Depth=4
	v_cmp_lt_i32_e32 vcc, -1, v4
	v_cndmask_b32_e32 v31, v6, v22, vcc
; %bb.2384:                             ;   in Loop: Header=BB2_2013 Depth=4
	s_or_b64 exec, exec, s[42:43]
.LBB2_2385:                             ;   in Loop: Header=BB2_2013 Depth=4
	s_or_b64 exec, exec, s[40:41]
	v_lshrrev_b16_e32 v2, 8, v28
	v_cmp_ne_u16_e32 vcc, 0, v2
	v_mov_b32_e32 v3, 0
	s_and_saveexec_b64 s[40:41], vcc
	s_cbranch_execz .LBB2_2393
; %bb.2386:                             ;   in Loop: Header=BB2_2013 Depth=4
	v_cmp_ne_u16_e32 vcc, s96, v2
	v_bfrev_b32_e32 v3, 1
	s_and_saveexec_b64 s[42:43], vcc
	s_cbranch_execz .LBB2_2392
; %bb.2387:                             ;   in Loop: Header=BB2_2013 Depth=4
	v_and_b32_e32 v3, 0x7c, v2
	v_and_b32_e32 v4, 3, v2
	v_cmp_ne_u32_e32 vcc, s85, v3
                                        ; implicit-def: $vgpr3
	s_and_saveexec_b64 s[36:37], vcc
	s_xor_b64 s[36:37], exec, s[36:37]
	s_cbranch_execz .LBB2_2389
; %bb.2388:                             ;   in Loop: Header=BB2_2013 Depth=4
	v_ffbh_u32_e32 v9, v4
	v_min_u32_e32 v9, 32, v9
	v_mov_b32_e32 v3, v29
	v_subrev_u32_e32 v38, 29, v9
	v_bfe_u32 v8, v2, 2, 5
	v_lshlrev_b64 v[2:3], v38, v[2:3]
	v_cmp_eq_u32_e32 vcc, 0, v8
	v_and_b32_e32 v2, 3, v2
	v_sub_u32_e32 v3, 30, v9
	v_cndmask_b32_e32 v2, v4, v2, vcc
	v_lshlrev_b32_e32 v4, 16, v28
	v_cndmask_b32_e32 v3, v8, v3, vcc
	v_and_b32_e32 v4, 0x80000000, v4
	v_lshl_add_u32 v3, v3, 23, v4
	v_lshl_or_b32 v2, v2, 21, v3
	v_add_u32_e32 v3, 0x38000000, v2
                                        ; implicit-def: $vgpr4
.LBB2_2389:                             ;   in Loop: Header=BB2_2013 Depth=4
	s_andn2_saveexec_b64 s[36:37], s[36:37]
; %bb.2390:                             ;   in Loop: Header=BB2_2013 Depth=4
	v_cmp_lt_i16_e32 vcc, -1, v28
	v_cndmask_b32_e32 v2, v7, v0, vcc
	v_cmp_eq_u32_e32 vcc, 0, v4
	v_cndmask_b32_e32 v3, v35, v2, vcc
; %bb.2391:                             ;   in Loop: Header=BB2_2013 Depth=4
	s_or_b64 exec, exec, s[36:37]
.LBB2_2392:                             ;   in Loop: Header=BB2_2013 Depth=4
	s_or_b64 exec, exec, s[42:43]
.LBB2_2393:                             ;   in Loop: Header=BB2_2013 Depth=4
	s_or_b64 exec, exec, s[40:41]
	v_mul_f32_e32 v2, v23, v3
	v_and_b32_e32 v3, 0x7f800000, v2
	v_mov_b32_e32 v4, v29
	v_cmp_ne_u64_e32 vcc, s[76:77], v[3:4]
	v_and_b32_e32 v28, 0x7fffff, v2
                                        ; implicit-def: $vgpr51
	s_and_saveexec_b64 s[40:41], vcc
	s_xor_b64 s[42:43], exec, s[40:41]
	s_cbranch_execz .LBB2_2407
; %bb.2394:                             ;   in Loop: Header=BB2_2013 Depth=4
	v_and_b32_e32 v3, 0x7fffffff, v2
	v_mov_b32_e32 v4, v29
	v_cmp_gt_u64_e32 vcc, s[78:79], v[3:4]
	v_and_b32_sdwa v8, v2, s96 dst_sel:DWORD dst_unused:UNUSED_PAD src0_sel:BYTE_3 src1_sel:DWORD
                                        ; implicit-def: $vgpr51
	s_and_saveexec_b64 s[40:41], vcc
	s_xor_b64 s[36:37], exec, s[40:41]
	s_cbranch_execz .LBB2_2404
; %bb.2395:                             ;   in Loop: Header=BB2_2013 Depth=4
	v_mov_b32_e32 v51, 0
	v_cmp_ne_u32_e32 vcc, 0, v2
	s_and_saveexec_b64 s[38:39], vcc
	s_cbranch_execz .LBB2_2403
; %bb.2396:                             ;   in Loop: Header=BB2_2013 Depth=4
	v_bfe_u32 v9, v2, 23, 8
	v_cmp_gt_u32_e64 s[40:41], s46, v9
	v_sub_u32_e32 v2, 0x71, v9
	v_cmp_eq_u32_e32 vcc, 0, v9
	v_cndmask_b32_e64 v2, 0, v2, s[40:41]
	v_mov_b32_e32 v4, 0x70
	v_cndmask_b32_e32 v49, v2, v4, vcc
	v_or_b32_e32 v3, 0x800000, v28
	v_add_u32_e32 v2, 21, v49
	v_cndmask_b32_e32 v28, v3, v28, vcc
	v_lshlrev_b64 v[2:3], v2, -1
	v_add_u32_e32 v4, 20, v49
	v_lshlrev_b64 v[38:39], v4, 1
	v_bfi_b32 v3, v3, 0, 0
	v_bfi_b32 v2, v2, 0, v28
	v_cmp_eq_u64_e64 s[40:41], v[2:3], v[38:39]
	v_lshrrev_b64 v[2:3], v49, v[28:29]
	v_mov_b32_e32 v4, v3
	v_mov_b32_e32 v3, v2
	s_and_saveexec_b64 s[48:49], s[40:41]
; %bb.2397:                             ;   in Loop: Header=BB2_2013 Depth=4
	v_bfe_u32 v3, v2, 21, 1
	v_add_co_u32_e64 v3, s[40:41], v2, v3
	v_add_co_u32_e64 v3, s[40:41], -1, v3
; %bb.2398:                             ;   in Loop: Header=BB2_2013 Depth=4
	s_or_b64 exec, exec, s[48:49]
	v_add_u32_e32 v4, 0xffffff81, v9
	v_cndmask_b32_e32 v4, v4, v1, vcc
	v_lshrrev_b32_e32 v9, 23, v2
	v_add3_u32 v49, v49, v4, v9
	v_add_u32_e32 v9, 14, v49
	v_and_b32_e32 v3, 0x1fffff, v3
	v_add_u32_e32 v28, v3, v2
	v_cmp_ne_u32_e32 vcc, 0, v9
                                        ; implicit-def: $vgpr2_vgpr3
                                        ; implicit-def: $vgpr4
	s_and_saveexec_b64 s[40:41], vcc
	s_xor_b64 s[40:41], exec, s[40:41]
; %bb.2399:                             ;   in Loop: Header=BB2_2013 Depth=4
	v_cmp_lt_u64_e32 vcc, s[88:89], v[28:29]
	v_add_u32_e32 v2, 15, v49
	v_cndmask_b32_e32 v4, v9, v2, vcc
	v_cndmask_b32_e64 v2, 0, 1, vcc
	v_lshrrev_b64 v[2:3], v2, v[28:29]
; %bb.2400:                             ;   in Loop: Header=BB2_2013 Depth=4
	s_andn2_saveexec_b64 s[40:41], s[40:41]
; %bb.2401:                             ;   in Loop: Header=BB2_2013 Depth=4
	v_mov_b32_e32 v2, v28
	v_bfe_u32 v4, v28, 23, 1
	v_mov_b32_e32 v3, v29
; %bb.2402:                             ;   in Loop: Header=BB2_2013 Depth=4
	s_or_b64 exec, exec, s[40:41]
	v_lshrrev_b64 v[2:3], 21, v[2:3]
	v_cmp_gt_i32_e32 vcc, 32, v4
	v_cndmask_b32_e32 v3, 0, v3, vcc
	v_cndmask_b32_e32 v2, 3, v2, vcc
	v_cmp_eq_u64_e64 s[40:41], 0, v[2:3]
	v_min_i32_e32 v3, 31, v4
	v_lshlrev_b32_e32 v3, 2, v3
	v_cmp_eq_u32_e32 vcc, 0, v4
	v_and_b32_e32 v3, 0xfc, v3
	v_and_or_b32 v2, v2, 3, v3
	s_and_b64 s[40:41], vcc, s[40:41]
	v_cndmask_b32_e64 v2, v2, 0, s[40:41]
	v_or_b32_e32 v51, v2, v8
.LBB2_2403:                             ;   in Loop: Header=BB2_2013 Depth=4
	s_or_b64 exec, exec, s[38:39]
                                        ; implicit-def: $vgpr8
.LBB2_2404:                             ;   in Loop: Header=BB2_2013 Depth=4
	s_andn2_saveexec_b64 s[40:41], s[36:37]
; %bb.2405:                             ;   in Loop: Header=BB2_2013 Depth=4
	v_or_b32_e32 v51, 0x7b, v8
; %bb.2406:                             ;   in Loop: Header=BB2_2013 Depth=4
	s_or_b64 exec, exec, s[40:41]
                                        ; implicit-def: $vgpr2
.LBB2_2407:                             ;   in Loop: Header=BB2_2013 Depth=4
	s_andn2_saveexec_b64 s[40:41], s[42:43]
	s_cbranch_execz .LBB2_2413
; %bb.2408:                             ;   in Loop: Header=BB2_2013 Depth=4
	v_cmp_ne_u64_e32 vcc, 0, v[28:29]
                                        ; implicit-def: $vgpr51
	s_and_saveexec_b64 s[42:43], vcc
	s_xor_b64 s[42:43], exec, s[42:43]
; %bb.2409:                             ;   in Loop: Header=BB2_2013 Depth=4
	v_or_b32_sdwa v51, v2, s47 dst_sel:DWORD dst_unused:UNUSED_PAD src0_sel:BYTE_3 src1_sel:DWORD
                                        ; implicit-def: $vgpr2
; %bb.2410:                             ;   in Loop: Header=BB2_2013 Depth=4
	s_andn2_saveexec_b64 s[42:43], s[42:43]
; %bb.2411:                             ;   in Loop: Header=BB2_2013 Depth=4
	v_cmp_lt_i32_e32 vcc, -1, v2
	v_cndmask_b32_e32 v51, v6, v22, vcc
; %bb.2412:                             ;   in Loop: Header=BB2_2013 Depth=4
	s_or_b64 exec, exec, s[42:43]
.LBB2_2413:                             ;   in Loop: Header=BB2_2013 Depth=4
	s_or_b64 exec, exec, s[40:41]
	v_lshrrev_b32_e32 v2, 16, v11
	v_cmp_ne_u16_sdwa s[42:43], v2, v29 src0_sel:BYTE_0 src1_sel:DWORD
	v_mov_b32_e32 v3, 0
	s_and_saveexec_b64 s[40:41], s[42:43]
	s_cbranch_execz .LBB2_2421
; %bb.2414:                             ;   in Loop: Header=BB2_2013 Depth=4
	v_cmp_ne_u16_sdwa vcc, v2, s96 src0_sel:BYTE_0 src1_sel:DWORD
	v_bfrev_b32_e32 v3, 1
	s_and_saveexec_b64 s[42:43], vcc
	s_cbranch_execz .LBB2_2420
; %bb.2415:                             ;   in Loop: Header=BB2_2013 Depth=4
	v_and_b32_e32 v3, 0x7c0000, v11
	v_bfe_u32 v4, v11, 16, 2
	v_cmp_ne_u32_e32 vcc, s44, v3
                                        ; implicit-def: $vgpr3
	s_and_saveexec_b64 s[36:37], vcc
	s_xor_b64 s[36:37], exec, s[36:37]
	s_cbranch_execz .LBB2_2417
; %bb.2416:                             ;   in Loop: Header=BB2_2013 Depth=4
	v_ffbh_u32_e32 v3, v4
	v_min_u32_e32 v9, 32, v3
	v_subrev_u32_e32 v3, 29, v9
	v_lshlrev_b64 v[2:3], v3, v[2:3]
	v_bfe_u32 v8, v11, 18, 5
	v_and_b32_e32 v2, 3, v2
	v_cmp_eq_u32_e32 vcc, 0, v8
	v_sub_u32_e32 v3, 30, v9
	v_cndmask_b32_e32 v2, v4, v2, vcc
	v_lshlrev_b32_e32 v4, 8, v11
	v_cndmask_b32_e32 v3, v8, v3, vcc
	v_and_b32_e32 v4, 0x80000000, v4
	v_lshl_add_u32 v3, v3, 23, v4
	v_lshl_or_b32 v2, v2, 21, v3
	v_add_u32_e32 v3, 0x38000000, v2
                                        ; implicit-def: $vgpr4
                                        ; implicit-def: $vgpr2
.LBB2_2417:                             ;   in Loop: Header=BB2_2013 Depth=4
	s_andn2_saveexec_b64 s[36:37], s[36:37]
; %bb.2418:                             ;   in Loop: Header=BB2_2013 Depth=4
	v_cmp_gt_i16_sdwa vcc, sext(v2), v48 src0_sel:BYTE_0 src1_sel:DWORD
	v_cndmask_b32_e32 v2, v7, v0, vcc
	v_cmp_eq_u32_e32 vcc, 0, v4
	v_cndmask_b32_e32 v3, v35, v2, vcc
; %bb.2419:                             ;   in Loop: Header=BB2_2013 Depth=4
	s_or_b64 exec, exec, s[36:37]
.LBB2_2420:                             ;   in Loop: Header=BB2_2013 Depth=4
	s_or_b64 exec, exec, s[42:43]
.LBB2_2421:                             ;   in Loop: Header=BB2_2013 Depth=4
	s_or_b64 exec, exec, s[40:41]
	v_mul_f32_e32 v2, v23, v3
	v_and_b32_e32 v3, 0x7f800000, v2
	v_mov_b32_e32 v4, v29
	v_cmp_ne_u64_e32 vcc, s[76:77], v[3:4]
	v_and_b32_e32 v28, 0x7fffff, v2
                                        ; implicit-def: $vgpr53
	s_and_saveexec_b64 s[40:41], vcc
	s_xor_b64 s[42:43], exec, s[40:41]
	s_cbranch_execz .LBB2_2435
; %bb.2422:                             ;   in Loop: Header=BB2_2013 Depth=4
	v_and_b32_e32 v3, 0x7fffffff, v2
	v_mov_b32_e32 v4, v29
	v_cmp_gt_u64_e32 vcc, s[78:79], v[3:4]
	v_and_b32_sdwa v8, v2, s96 dst_sel:DWORD dst_unused:UNUSED_PAD src0_sel:BYTE_3 src1_sel:DWORD
                                        ; implicit-def: $vgpr53
	s_and_saveexec_b64 s[40:41], vcc
	s_xor_b64 s[36:37], exec, s[40:41]
	s_cbranch_execz .LBB2_2432
; %bb.2423:                             ;   in Loop: Header=BB2_2013 Depth=4
	v_mov_b32_e32 v53, 0
	v_cmp_ne_u32_e32 vcc, 0, v2
	s_and_saveexec_b64 s[38:39], vcc
	s_cbranch_execz .LBB2_2431
; %bb.2424:                             ;   in Loop: Header=BB2_2013 Depth=4
	v_bfe_u32 v9, v2, 23, 8
	v_cmp_gt_u32_e64 s[40:41], s46, v9
	v_sub_u32_e32 v2, 0x71, v9
	v_cmp_eq_u32_e32 vcc, 0, v9
	v_cndmask_b32_e64 v2, 0, v2, s[40:41]
	v_mov_b32_e32 v4, 0x70
	v_cndmask_b32_e32 v49, v2, v4, vcc
	v_or_b32_e32 v3, 0x800000, v28
	v_add_u32_e32 v2, 21, v49
	v_cndmask_b32_e32 v28, v3, v28, vcc
	v_lshlrev_b64 v[2:3], v2, -1
	v_add_u32_e32 v4, 20, v49
	v_lshlrev_b64 v[38:39], v4, 1
	v_bfi_b32 v3, v3, 0, 0
	v_bfi_b32 v2, v2, 0, v28
	v_cmp_eq_u64_e64 s[40:41], v[2:3], v[38:39]
	v_lshrrev_b64 v[2:3], v49, v[28:29]
	v_mov_b32_e32 v4, v3
	v_mov_b32_e32 v3, v2
	s_and_saveexec_b64 s[48:49], s[40:41]
; %bb.2425:                             ;   in Loop: Header=BB2_2013 Depth=4
	v_bfe_u32 v3, v2, 21, 1
	v_add_co_u32_e64 v3, s[40:41], v2, v3
	v_add_co_u32_e64 v3, s[40:41], -1, v3
; %bb.2426:                             ;   in Loop: Header=BB2_2013 Depth=4
	s_or_b64 exec, exec, s[48:49]
	v_add_u32_e32 v4, 0xffffff81, v9
	v_cndmask_b32_e32 v4, v4, v1, vcc
	v_lshrrev_b32_e32 v9, 23, v2
	v_add3_u32 v49, v49, v4, v9
	v_add_u32_e32 v9, 14, v49
	v_and_b32_e32 v3, 0x1fffff, v3
	v_add_u32_e32 v28, v3, v2
	v_cmp_ne_u32_e32 vcc, 0, v9
                                        ; implicit-def: $vgpr2_vgpr3
                                        ; implicit-def: $vgpr4
	s_and_saveexec_b64 s[40:41], vcc
	s_xor_b64 s[40:41], exec, s[40:41]
; %bb.2427:                             ;   in Loop: Header=BB2_2013 Depth=4
	v_cmp_lt_u64_e32 vcc, s[88:89], v[28:29]
	v_add_u32_e32 v2, 15, v49
	v_cndmask_b32_e32 v4, v9, v2, vcc
	v_cndmask_b32_e64 v2, 0, 1, vcc
	v_lshrrev_b64 v[2:3], v2, v[28:29]
; %bb.2428:                             ;   in Loop: Header=BB2_2013 Depth=4
	s_andn2_saveexec_b64 s[40:41], s[40:41]
; %bb.2429:                             ;   in Loop: Header=BB2_2013 Depth=4
	v_mov_b32_e32 v2, v28
	v_bfe_u32 v4, v28, 23, 1
	v_mov_b32_e32 v3, v29
; %bb.2430:                             ;   in Loop: Header=BB2_2013 Depth=4
	s_or_b64 exec, exec, s[40:41]
	v_lshrrev_b64 v[2:3], 21, v[2:3]
	v_cmp_gt_i32_e32 vcc, 32, v4
	v_cndmask_b32_e32 v3, 0, v3, vcc
	v_cndmask_b32_e32 v2, 3, v2, vcc
	v_cmp_eq_u64_e64 s[40:41], 0, v[2:3]
	v_min_i32_e32 v3, 31, v4
	v_lshlrev_b32_e32 v3, 2, v3
	v_cmp_eq_u32_e32 vcc, 0, v4
	v_and_b32_e32 v3, 0xfc, v3
	v_and_or_b32 v2, v2, 3, v3
	s_and_b64 s[40:41], vcc, s[40:41]
	v_cndmask_b32_e64 v2, v2, 0, s[40:41]
	v_or_b32_e32 v53, v2, v8
.LBB2_2431:                             ;   in Loop: Header=BB2_2013 Depth=4
	s_or_b64 exec, exec, s[38:39]
                                        ; implicit-def: $vgpr8
.LBB2_2432:                             ;   in Loop: Header=BB2_2013 Depth=4
	s_andn2_saveexec_b64 s[40:41], s[36:37]
; %bb.2433:                             ;   in Loop: Header=BB2_2013 Depth=4
	v_or_b32_e32 v53, 0x7b, v8
; %bb.2434:                             ;   in Loop: Header=BB2_2013 Depth=4
	s_or_b64 exec, exec, s[40:41]
                                        ; implicit-def: $vgpr2
.LBB2_2435:                             ;   in Loop: Header=BB2_2013 Depth=4
	s_andn2_saveexec_b64 s[40:41], s[42:43]
	s_cbranch_execz .LBB2_2441
; %bb.2436:                             ;   in Loop: Header=BB2_2013 Depth=4
	v_cmp_ne_u64_e32 vcc, 0, v[28:29]
                                        ; implicit-def: $vgpr53
	s_and_saveexec_b64 s[42:43], vcc
	s_xor_b64 s[42:43], exec, s[42:43]
; %bb.2437:                             ;   in Loop: Header=BB2_2013 Depth=4
	v_or_b32_sdwa v53, v2, s47 dst_sel:DWORD dst_unused:UNUSED_PAD src0_sel:BYTE_3 src1_sel:DWORD
                                        ; implicit-def: $vgpr2
; %bb.2438:                             ;   in Loop: Header=BB2_2013 Depth=4
	s_andn2_saveexec_b64 s[42:43], s[42:43]
; %bb.2439:                             ;   in Loop: Header=BB2_2013 Depth=4
	v_cmp_lt_i32_e32 vcc, -1, v2
	v_cndmask_b32_e32 v53, v6, v22, vcc
; %bb.2440:                             ;   in Loop: Header=BB2_2013 Depth=4
	s_or_b64 exec, exec, s[42:43]
.LBB2_2441:                             ;   in Loop: Header=BB2_2013 Depth=4
	s_or_b64 exec, exec, s[40:41]
	v_cmp_lt_u64_e32 vcc, s[56:57], v[10:11]
	v_mov_b32_e32 v3, 0
	s_and_saveexec_b64 s[40:41], vcc
	s_cbranch_execz .LBB2_2449
; %bb.2442:                             ;   in Loop: Header=BB2_2013 Depth=4
	v_lshrrev_b32_e32 v2, 24, v11
	v_cmp_ne_u32_e32 vcc, s96, v2
	v_bfrev_b32_e32 v3, 1
	s_and_saveexec_b64 s[42:43], vcc
	s_cbranch_execz .LBB2_2448
; %bb.2443:                             ;   in Loop: Header=BB2_2013 Depth=4
	v_and_b32_e32 v3, 0x7c000000, v11
	v_bfe_u32 v4, v11, 24, 2
	v_cmp_ne_u32_e32 vcc, s45, v3
                                        ; implicit-def: $vgpr3
	s_and_saveexec_b64 s[36:37], vcc
	s_xor_b64 s[36:37], exec, s[36:37]
	s_cbranch_execz .LBB2_2445
; %bb.2444:                             ;   in Loop: Header=BB2_2013 Depth=4
	v_ffbh_u32_e32 v3, v4
	v_min_u32_e32 v9, 32, v3
	v_subrev_u32_e32 v3, 29, v9
	v_lshlrev_b64 v[2:3], v3, v[2:3]
	v_bfe_u32 v8, v11, 26, 5
	v_sub_u32_e32 v3, 30, v9
	v_and_b32_e32 v2, 3, v2
	v_cmp_eq_u32_e32 vcc, 0, v8
	v_cndmask_b32_e32 v3, v8, v3, vcc
	v_cndmask_b32_e32 v2, v4, v2, vcc
	v_and_b32_e32 v4, 0x80000000, v11
	v_lshl_add_u32 v3, v3, 23, v4
	v_lshl_or_b32 v2, v2, 21, v3
	v_add_u32_e32 v3, 0x38000000, v2
                                        ; implicit-def: $vgpr4
                                        ; implicit-def: $vgpr10_vgpr11
.LBB2_2445:                             ;   in Loop: Header=BB2_2013 Depth=4
	s_andn2_saveexec_b64 s[36:37], s[36:37]
; %bb.2446:                             ;   in Loop: Header=BB2_2013 Depth=4
	v_cmp_lt_i64_e32 vcc, -1, v[10:11]
	v_cndmask_b32_e32 v2, v7, v0, vcc
	v_cmp_eq_u32_e32 vcc, 0, v4
	v_cndmask_b32_e32 v3, v35, v2, vcc
; %bb.2447:                             ;   in Loop: Header=BB2_2013 Depth=4
	s_or_b64 exec, exec, s[36:37]
.LBB2_2448:                             ;   in Loop: Header=BB2_2013 Depth=4
	s_or_b64 exec, exec, s[42:43]
.LBB2_2449:                             ;   in Loop: Header=BB2_2013 Depth=4
	s_or_b64 exec, exec, s[40:41]
	v_mul_f32_e32 v2, v23, v3
	v_and_b32_e32 v3, 0x7f800000, v2
	v_mov_b32_e32 v4, v29
	v_cmp_ne_u64_e32 vcc, s[76:77], v[3:4]
	v_and_b32_e32 v28, 0x7fffff, v2
                                        ; implicit-def: $vgpr57
	s_and_saveexec_b64 s[40:41], vcc
	s_xor_b64 s[42:43], exec, s[40:41]
	s_cbranch_execz .LBB2_2463
; %bb.2450:                             ;   in Loop: Header=BB2_2013 Depth=4
	v_and_b32_e32 v3, 0x7fffffff, v2
	v_mov_b32_e32 v4, v29
	v_cmp_gt_u64_e32 vcc, s[78:79], v[3:4]
	v_and_b32_sdwa v8, v2, s96 dst_sel:DWORD dst_unused:UNUSED_PAD src0_sel:BYTE_3 src1_sel:DWORD
                                        ; implicit-def: $vgpr57
	s_and_saveexec_b64 s[40:41], vcc
	s_xor_b64 s[36:37], exec, s[40:41]
	s_cbranch_execz .LBB2_2460
; %bb.2451:                             ;   in Loop: Header=BB2_2013 Depth=4
	v_mov_b32_e32 v57, 0
	v_cmp_ne_u32_e32 vcc, 0, v2
	s_and_saveexec_b64 s[38:39], vcc
	s_cbranch_execz .LBB2_2459
; %bb.2452:                             ;   in Loop: Header=BB2_2013 Depth=4
	v_bfe_u32 v9, v2, 23, 8
	v_cmp_gt_u32_e64 s[40:41], s46, v9
	v_sub_u32_e32 v2, 0x71, v9
	v_cmp_eq_u32_e32 vcc, 0, v9
	v_cndmask_b32_e64 v2, 0, v2, s[40:41]
	v_mov_b32_e32 v4, 0x70
	v_cndmask_b32_e32 v10, v2, v4, vcc
	v_or_b32_e32 v3, 0x800000, v28
	v_add_u32_e32 v2, 21, v10
	v_cndmask_b32_e32 v28, v3, v28, vcc
	v_lshlrev_b64 v[2:3], v2, -1
	v_add_u32_e32 v4, 20, v10
	v_lshlrev_b64 v[38:39], v4, 1
	v_bfi_b32 v3, v3, 0, 0
	v_bfi_b32 v2, v2, 0, v28
	v_cmp_eq_u64_e64 s[40:41], v[2:3], v[38:39]
	v_lshrrev_b64 v[2:3], v10, v[28:29]
	v_mov_b32_e32 v4, v3
	v_mov_b32_e32 v3, v2
	s_and_saveexec_b64 s[48:49], s[40:41]
; %bb.2453:                             ;   in Loop: Header=BB2_2013 Depth=4
	v_bfe_u32 v3, v2, 21, 1
	v_add_co_u32_e64 v3, s[40:41], v2, v3
	v_add_co_u32_e64 v3, s[40:41], -1, v3
; %bb.2454:                             ;   in Loop: Header=BB2_2013 Depth=4
	s_or_b64 exec, exec, s[48:49]
	v_add_u32_e32 v4, 0xffffff81, v9
	v_cndmask_b32_e32 v4, v4, v1, vcc
	v_lshrrev_b32_e32 v9, 23, v2
	v_add3_u32 v10, v10, v4, v9
	v_add_u32_e32 v9, 14, v10
	v_and_b32_e32 v3, 0x1fffff, v3
	v_add_u32_e32 v28, v3, v2
	v_cmp_ne_u32_e32 vcc, 0, v9
                                        ; implicit-def: $vgpr2_vgpr3
                                        ; implicit-def: $vgpr4
	s_and_saveexec_b64 s[40:41], vcc
	s_xor_b64 s[40:41], exec, s[40:41]
; %bb.2455:                             ;   in Loop: Header=BB2_2013 Depth=4
	v_cmp_lt_u64_e32 vcc, s[88:89], v[28:29]
	v_add_u32_e32 v2, 15, v10
	v_cndmask_b32_e32 v4, v9, v2, vcc
	v_cndmask_b32_e64 v2, 0, 1, vcc
	v_lshrrev_b64 v[2:3], v2, v[28:29]
; %bb.2456:                             ;   in Loop: Header=BB2_2013 Depth=4
	s_andn2_saveexec_b64 s[40:41], s[40:41]
; %bb.2457:                             ;   in Loop: Header=BB2_2013 Depth=4
	v_mov_b32_e32 v2, v28
	v_bfe_u32 v4, v28, 23, 1
	v_mov_b32_e32 v3, v29
; %bb.2458:                             ;   in Loop: Header=BB2_2013 Depth=4
	s_or_b64 exec, exec, s[40:41]
	v_lshrrev_b64 v[2:3], 21, v[2:3]
	v_cmp_gt_i32_e32 vcc, 32, v4
	v_cndmask_b32_e32 v3, 0, v3, vcc
	v_cndmask_b32_e32 v2, 3, v2, vcc
	v_cmp_eq_u64_e64 s[40:41], 0, v[2:3]
	v_min_i32_e32 v3, 31, v4
	v_lshlrev_b32_e32 v3, 2, v3
	v_cmp_eq_u32_e32 vcc, 0, v4
	v_and_b32_e32 v3, 0xfc, v3
	v_and_or_b32 v2, v2, 3, v3
	s_and_b64 s[40:41], vcc, s[40:41]
	v_cndmask_b32_e64 v2, v2, 0, s[40:41]
	v_or_b32_e32 v57, v2, v8
.LBB2_2459:                             ;   in Loop: Header=BB2_2013 Depth=4
	s_or_b64 exec, exec, s[38:39]
                                        ; implicit-def: $vgpr8
.LBB2_2460:                             ;   in Loop: Header=BB2_2013 Depth=4
	s_andn2_saveexec_b64 s[40:41], s[36:37]
; %bb.2461:                             ;   in Loop: Header=BB2_2013 Depth=4
	v_or_b32_e32 v57, 0x7b, v8
; %bb.2462:                             ;   in Loop: Header=BB2_2013 Depth=4
	s_or_b64 exec, exec, s[40:41]
                                        ; implicit-def: $vgpr2
.LBB2_2463:                             ;   in Loop: Header=BB2_2013 Depth=4
	s_andn2_saveexec_b64 s[40:41], s[42:43]
	s_cbranch_execz .LBB2_2469
; %bb.2464:                             ;   in Loop: Header=BB2_2013 Depth=4
	v_cmp_ne_u64_e32 vcc, 0, v[28:29]
                                        ; implicit-def: $vgpr57
	s_and_saveexec_b64 s[42:43], vcc
	s_xor_b64 s[42:43], exec, s[42:43]
; %bb.2465:                             ;   in Loop: Header=BB2_2013 Depth=4
	v_or_b32_sdwa v57, v2, s47 dst_sel:DWORD dst_unused:UNUSED_PAD src0_sel:BYTE_3 src1_sel:DWORD
                                        ; implicit-def: $vgpr2
; %bb.2466:                             ;   in Loop: Header=BB2_2013 Depth=4
	s_andn2_saveexec_b64 s[42:43], s[42:43]
; %bb.2467:                             ;   in Loop: Header=BB2_2013 Depth=4
	v_cmp_lt_i32_e32 vcc, -1, v2
	v_cndmask_b32_e32 v57, v6, v22, vcc
; %bb.2468:                             ;   in Loop: Header=BB2_2013 Depth=4
	s_or_b64 exec, exec, s[42:43]
.LBB2_2469:                             ;   in Loop: Header=BB2_2013 Depth=4
	s_or_b64 exec, exec, s[40:41]
	global_load_dwordx4 v[8:11], v[44:45], off glc slc
	v_lshl_or_b32 v32, v32, 8, v14
	v_lshlrev_b32_e32 v2, 16, v52
	v_lshlrev_b32_e32 v3, 24, v58
	v_or3_b32 v28, v2, v3, v32
	v_cmp_ne_u32_e32 vcc, 0, v14
	v_mov_b32_e32 v2, 0
	s_and_saveexec_b64 s[42:43], vcc
	s_cbranch_execz .LBB2_2477
; %bb.2470:                             ;   in Loop: Header=BB2_2013 Depth=4
	v_cmp_ne_u32_e32 vcc, s96, v14
	v_bfrev_b32_e32 v2, 1
	s_and_saveexec_b64 s[36:37], vcc
	s_cbranch_execz .LBB2_2476
; %bb.2471:                             ;   in Loop: Header=BB2_2013 Depth=4
	v_and_b32_e32 v2, 0x7c, v14
	v_and_b32_e32 v3, 3, v14
	v_cmp_ne_u32_e32 vcc, s85, v2
                                        ; implicit-def: $vgpr2
	s_and_saveexec_b64 s[40:41], vcc
	s_xor_b64 s[40:41], exec, s[40:41]
	s_cbranch_execz .LBB2_2473
; %bb.2472:                             ;   in Loop: Header=BB2_2013 Depth=4
	v_ffbh_u32_e32 v4, v3
	v_min_u32_e32 v4, 32, v4
	v_bfe_u32 v2, v14, 2, 5
	v_subrev_u32_e32 v23, 29, v4
	v_lshlrev_b64 v[38:39], v23, v[28:29]
	v_sub_u32_e32 v4, 30, v4
	v_cmp_eq_u32_e32 vcc, 0, v2
	v_cndmask_b32_e32 v2, v2, v4, vcc
	v_lshlrev_b32_e32 v4, 24, v14
	v_and_b32_e32 v23, 3, v38
	v_and_b32_e32 v4, 0x80000000, v4
	v_cndmask_b32_e32 v3, v3, v23, vcc
	v_lshl_add_u32 v2, v2, 23, v4
	v_lshl_or_b32 v2, v3, 21, v2
	v_add_u32_e32 v2, 0x38000000, v2
                                        ; implicit-def: $vgpr3
                                        ; implicit-def: $vgpr14
.LBB2_2473:                             ;   in Loop: Header=BB2_2013 Depth=4
	s_andn2_saveexec_b64 s[38:39], s[40:41]
; %bb.2474:                             ;   in Loop: Header=BB2_2013 Depth=4
	v_and_b32_e32 v2, 0x80, v14
	v_cmp_eq_u32_e64 s[40:41], 0, v2
	v_cmp_eq_u32_e32 vcc, 0, v3
	v_cndmask_b32_e64 v2, v7, v0, s[40:41]
	v_cndmask_b32_e32 v2, v35, v2, vcc
; %bb.2475:                             ;   in Loop: Header=BB2_2013 Depth=4
	s_or_b64 exec, exec, s[38:39]
.LBB2_2476:                             ;   in Loop: Header=BB2_2013 Depth=4
	s_or_b64 exec, exec, s[36:37]
.LBB2_2477:                             ;   in Loop: Header=BB2_2013 Depth=4
	s_or_b64 exec, exec, s[42:43]
	s_waitcnt vmcnt(0)
	v_cmp_gt_i16_sdwa s[42:43], v8, s47 src0_sel:BYTE_0 src1_sel:DWORD
	s_mov_b64 s[40:41], 0
	s_and_saveexec_b64 vcc, s[42:43]
	s_xor_b64 s[42:43], exec, vcc
	s_cbranch_execz .LBB2_2992
; %bb.2478:                             ;   in Loop: Header=BB2_2013 Depth=4
	v_cmp_eq_u16_sdwa s[36:37], v8, s96 src0_sel:BYTE_0 src1_sel:DWORD
	s_mov_b64 s[40:41], -1
	s_and_saveexec_b64 vcc, s[36:37]
; %bb.2479:                             ;   in Loop: Header=BB2_2013 Depth=4
	s_xor_b64 s[40:41], exec, -1
; %bb.2480:                             ;   in Loop: Header=BB2_2013 Depth=4
	s_or_b64 exec, exec, vcc
	s_and_b64 s[40:41], s[40:41], exec
	s_or_saveexec_b64 s[42:43], s[42:43]
	v_bfrev_b32_e32 v3, 1
	s_xor_b64 exec, exec, s[42:43]
	s_cbranch_execnz .LBB2_2993
.LBB2_2481:                             ;   in Loop: Header=BB2_2013 Depth=4
	s_or_b64 exec, exec, s[42:43]
	s_and_saveexec_b64 s[36:37], s[40:41]
	s_cbranch_execz .LBB2_2483
.LBB2_2482:                             ;   in Loop: Header=BB2_2013 Depth=4
	v_and_b32_e32 v14, 3, v8
	v_and_b32_e32 v3, 0x7c, v8
	v_cmp_eq_u32_e32 vcc, s85, v3
	v_ffbh_u32_e32 v3, v14
	v_min_u32_e32 v38, 32, v3
	v_subrev_u32_e32 v3, 29, v38
	v_bfe_u32 v23, v8, 2, 5
	v_lshlrev_b64 v[3:4], v3, v[8:9]
	v_cmp_eq_u32_e64 s[40:41], 0, v23
	v_sub_u32_e32 v4, 30, v38
	v_cndmask_b32_e64 v4, v23, v4, s[40:41]
	v_lshlrev_b32_e32 v23, 24, v8
	v_and_b32_e32 v3, 3, v3
	v_and_b32_e32 v23, 0x80000000, v23
	v_cndmask_b32_e64 v3, v14, v3, s[40:41]
	v_lshl_add_u32 v4, v4, 23, v23
	v_cmp_gt_i16_sdwa s[42:43], sext(v8), v48 src0_sel:BYTE_0 src1_sel:DWORD
	v_lshl_or_b32 v3, v3, 21, v4
	v_cmp_eq_u32_e64 s[40:41], 0, v14
	v_cndmask_b32_e64 v4, v7, v0, s[42:43]
	v_add_u32_e32 v3, 0x38000000, v3
	v_cndmask_b32_e64 v4, v35, v4, s[40:41]
	v_cndmask_b32_e32 v3, v3, v4, vcc
.LBB2_2483:                             ;   in Loop: Header=BB2_2013 Depth=4
	s_or_b64 exec, exec, s[36:37]
	v_add_f32_e32 v4, v2, v3
	v_and_b32_e32 v38, 0x7f800000, v4
	v_mov_b32_e32 v39, v29
	v_cmp_ne_u64_e32 vcc, s[76:77], v[38:39]
	v_and_b32_e32 v2, 0x7fffff, v4
	v_mov_b32_e32 v3, v29
                                        ; implicit-def: $vgpr23
	s_and_saveexec_b64 s[40:41], vcc
	s_xor_b64 s[42:43], exec, s[40:41]
	s_cbranch_execz .LBB2_2497
; %bb.2484:                             ;   in Loop: Header=BB2_2013 Depth=4
	v_and_b32_e32 v38, 0x7fffffff, v4
	v_mov_b32_e32 v39, v29
	v_cmp_gt_u64_e32 vcc, s[78:79], v[38:39]
	v_and_b32_sdwa v14, v4, s96 dst_sel:DWORD dst_unused:UNUSED_PAD src0_sel:BYTE_3 src1_sel:DWORD
                                        ; implicit-def: $vgpr23
	s_and_saveexec_b64 s[40:41], vcc
	s_xor_b64 s[36:37], exec, s[40:41]
	s_cbranch_execz .LBB2_2494
; %bb.2485:                             ;   in Loop: Header=BB2_2013 Depth=4
	v_mov_b32_e32 v23, 0
	v_cmp_ne_u32_e32 vcc, 0, v4
	s_and_saveexec_b64 s[38:39], vcc
	s_cbranch_execz .LBB2_2493
; %bb.2486:                             ;   in Loop: Header=BB2_2013 Depth=4
	v_bfe_u32 v23, v4, 23, 8
	v_cmp_gt_u32_e64 s[40:41], s46, v23
	v_sub_u32_e32 v4, 0x71, v23
	v_cmp_eq_u32_e32 vcc, 0, v23
	v_cndmask_b32_e64 v4, 0, v4, s[40:41]
	v_mov_b32_e32 v39, 0x70
	v_cndmask_b32_e32 v49, v4, v39, vcc
	v_or_b32_e32 v38, 0x800000, v2
	v_add_u32_e32 v4, 21, v49
	v_cndmask_b32_e32 v2, v38, v2, vcc
	v_lshlrev_b64 v[38:39], v4, -1
	v_add_u32_e32 v4, 20, v49
	v_bfi_b32 v38, v38, 0, v2
	v_lshlrev_b64 v[40:41], v4, 1
	v_lshrrev_b64 v[2:3], v49, v[2:3]
	v_bfi_b32 v39, v39, 0, 0
	v_cmp_eq_u64_e64 s[40:41], v[38:39], v[40:41]
	v_mov_b32_e32 v4, v3
	v_mov_b32_e32 v3, v2
	s_and_saveexec_b64 s[48:49], s[40:41]
; %bb.2487:                             ;   in Loop: Header=BB2_2013 Depth=4
	v_bfe_u32 v3, v2, 21, 1
	v_add_co_u32_e64 v3, s[40:41], v2, v3
	v_add_co_u32_e64 v3, s[40:41], -1, v3
; %bb.2488:                             ;   in Loop: Header=BB2_2013 Depth=4
	s_or_b64 exec, exec, s[48:49]
	v_add_u32_e32 v4, 0xffffff81, v23
	v_cndmask_b32_e32 v4, v4, v1, vcc
	v_lshrrev_b32_e32 v23, 23, v2
	v_add3_u32 v49, v49, v4, v23
	v_add_u32_e32 v23, 14, v49
	v_and_b32_e32 v3, 0x1fffff, v3
	v_add_u32_e32 v2, v3, v2
	v_mov_b32_e32 v3, v29
	v_cmp_ne_u32_e32 vcc, 0, v23
                                        ; implicit-def: $vgpr4
	s_and_saveexec_b64 s[40:41], vcc
	s_xor_b64 s[40:41], exec, s[40:41]
; %bb.2489:                             ;   in Loop: Header=BB2_2013 Depth=4
	v_cmp_lt_u64_e32 vcc, s[88:89], v[2:3]
	v_add_u32_e32 v4, 15, v49
	v_cndmask_b32_e32 v4, v23, v4, vcc
	v_cndmask_b32_e64 v23, 0, 1, vcc
	v_lshrrev_b64 v[2:3], v23, v[2:3]
; %bb.2490:                             ;   in Loop: Header=BB2_2013 Depth=4
	s_andn2_saveexec_b64 s[40:41], s[40:41]
; %bb.2491:                             ;   in Loop: Header=BB2_2013 Depth=4
	v_bfe_u32 v4, v2, 23, 1
; %bb.2492:                             ;   in Loop: Header=BB2_2013 Depth=4
	s_or_b64 exec, exec, s[40:41]
	v_lshrrev_b64 v[2:3], 21, v[2:3]
	v_cmp_gt_i32_e32 vcc, 32, v4
	v_cndmask_b32_e32 v3, 0, v3, vcc
	v_cndmask_b32_e32 v2, 3, v2, vcc
	v_cmp_eq_u64_e64 s[40:41], 0, v[2:3]
	v_min_i32_e32 v3, 31, v4
	v_lshlrev_b32_e32 v3, 2, v3
	v_cmp_eq_u32_e32 vcc, 0, v4
	v_and_b32_e32 v3, 0xfc, v3
	v_and_or_b32 v2, v2, 3, v3
	s_and_b64 s[40:41], vcc, s[40:41]
	v_cndmask_b32_e64 v2, v2, 0, s[40:41]
	v_or_b32_e32 v23, v2, v14
.LBB2_2493:                             ;   in Loop: Header=BB2_2013 Depth=4
	s_or_b64 exec, exec, s[38:39]
                                        ; implicit-def: $vgpr14
.LBB2_2494:                             ;   in Loop: Header=BB2_2013 Depth=4
	s_andn2_saveexec_b64 s[40:41], s[36:37]
; %bb.2495:                             ;   in Loop: Header=BB2_2013 Depth=4
	v_or_b32_e32 v23, 0x7b, v14
; %bb.2496:                             ;   in Loop: Header=BB2_2013 Depth=4
	s_or_b64 exec, exec, s[40:41]
                                        ; implicit-def: $vgpr4
                                        ; implicit-def: $vgpr2_vgpr3
.LBB2_2497:                             ;   in Loop: Header=BB2_2013 Depth=4
	s_andn2_saveexec_b64 s[40:41], s[42:43]
	s_cbranch_execz .LBB2_2503
; %bb.2498:                             ;   in Loop: Header=BB2_2013 Depth=4
	v_cmp_ne_u64_e32 vcc, 0, v[2:3]
                                        ; implicit-def: $vgpr23
	s_and_saveexec_b64 s[42:43], vcc
	s_xor_b64 s[42:43], exec, s[42:43]
; %bb.2499:                             ;   in Loop: Header=BB2_2013 Depth=4
	v_or_b32_sdwa v23, v4, s47 dst_sel:DWORD dst_unused:UNUSED_PAD src0_sel:BYTE_3 src1_sel:DWORD
                                        ; implicit-def: $vgpr4
; %bb.2500:                             ;   in Loop: Header=BB2_2013 Depth=4
	s_andn2_saveexec_b64 s[42:43], s[42:43]
; %bb.2501:                             ;   in Loop: Header=BB2_2013 Depth=4
	v_cmp_lt_i32_e32 vcc, -1, v4
	v_cndmask_b32_e32 v23, v6, v22, vcc
; %bb.2502:                             ;   in Loop: Header=BB2_2013 Depth=4
	s_or_b64 exec, exec, s[42:43]
.LBB2_2503:                             ;   in Loop: Header=BB2_2013 Depth=4
	s_or_b64 exec, exec, s[40:41]
	v_lshrrev_b16_e32 v2, 8, v32
	v_cmp_ne_u16_e32 vcc, 0, v2
	v_mov_b32_e32 v4, 0
	s_and_saveexec_b64 s[40:41], vcc
	s_cbranch_execz .LBB2_2511
; %bb.2504:                             ;   in Loop: Header=BB2_2013 Depth=4
	v_cmp_ne_u16_e32 vcc, s96, v2
	v_bfrev_b32_e32 v4, 1
	s_and_saveexec_b64 s[42:43], vcc
	s_cbranch_execz .LBB2_2510
; %bb.2505:                             ;   in Loop: Header=BB2_2013 Depth=4
	v_and_b32_e32 v3, 0x7c, v2
	v_and_b32_e32 v14, 3, v2
	v_cmp_ne_u32_e32 vcc, s85, v3
                                        ; implicit-def: $vgpr4
	s_and_saveexec_b64 s[36:37], vcc
	s_xor_b64 s[36:37], exec, s[36:37]
	s_cbranch_execz .LBB2_2507
; %bb.2506:                             ;   in Loop: Header=BB2_2013 Depth=4
	v_ffbh_u32_e32 v38, v14
	v_min_u32_e32 v38, 32, v38
	v_mov_b32_e32 v3, v29
	v_subrev_u32_e32 v39, 29, v38
	v_bfe_u32 v4, v2, 2, 5
	v_lshlrev_b64 v[2:3], v39, v[2:3]
	v_sub_u32_e32 v3, 30, v38
	v_cmp_eq_u32_e32 vcc, 0, v4
	v_cndmask_b32_e32 v3, v4, v3, vcc
	v_lshlrev_b32_e32 v4, 16, v32
	v_and_b32_e32 v2, 3, v2
	v_and_b32_e32 v4, 0x80000000, v4
	v_cndmask_b32_e32 v2, v14, v2, vcc
	v_lshl_add_u32 v3, v3, 23, v4
	v_lshl_or_b32 v2, v2, 21, v3
	v_add_u32_e32 v4, 0x38000000, v2
                                        ; implicit-def: $vgpr14
                                        ; implicit-def: $vgpr32
.LBB2_2507:                             ;   in Loop: Header=BB2_2013 Depth=4
	s_andn2_saveexec_b64 s[36:37], s[36:37]
; %bb.2508:                             ;   in Loop: Header=BB2_2013 Depth=4
	v_cmp_lt_i16_e32 vcc, -1, v32
	v_cndmask_b32_e32 v2, v7, v0, vcc
	v_cmp_eq_u32_e32 vcc, 0, v14
	v_cndmask_b32_e32 v4, v35, v2, vcc
; %bb.2509:                             ;   in Loop: Header=BB2_2013 Depth=4
	s_or_b64 exec, exec, s[36:37]
.LBB2_2510:                             ;   in Loop: Header=BB2_2013 Depth=4
	s_or_b64 exec, exec, s[42:43]
.LBB2_2511:                             ;   in Loop: Header=BB2_2013 Depth=4
	s_or_b64 exec, exec, s[40:41]
	v_lshrrev_b16_e32 v2, 8, v8
	v_cmp_lt_i16_e32 vcc, s47, v2
	s_mov_b64 s[40:41], 0
	s_and_saveexec_b64 s[42:43], vcc
	s_xor_b64 s[42:43], exec, s[42:43]
	s_cbranch_execz .LBB2_2994
; %bb.2512:                             ;   in Loop: Header=BB2_2013 Depth=4
	v_cmp_eq_u16_e32 vcc, s96, v2
	s_mov_b64 s[40:41], -1
	s_and_saveexec_b64 s[36:37], vcc
; %bb.2513:                             ;   in Loop: Header=BB2_2013 Depth=4
	s_xor_b64 s[40:41], exec, -1
; %bb.2514:                             ;   in Loop: Header=BB2_2013 Depth=4
	s_or_b64 exec, exec, s[36:37]
	s_and_b64 s[40:41], s[40:41], exec
	s_or_saveexec_b64 s[42:43], s[42:43]
	v_bfrev_b32_e32 v3, 1
	s_xor_b64 exec, exec, s[42:43]
	s_cbranch_execnz .LBB2_2995
.LBB2_2515:                             ;   in Loop: Header=BB2_2013 Depth=4
	s_or_b64 exec, exec, s[42:43]
	s_and_saveexec_b64 s[36:37], s[40:41]
	s_cbranch_execz .LBB2_2517
.LBB2_2516:                             ;   in Loop: Header=BB2_2013 Depth=4
	v_and_b32_e32 v14, 3, v2
	v_and_b32_e32 v38, 0x7c, v2
	v_cmp_eq_u32_e32 vcc, s85, v38
	v_ffbh_u32_e32 v38, v14
	v_min_u32_e32 v49, 32, v38
	v_mov_b32_e32 v3, v29
	v_subrev_u32_e32 v38, 29, v49
	v_bfe_u32 v32, v2, 2, 5
	v_lshlrev_b64 v[38:39], v38, v[2:3]
	v_cmp_eq_u32_e64 s[40:41], 0, v32
	v_sub_u32_e32 v3, 30, v49
	v_lshlrev_b32_e32 v2, 24, v2
	v_and_b32_e32 v38, 3, v38
	v_cndmask_b32_e64 v3, v32, v3, s[40:41]
	v_and_b32_e32 v2, 0x80000000, v2
	v_cndmask_b32_e64 v32, v14, v38, s[40:41]
	v_lshl_add_u32 v2, v3, 23, v2
	v_cmp_lt_i16_e64 s[42:43], -1, v8
	v_lshl_or_b32 v2, v32, 21, v2
	v_cmp_eq_u32_e64 s[40:41], 0, v14
	v_cndmask_b32_e64 v3, v7, v0, s[42:43]
	v_add_u32_e32 v2, 0x38000000, v2
	v_cndmask_b32_e64 v3, v35, v3, s[40:41]
	v_cndmask_b32_e32 v3, v2, v3, vcc
.LBB2_2517:                             ;   in Loop: Header=BB2_2013 Depth=4
	s_or_b64 exec, exec, s[36:37]
	v_add_f32_e32 v4, v4, v3
	v_and_b32_e32 v38, 0x7f800000, v4
	v_mov_b32_e32 v39, v29
	v_cmp_ne_u64_e32 vcc, s[76:77], v[38:39]
	v_and_b32_e32 v2, 0x7fffff, v4
	v_mov_b32_e32 v3, v29
                                        ; implicit-def: $vgpr32
	s_and_saveexec_b64 s[40:41], vcc
	s_xor_b64 s[42:43], exec, s[40:41]
	s_cbranch_execz .LBB2_2531
; %bb.2518:                             ;   in Loop: Header=BB2_2013 Depth=4
	v_and_b32_e32 v38, 0x7fffffff, v4
	v_mov_b32_e32 v39, v29
	v_cmp_gt_u64_e32 vcc, s[78:79], v[38:39]
	v_and_b32_sdwa v14, v4, s96 dst_sel:DWORD dst_unused:UNUSED_PAD src0_sel:BYTE_3 src1_sel:DWORD
                                        ; implicit-def: $vgpr32
	s_and_saveexec_b64 s[40:41], vcc
	s_xor_b64 s[36:37], exec, s[40:41]
	s_cbranch_execz .LBB2_2528
; %bb.2519:                             ;   in Loop: Header=BB2_2013 Depth=4
	v_mov_b32_e32 v32, 0
	v_cmp_ne_u32_e32 vcc, 0, v4
	s_and_saveexec_b64 s[38:39], vcc
	s_cbranch_execz .LBB2_2527
; %bb.2520:                             ;   in Loop: Header=BB2_2013 Depth=4
	v_bfe_u32 v32, v4, 23, 8
	v_cmp_gt_u32_e64 s[40:41], s46, v32
	v_sub_u32_e32 v4, 0x71, v32
	v_cmp_eq_u32_e32 vcc, 0, v32
	v_cndmask_b32_e64 v4, 0, v4, s[40:41]
	v_mov_b32_e32 v39, 0x70
	v_cndmask_b32_e32 v49, v4, v39, vcc
	v_or_b32_e32 v38, 0x800000, v2
	v_add_u32_e32 v4, 21, v49
	v_cndmask_b32_e32 v2, v38, v2, vcc
	v_lshlrev_b64 v[38:39], v4, -1
	v_add_u32_e32 v4, 20, v49
	v_bfi_b32 v38, v38, 0, v2
	v_lshlrev_b64 v[40:41], v4, 1
	v_lshrrev_b64 v[2:3], v49, v[2:3]
	v_bfi_b32 v39, v39, 0, 0
	v_cmp_eq_u64_e64 s[40:41], v[38:39], v[40:41]
	v_mov_b32_e32 v4, v3
	v_mov_b32_e32 v3, v2
	s_and_saveexec_b64 s[48:49], s[40:41]
; %bb.2521:                             ;   in Loop: Header=BB2_2013 Depth=4
	v_bfe_u32 v3, v2, 21, 1
	v_add_co_u32_e64 v3, s[40:41], v2, v3
	v_add_co_u32_e64 v3, s[40:41], -1, v3
; %bb.2522:                             ;   in Loop: Header=BB2_2013 Depth=4
	s_or_b64 exec, exec, s[48:49]
	v_add_u32_e32 v4, 0xffffff81, v32
	v_cndmask_b32_e32 v4, v4, v1, vcc
	v_lshrrev_b32_e32 v32, 23, v2
	v_add3_u32 v49, v49, v4, v32
	v_add_u32_e32 v32, 14, v49
	v_and_b32_e32 v3, 0x1fffff, v3
	v_add_u32_e32 v2, v3, v2
	v_mov_b32_e32 v3, v29
	v_cmp_ne_u32_e32 vcc, 0, v32
                                        ; implicit-def: $vgpr4
	s_and_saveexec_b64 s[40:41], vcc
	s_xor_b64 s[40:41], exec, s[40:41]
; %bb.2523:                             ;   in Loop: Header=BB2_2013 Depth=4
	v_cmp_lt_u64_e32 vcc, s[88:89], v[2:3]
	v_add_u32_e32 v4, 15, v49
	v_cndmask_b32_e32 v4, v32, v4, vcc
	v_cndmask_b32_e64 v32, 0, 1, vcc
	v_lshrrev_b64 v[2:3], v32, v[2:3]
; %bb.2524:                             ;   in Loop: Header=BB2_2013 Depth=4
	s_andn2_saveexec_b64 s[40:41], s[40:41]
; %bb.2525:                             ;   in Loop: Header=BB2_2013 Depth=4
	v_bfe_u32 v4, v2, 23, 1
; %bb.2526:                             ;   in Loop: Header=BB2_2013 Depth=4
	s_or_b64 exec, exec, s[40:41]
	v_lshrrev_b64 v[2:3], 21, v[2:3]
	v_cmp_gt_i32_e32 vcc, 32, v4
	v_cndmask_b32_e32 v3, 0, v3, vcc
	v_cndmask_b32_e32 v2, 3, v2, vcc
	v_cmp_eq_u64_e64 s[40:41], 0, v[2:3]
	v_min_i32_e32 v3, 31, v4
	v_lshlrev_b32_e32 v3, 2, v3
	v_cmp_eq_u32_e32 vcc, 0, v4
	v_and_b32_e32 v3, 0xfc, v3
	v_and_or_b32 v2, v2, 3, v3
	s_and_b64 s[40:41], vcc, s[40:41]
	v_cndmask_b32_e64 v2, v2, 0, s[40:41]
	v_or_b32_e32 v32, v2, v14
.LBB2_2527:                             ;   in Loop: Header=BB2_2013 Depth=4
	s_or_b64 exec, exec, s[38:39]
                                        ; implicit-def: $vgpr14
.LBB2_2528:                             ;   in Loop: Header=BB2_2013 Depth=4
	s_andn2_saveexec_b64 s[40:41], s[36:37]
; %bb.2529:                             ;   in Loop: Header=BB2_2013 Depth=4
	v_or_b32_e32 v32, 0x7b, v14
; %bb.2530:                             ;   in Loop: Header=BB2_2013 Depth=4
	s_or_b64 exec, exec, s[40:41]
                                        ; implicit-def: $vgpr4
                                        ; implicit-def: $vgpr2_vgpr3
.LBB2_2531:                             ;   in Loop: Header=BB2_2013 Depth=4
	s_andn2_saveexec_b64 s[40:41], s[42:43]
	s_cbranch_execz .LBB2_2537
; %bb.2532:                             ;   in Loop: Header=BB2_2013 Depth=4
	v_cmp_ne_u64_e32 vcc, 0, v[2:3]
                                        ; implicit-def: $vgpr32
	s_and_saveexec_b64 s[42:43], vcc
	s_xor_b64 s[42:43], exec, s[42:43]
; %bb.2533:                             ;   in Loop: Header=BB2_2013 Depth=4
	v_or_b32_sdwa v32, v4, s47 dst_sel:DWORD dst_unused:UNUSED_PAD src0_sel:BYTE_3 src1_sel:DWORD
                                        ; implicit-def: $vgpr4
; %bb.2534:                             ;   in Loop: Header=BB2_2013 Depth=4
	s_andn2_saveexec_b64 s[42:43], s[42:43]
; %bb.2535:                             ;   in Loop: Header=BB2_2013 Depth=4
	v_cmp_lt_i32_e32 vcc, -1, v4
	v_cndmask_b32_e32 v32, v6, v22, vcc
; %bb.2536:                             ;   in Loop: Header=BB2_2013 Depth=4
	s_or_b64 exec, exec, s[42:43]
.LBB2_2537:                             ;   in Loop: Header=BB2_2013 Depth=4
	s_or_b64 exec, exec, s[40:41]
	v_and_b32_sdwa v4, v28, s87 dst_sel:DWORD dst_unused:UNUSED_PAD src0_sel:WORD_1 src1_sel:DWORD
	v_lshrrev_b32_e32 v2, 16, v28
	v_cmp_ne_u16_e32 vcc, 0, v4
	v_mov_b32_e32 v3, 0
	s_and_saveexec_b64 s[40:41], vcc
	s_cbranch_execz .LBB2_2545
; %bb.2538:                             ;   in Loop: Header=BB2_2013 Depth=4
	v_cmp_ne_u16_e32 vcc, s96, v4
	v_bfrev_b32_e32 v3, 1
	s_and_saveexec_b64 s[42:43], vcc
	s_cbranch_execz .LBB2_2544
; %bb.2539:                             ;   in Loop: Header=BB2_2013 Depth=4
	v_and_b32_e32 v3, 0x7c0000, v28
	v_bfe_u32 v4, v28, 16, 2
	v_cmp_ne_u32_e32 vcc, s44, v3
                                        ; implicit-def: $vgpr3
	s_and_saveexec_b64 s[36:37], vcc
	s_xor_b64 s[36:37], exec, s[36:37]
	s_cbranch_execz .LBB2_2541
; %bb.2540:                             ;   in Loop: Header=BB2_2013 Depth=4
	v_ffbh_u32_e32 v3, v4
	v_min_u32_e32 v38, 32, v3
	v_lshrrev_b32_e32 v2, 16, v28
	v_subrev_u32_e32 v3, 29, v38
	v_lshlrev_b64 v[2:3], v3, v[2:3]
	v_bfe_u32 v14, v28, 18, 5
	v_and_b32_e32 v2, 3, v2
	v_cmp_eq_u32_e32 vcc, 0, v14
	v_sub_u32_e32 v3, 30, v38
	v_cndmask_b32_e32 v2, v4, v2, vcc
	v_lshlrev_b32_e32 v4, 8, v28
	v_cndmask_b32_e32 v3, v14, v3, vcc
	v_and_b32_e32 v4, 0x80000000, v4
	v_lshl_add_u32 v3, v3, 23, v4
	v_lshl_or_b32 v2, v2, 21, v3
	v_add_u32_e32 v3, 0x38000000, v2
                                        ; implicit-def: $vgpr4
                                        ; implicit-def: $vgpr2
.LBB2_2541:                             ;   in Loop: Header=BB2_2013 Depth=4
	s_andn2_saveexec_b64 s[36:37], s[36:37]
; %bb.2542:                             ;   in Loop: Header=BB2_2013 Depth=4
	v_cmp_gt_i16_sdwa vcc, sext(v2), v48 src0_sel:BYTE_0 src1_sel:DWORD
	v_cndmask_b32_e32 v2, v7, v0, vcc
	v_cmp_eq_u32_e32 vcc, 0, v4
	v_cndmask_b32_e32 v3, v35, v2, vcc
; %bb.2543:                             ;   in Loop: Header=BB2_2013 Depth=4
	s_or_b64 exec, exec, s[36:37]
.LBB2_2544:                             ;   in Loop: Header=BB2_2013 Depth=4
	s_or_b64 exec, exec, s[42:43]
.LBB2_2545:                             ;   in Loop: Header=BB2_2013 Depth=4
	s_or_b64 exec, exec, s[40:41]
	v_lshrrev_b32_e32 v2, 16, v8
	v_cmp_gt_i16_sdwa s[42:43], v2, s47 src0_sel:BYTE_0 src1_sel:DWORD
	s_mov_b64 s[40:41], 0
	s_and_saveexec_b64 vcc, s[42:43]
	s_xor_b64 s[42:43], exec, vcc
	s_cbranch_execz .LBB2_2996
; %bb.2546:                             ;   in Loop: Header=BB2_2013 Depth=4
	v_cmp_eq_u16_sdwa s[36:37], v2, s96 src0_sel:BYTE_0 src1_sel:DWORD
	s_mov_b64 s[40:41], -1
	s_and_saveexec_b64 vcc, s[36:37]
; %bb.2547:                             ;   in Loop: Header=BB2_2013 Depth=4
	s_xor_b64 s[40:41], exec, -1
; %bb.2548:                             ;   in Loop: Header=BB2_2013 Depth=4
	s_or_b64 exec, exec, vcc
	s_and_b64 s[40:41], s[40:41], exec
	s_or_saveexec_b64 s[42:43], s[42:43]
	v_bfrev_b32_e32 v4, 1
	s_xor_b64 exec, exec, s[42:43]
	s_cbranch_execnz .LBB2_2997
.LBB2_2549:                             ;   in Loop: Header=BB2_2013 Depth=4
	s_or_b64 exec, exec, s[42:43]
	s_and_saveexec_b64 s[36:37], s[40:41]
	s_cbranch_execz .LBB2_2551
.LBB2_2550:                             ;   in Loop: Header=BB2_2013 Depth=4
	v_and_b32_e32 v4, 3, v2
	v_and_b32_e32 v38, 0x7c0000, v8
	v_cmp_eq_u32_e32 vcc, s44, v38
	v_ffbh_u32_e32 v38, v4
	v_min_u32_e32 v49, 32, v38
	v_subrev_u32_e32 v38, 29, v49
	v_bfe_u32 v14, v8, 18, 5
	v_lshlrev_b64 v[38:39], v38, v[2:3]
	v_cmp_eq_u32_e64 s[40:41], 0, v14
	v_sub_u32_e32 v39, 30, v49
	v_cndmask_b32_e64 v14, v14, v39, s[40:41]
	v_lshlrev_b32_e32 v39, 24, v2
	v_and_b32_e32 v38, 3, v38
	v_and_b32_e32 v39, 0x80000000, v39
	v_cndmask_b32_e64 v38, v4, v38, s[40:41]
	v_lshl_add_u32 v14, v14, 23, v39
	v_cmp_gt_i16_sdwa s[42:43], sext(v2), v48 src0_sel:BYTE_0 src1_sel:DWORD
	v_lshl_or_b32 v14, v38, 21, v14
	v_cmp_eq_u32_e64 s[40:41], 0, v4
	v_cndmask_b32_e64 v2, v7, v0, s[42:43]
	v_add_u32_e32 v14, 0x38000000, v14
	v_cndmask_b32_e64 v2, v35, v2, s[40:41]
	v_cndmask_b32_e32 v4, v14, v2, vcc
.LBB2_2551:                             ;   in Loop: Header=BB2_2013 Depth=4
	s_or_b64 exec, exec, s[36:37]
	v_add_f32_e32 v4, v3, v4
	v_and_b32_e32 v38, 0x7f800000, v4
	v_mov_b32_e32 v39, v29
	v_cmp_ne_u64_e32 vcc, s[76:77], v[38:39]
	v_and_b32_e32 v2, 0x7fffff, v4
	v_mov_b32_e32 v3, v29
                                        ; implicit-def: $vgpr52
	s_and_saveexec_b64 s[40:41], vcc
	s_xor_b64 s[42:43], exec, s[40:41]
	s_cbranch_execz .LBB2_2565
; %bb.2552:                             ;   in Loop: Header=BB2_2013 Depth=4
	v_and_b32_e32 v38, 0x7fffffff, v4
	v_mov_b32_e32 v39, v29
	v_cmp_gt_u64_e32 vcc, s[78:79], v[38:39]
	v_and_b32_sdwa v14, v4, s96 dst_sel:DWORD dst_unused:UNUSED_PAD src0_sel:BYTE_3 src1_sel:DWORD
                                        ; implicit-def: $vgpr52
	s_and_saveexec_b64 s[40:41], vcc
	s_xor_b64 s[36:37], exec, s[40:41]
	s_cbranch_execz .LBB2_2562
; %bb.2553:                             ;   in Loop: Header=BB2_2013 Depth=4
	v_mov_b32_e32 v52, 0
	v_cmp_ne_u32_e32 vcc, 0, v4
	s_and_saveexec_b64 s[38:39], vcc
	s_cbranch_execz .LBB2_2561
; %bb.2554:                             ;   in Loop: Header=BB2_2013 Depth=4
	v_bfe_u32 v49, v4, 23, 8
	v_cmp_gt_u32_e64 s[40:41], s46, v49
	v_sub_u32_e32 v4, 0x71, v49
	v_cmp_eq_u32_e32 vcc, 0, v49
	v_cndmask_b32_e64 v4, 0, v4, s[40:41]
	v_mov_b32_e32 v39, 0x70
	v_cndmask_b32_e32 v52, v4, v39, vcc
	v_or_b32_e32 v38, 0x800000, v2
	v_add_u32_e32 v4, 21, v52
	v_cndmask_b32_e32 v2, v38, v2, vcc
	v_lshlrev_b64 v[38:39], v4, -1
	v_add_u32_e32 v4, 20, v52
	v_bfi_b32 v38, v38, 0, v2
	v_lshlrev_b64 v[40:41], v4, 1
	v_lshrrev_b64 v[2:3], v52, v[2:3]
	v_bfi_b32 v39, v39, 0, 0
	v_cmp_eq_u64_e64 s[40:41], v[38:39], v[40:41]
	v_mov_b32_e32 v4, v3
	v_mov_b32_e32 v3, v2
	s_and_saveexec_b64 s[48:49], s[40:41]
; %bb.2555:                             ;   in Loop: Header=BB2_2013 Depth=4
	v_bfe_u32 v3, v2, 21, 1
	v_add_co_u32_e64 v3, s[40:41], v2, v3
	v_add_co_u32_e64 v3, s[40:41], -1, v3
; %bb.2556:                             ;   in Loop: Header=BB2_2013 Depth=4
	s_or_b64 exec, exec, s[48:49]
	v_add_u32_e32 v4, 0xffffff81, v49
	v_cndmask_b32_e32 v4, v4, v1, vcc
	v_lshrrev_b32_e32 v38, 23, v2
	v_add3_u32 v52, v52, v4, v38
	v_add_u32_e32 v49, 14, v52
	v_and_b32_e32 v3, 0x1fffff, v3
	v_add_u32_e32 v2, v3, v2
	v_mov_b32_e32 v3, v29
	v_cmp_ne_u32_e32 vcc, 0, v49
                                        ; implicit-def: $vgpr4
	s_and_saveexec_b64 s[40:41], vcc
	s_xor_b64 s[40:41], exec, s[40:41]
; %bb.2557:                             ;   in Loop: Header=BB2_2013 Depth=4
	v_cmp_lt_u64_e32 vcc, s[88:89], v[2:3]
	v_add_u32_e32 v4, 15, v52
	v_cndmask_b32_e64 v38, 0, 1, vcc
	v_cndmask_b32_e32 v4, v49, v4, vcc
	v_lshrrev_b64 v[2:3], v38, v[2:3]
; %bb.2558:                             ;   in Loop: Header=BB2_2013 Depth=4
	s_andn2_saveexec_b64 s[40:41], s[40:41]
; %bb.2559:                             ;   in Loop: Header=BB2_2013 Depth=4
	v_bfe_u32 v4, v2, 23, 1
; %bb.2560:                             ;   in Loop: Header=BB2_2013 Depth=4
	s_or_b64 exec, exec, s[40:41]
	v_lshrrev_b64 v[2:3], 21, v[2:3]
	v_cmp_gt_i32_e32 vcc, 32, v4
	v_cndmask_b32_e32 v3, 0, v3, vcc
	v_cndmask_b32_e32 v2, 3, v2, vcc
	v_cmp_eq_u64_e64 s[40:41], 0, v[2:3]
	v_min_i32_e32 v3, 31, v4
	v_lshlrev_b32_e32 v3, 2, v3
	v_cmp_eq_u32_e32 vcc, 0, v4
	v_and_b32_e32 v3, 0xfc, v3
	v_and_or_b32 v2, v2, 3, v3
	s_and_b64 s[40:41], vcc, s[40:41]
	v_cndmask_b32_e64 v2, v2, 0, s[40:41]
	v_or_b32_e32 v52, v2, v14
.LBB2_2561:                             ;   in Loop: Header=BB2_2013 Depth=4
	s_or_b64 exec, exec, s[38:39]
                                        ; implicit-def: $vgpr14
.LBB2_2562:                             ;   in Loop: Header=BB2_2013 Depth=4
	s_andn2_saveexec_b64 s[40:41], s[36:37]
; %bb.2563:                             ;   in Loop: Header=BB2_2013 Depth=4
	v_or_b32_e32 v52, 0x7b, v14
; %bb.2564:                             ;   in Loop: Header=BB2_2013 Depth=4
	s_or_b64 exec, exec, s[40:41]
                                        ; implicit-def: $vgpr4
                                        ; implicit-def: $vgpr2_vgpr3
.LBB2_2565:                             ;   in Loop: Header=BB2_2013 Depth=4
	s_andn2_saveexec_b64 s[40:41], s[42:43]
	s_cbranch_execz .LBB2_2571
; %bb.2566:                             ;   in Loop: Header=BB2_2013 Depth=4
	v_cmp_ne_u64_e32 vcc, 0, v[2:3]
                                        ; implicit-def: $vgpr52
	s_and_saveexec_b64 s[42:43], vcc
	s_xor_b64 s[42:43], exec, s[42:43]
; %bb.2567:                             ;   in Loop: Header=BB2_2013 Depth=4
	v_or_b32_sdwa v52, v4, s47 dst_sel:DWORD dst_unused:UNUSED_PAD src0_sel:BYTE_3 src1_sel:DWORD
                                        ; implicit-def: $vgpr4
; %bb.2568:                             ;   in Loop: Header=BB2_2013 Depth=4
	s_andn2_saveexec_b64 s[42:43], s[42:43]
; %bb.2569:                             ;   in Loop: Header=BB2_2013 Depth=4
	v_cmp_lt_i32_e32 vcc, -1, v4
	v_cndmask_b32_e32 v52, v6, v22, vcc
; %bb.2570:                             ;   in Loop: Header=BB2_2013 Depth=4
	s_or_b64 exec, exec, s[42:43]
.LBB2_2571:                             ;   in Loop: Header=BB2_2013 Depth=4
	s_or_b64 exec, exec, s[40:41]
	v_cmp_lt_u32_e32 vcc, s57, v28
	v_mov_b32_e32 v3, 0
	s_and_saveexec_b64 s[40:41], vcc
	s_cbranch_execz .LBB2_2579
; %bb.2572:                             ;   in Loop: Header=BB2_2013 Depth=4
	v_lshrrev_b32_e32 v2, 24, v28
	v_cmp_ne_u32_e32 vcc, s96, v2
	v_bfrev_b32_e32 v3, 1
	s_and_saveexec_b64 s[42:43], vcc
	s_cbranch_execz .LBB2_2578
; %bb.2573:                             ;   in Loop: Header=BB2_2013 Depth=4
	v_and_b32_e32 v3, 0x7c000000, v28
	v_bfe_u32 v4, v28, 24, 2
	v_cmp_ne_u32_e32 vcc, s45, v3
                                        ; implicit-def: $vgpr3
	s_and_saveexec_b64 s[36:37], vcc
	s_xor_b64 s[36:37], exec, s[36:37]
	s_cbranch_execz .LBB2_2575
; %bb.2574:                             ;   in Loop: Header=BB2_2013 Depth=4
	v_ffbh_u32_e32 v3, v4
	v_min_u32_e32 v38, 32, v3
	v_subrev_u32_e32 v3, 29, v38
	v_lshlrev_b64 v[2:3], v3, v[2:3]
	v_bfe_u32 v14, v28, 26, 5
	v_sub_u32_e32 v3, 30, v38
	v_and_b32_e32 v2, 3, v2
	v_cmp_eq_u32_e32 vcc, 0, v14
	v_cndmask_b32_e32 v3, v14, v3, vcc
	v_cndmask_b32_e32 v2, v4, v2, vcc
	v_and_b32_e32 v4, 0x80000000, v28
	v_lshl_add_u32 v3, v3, 23, v4
	v_lshl_or_b32 v2, v2, 21, v3
	v_add_u32_e32 v3, 0x38000000, v2
                                        ; implicit-def: $vgpr4
.LBB2_2575:                             ;   in Loop: Header=BB2_2013 Depth=4
	s_andn2_saveexec_b64 s[36:37], s[36:37]
; %bb.2576:                             ;   in Loop: Header=BB2_2013 Depth=4
	v_cmp_lt_i32_e32 vcc, -1, v28
	v_cndmask_b32_e32 v2, v7, v0, vcc
	v_cmp_eq_u32_e32 vcc, 0, v4
	v_cndmask_b32_e32 v3, v35, v2, vcc
; %bb.2577:                             ;   in Loop: Header=BB2_2013 Depth=4
	s_or_b64 exec, exec, s[36:37]
.LBB2_2578:                             ;   in Loop: Header=BB2_2013 Depth=4
	s_or_b64 exec, exec, s[42:43]
.LBB2_2579:                             ;   in Loop: Header=BB2_2013 Depth=4
	s_or_b64 exec, exec, s[40:41]
	v_bfe_u32 v4, v8, 24, 2
	v_and_b32_e32 v28, 0x7c000000, v8
	v_cmp_eq_u32_e32 vcc, s45, v28
	v_ffbh_u32_e32 v28, v4
	v_min_u32_e32 v28, 32, v28
	v_lshrrev_b32_e32 v2, 24, v8
	v_subrev_u32_e32 v38, 29, v28
	v_lshlrev_b64 v[38:39], v38, v[2:3]
	v_bfe_u32 v14, v8, 26, 5
	v_cmp_eq_u32_e64 s[40:41], 0, v14
	v_sub_u32_e32 v28, 30, v28
	v_and_b32_e32 v38, 3, v38
	v_cndmask_b32_e64 v14, v14, v28, s[40:41]
	v_cndmask_b32_e64 v28, v4, v38, s[40:41]
	v_and_b32_e32 v38, 0x80000000, v8
	v_lshl_add_u32 v14, v14, 23, v38
	v_cmp_lt_i32_e64 s[42:43], -1, v8
	v_lshl_or_b32 v14, v28, 21, v14
	v_cmp_eq_u32_e64 s[40:41], 0, v4
	v_cndmask_b32_e64 v4, v7, v0, s[42:43]
	v_add_u32_e32 v14, 0x38000000, v14
	v_cndmask_b32_e64 v4, v35, v4, s[40:41]
	v_cndmask_b32_e32 v4, v14, v4, vcc
	v_cmp_ne_u32_e32 vcc, s96, v2
	v_bfrev_b32_e32 v2, 1
	v_cndmask_b32_e32 v2, v2, v4, vcc
	v_cmp_lt_u32_e32 vcc, s57, v8
	v_cndmask_b32_e32 v2, 0, v2, vcc
	v_add_f32_e32 v2, v2, v3
	v_and_b32_e32 v3, 0x7f800000, v2
	v_mov_b32_e32 v4, v29
	v_cmp_ne_u64_e32 vcc, s[76:77], v[3:4]
	v_and_b32_e32 v28, 0x7fffff, v2
                                        ; implicit-def: $vgpr58
	s_and_saveexec_b64 s[40:41], vcc
	s_xor_b64 s[42:43], exec, s[40:41]
	s_cbranch_execz .LBB2_2593
; %bb.2580:                             ;   in Loop: Header=BB2_2013 Depth=4
	v_and_b32_e32 v3, 0x7fffffff, v2
	v_mov_b32_e32 v4, v29
	v_cmp_gt_u64_e32 vcc, s[78:79], v[3:4]
	v_and_b32_sdwa v14, v2, s96 dst_sel:DWORD dst_unused:UNUSED_PAD src0_sel:BYTE_3 src1_sel:DWORD
                                        ; implicit-def: $vgpr58
	s_and_saveexec_b64 s[40:41], vcc
	s_xor_b64 s[36:37], exec, s[40:41]
	s_cbranch_execz .LBB2_2590
; %bb.2581:                             ;   in Loop: Header=BB2_2013 Depth=4
	v_mov_b32_e32 v58, 0
	v_cmp_ne_u32_e32 vcc, 0, v2
	s_and_saveexec_b64 s[38:39], vcc
	s_cbranch_execz .LBB2_2589
; %bb.2582:                             ;   in Loop: Header=BB2_2013 Depth=4
	v_bfe_u32 v49, v2, 23, 8
	v_cmp_gt_u32_e64 s[40:41], s46, v49
	v_sub_u32_e32 v2, 0x71, v49
	v_cmp_eq_u32_e32 vcc, 0, v49
	v_cndmask_b32_e64 v2, 0, v2, s[40:41]
	v_mov_b32_e32 v4, 0x70
	v_cndmask_b32_e32 v58, v2, v4, vcc
	v_or_b32_e32 v3, 0x800000, v28
	v_add_u32_e32 v2, 21, v58
	v_cndmask_b32_e32 v28, v3, v28, vcc
	v_lshlrev_b64 v[2:3], v2, -1
	v_add_u32_e32 v4, 20, v58
	v_lshlrev_b64 v[38:39], v4, 1
	v_bfi_b32 v3, v3, 0, 0
	v_bfi_b32 v2, v2, 0, v28
	v_cmp_eq_u64_e64 s[40:41], v[2:3], v[38:39]
	v_lshrrev_b64 v[2:3], v58, v[28:29]
	v_mov_b32_e32 v4, v3
	v_mov_b32_e32 v3, v2
	s_and_saveexec_b64 s[48:49], s[40:41]
; %bb.2583:                             ;   in Loop: Header=BB2_2013 Depth=4
	v_bfe_u32 v3, v2, 21, 1
	v_add_co_u32_e64 v3, s[40:41], v2, v3
	v_add_co_u32_e64 v3, s[40:41], -1, v3
; %bb.2584:                             ;   in Loop: Header=BB2_2013 Depth=4
	s_or_b64 exec, exec, s[48:49]
	v_add_u32_e32 v4, 0xffffff81, v49
	v_cndmask_b32_e32 v4, v4, v1, vcc
	v_lshrrev_b32_e32 v28, 23, v2
	v_add3_u32 v58, v58, v4, v28
	v_add_u32_e32 v49, 14, v58
	v_and_b32_e32 v3, 0x1fffff, v3
	v_add_u32_e32 v28, v3, v2
	v_cmp_ne_u32_e32 vcc, 0, v49
                                        ; implicit-def: $vgpr2_vgpr3
                                        ; implicit-def: $vgpr4
	s_and_saveexec_b64 s[40:41], vcc
	s_xor_b64 s[40:41], exec, s[40:41]
; %bb.2585:                             ;   in Loop: Header=BB2_2013 Depth=4
	v_cmp_lt_u64_e32 vcc, s[88:89], v[28:29]
	v_add_u32_e32 v2, 15, v58
	v_cndmask_b32_e32 v4, v49, v2, vcc
	v_cndmask_b32_e64 v2, 0, 1, vcc
	v_lshrrev_b64 v[2:3], v2, v[28:29]
; %bb.2586:                             ;   in Loop: Header=BB2_2013 Depth=4
	s_andn2_saveexec_b64 s[40:41], s[40:41]
; %bb.2587:                             ;   in Loop: Header=BB2_2013 Depth=4
	v_mov_b32_e32 v2, v28
	v_bfe_u32 v4, v28, 23, 1
	v_mov_b32_e32 v3, v29
; %bb.2588:                             ;   in Loop: Header=BB2_2013 Depth=4
	s_or_b64 exec, exec, s[40:41]
	v_lshrrev_b64 v[2:3], 21, v[2:3]
	v_cmp_gt_i32_e32 vcc, 32, v4
	v_cndmask_b32_e32 v3, 0, v3, vcc
	v_cndmask_b32_e32 v2, 3, v2, vcc
	v_cmp_eq_u64_e64 s[40:41], 0, v[2:3]
	v_min_i32_e32 v3, 31, v4
	v_lshlrev_b32_e32 v3, 2, v3
	v_cmp_eq_u32_e32 vcc, 0, v4
	v_and_b32_e32 v3, 0xfc, v3
	v_and_or_b32 v2, v2, 3, v3
	s_and_b64 s[40:41], vcc, s[40:41]
	v_cndmask_b32_e64 v2, v2, 0, s[40:41]
	v_or_b32_e32 v58, v2, v14
.LBB2_2589:                             ;   in Loop: Header=BB2_2013 Depth=4
	s_or_b64 exec, exec, s[38:39]
                                        ; implicit-def: $vgpr14
.LBB2_2590:                             ;   in Loop: Header=BB2_2013 Depth=4
	s_andn2_saveexec_b64 s[40:41], s[36:37]
; %bb.2591:                             ;   in Loop: Header=BB2_2013 Depth=4
	v_or_b32_e32 v58, 0x7b, v14
; %bb.2592:                             ;   in Loop: Header=BB2_2013 Depth=4
	s_or_b64 exec, exec, s[40:41]
                                        ; implicit-def: $vgpr2
.LBB2_2593:                             ;   in Loop: Header=BB2_2013 Depth=4
	s_andn2_saveexec_b64 s[40:41], s[42:43]
	s_cbranch_execz .LBB2_2599
; %bb.2594:                             ;   in Loop: Header=BB2_2013 Depth=4
	v_cmp_ne_u64_e32 vcc, 0, v[28:29]
                                        ; implicit-def: $vgpr58
	s_and_saveexec_b64 s[42:43], vcc
	s_xor_b64 s[42:43], exec, s[42:43]
; %bb.2595:                             ;   in Loop: Header=BB2_2013 Depth=4
	v_or_b32_sdwa v58, v2, s47 dst_sel:DWORD dst_unused:UNUSED_PAD src0_sel:BYTE_3 src1_sel:DWORD
                                        ; implicit-def: $vgpr2
; %bb.2596:                             ;   in Loop: Header=BB2_2013 Depth=4
	s_andn2_saveexec_b64 s[42:43], s[42:43]
; %bb.2597:                             ;   in Loop: Header=BB2_2013 Depth=4
	v_cmp_lt_i32_e32 vcc, -1, v2
	v_cndmask_b32_e32 v58, v6, v22, vcc
; %bb.2598:                             ;   in Loop: Header=BB2_2013 Depth=4
	s_or_b64 exec, exec, s[42:43]
.LBB2_2599:                             ;   in Loop: Header=BB2_2013 Depth=4
	s_or_b64 exec, exec, s[40:41]
	v_lshl_or_b32 v49, v15, 8, v5
	v_lshlrev_b32_e32 v2, 16, v19
	v_lshlrev_b32_e32 v3, 24, v17
	v_or3_b32 v28, v2, v3, v49
	v_cmp_ne_u32_e32 vcc, 0, v5
	v_mov_b32_e32 v2, 0
	s_and_saveexec_b64 s[42:43], vcc
	s_cbranch_execz .LBB2_2607
; %bb.2600:                             ;   in Loop: Header=BB2_2013 Depth=4
	v_cmp_ne_u32_e32 vcc, s96, v5
	v_bfrev_b32_e32 v2, 1
	s_and_saveexec_b64 s[36:37], vcc
	s_cbranch_execz .LBB2_2606
; %bb.2601:                             ;   in Loop: Header=BB2_2013 Depth=4
	v_and_b32_e32 v2, 0x7c, v5
	v_and_b32_e32 v3, 3, v5
	v_cmp_ne_u32_e32 vcc, s85, v2
                                        ; implicit-def: $vgpr2
	s_and_saveexec_b64 s[40:41], vcc
	s_xor_b64 s[40:41], exec, s[40:41]
	s_cbranch_execz .LBB2_2603
; %bb.2602:                             ;   in Loop: Header=BB2_2013 Depth=4
	v_ffbh_u32_e32 v4, v3
	v_min_u32_e32 v4, 32, v4
	v_bfe_u32 v2, v5, 2, 5
	v_subrev_u32_e32 v14, 29, v4
	v_lshlrev_b64 v[14:15], v14, v[28:29]
	v_sub_u32_e32 v4, 30, v4
	v_cmp_eq_u32_e32 vcc, 0, v2
	v_cndmask_b32_e32 v2, v2, v4, vcc
	v_lshlrev_b32_e32 v4, 24, v5
	v_and_b32_e32 v14, 3, v14
	v_and_b32_e32 v4, 0x80000000, v4
	v_cndmask_b32_e32 v3, v3, v14, vcc
	v_lshl_add_u32 v2, v2, 23, v4
	v_lshl_or_b32 v2, v3, 21, v2
	v_add_u32_e32 v2, 0x38000000, v2
                                        ; implicit-def: $vgpr3
                                        ; implicit-def: $vgpr5
.LBB2_2603:                             ;   in Loop: Header=BB2_2013 Depth=4
	s_andn2_saveexec_b64 s[38:39], s[40:41]
; %bb.2604:                             ;   in Loop: Header=BB2_2013 Depth=4
	v_and_b32_e32 v2, 0x80, v5
	v_cmp_eq_u32_e64 s[40:41], 0, v2
	v_cmp_eq_u32_e32 vcc, 0, v3
	v_cndmask_b32_e64 v2, v7, v0, s[40:41]
	v_cndmask_b32_e32 v2, v35, v2, vcc
; %bb.2605:                             ;   in Loop: Header=BB2_2013 Depth=4
	s_or_b64 exec, exec, s[38:39]
.LBB2_2606:                             ;   in Loop: Header=BB2_2013 Depth=4
	s_or_b64 exec, exec, s[36:37]
.LBB2_2607:                             ;   in Loop: Header=BB2_2013 Depth=4
	s_or_b64 exec, exec, s[42:43]
	v_cmp_gt_i16_sdwa s[42:43], v9, s47 src0_sel:BYTE_0 src1_sel:DWORD
	s_mov_b64 s[40:41], 0
	s_and_saveexec_b64 vcc, s[42:43]
	s_xor_b64 s[42:43], exec, vcc
	s_cbranch_execz .LBB2_2611
; %bb.2608:                             ;   in Loop: Header=BB2_2013 Depth=4
	v_cmp_eq_u16_sdwa s[36:37], v9, s96 src0_sel:BYTE_0 src1_sel:DWORD
	s_mov_b64 s[40:41], -1
	s_and_saveexec_b64 vcc, s[36:37]
; %bb.2609:                             ;   in Loop: Header=BB2_2013 Depth=4
	s_xor_b64 s[40:41], exec, -1
; %bb.2610:                             ;   in Loop: Header=BB2_2013 Depth=4
	s_or_b64 exec, exec, vcc
	s_and_b64 s[40:41], s[40:41], exec
.LBB2_2611:                             ;   in Loop: Header=BB2_2013 Depth=4
	s_or_saveexec_b64 s[42:43], s[42:43]
	v_bfrev_b32_e32 v3, 1
	s_xor_b64 exec, exec, s[42:43]
; %bb.2612:                             ;   in Loop: Header=BB2_2013 Depth=4
	v_cmp_ne_u16_sdwa vcc, v9, v29 src0_sel:BYTE_0 src1_sel:DWORD
	s_andn2_b64 s[40:41], s[40:41], exec
	s_and_b64 vcc, vcc, exec
	v_mov_b32_e32 v3, 0
	s_or_b64 s[40:41], s[40:41], vcc
; %bb.2613:                             ;   in Loop: Header=BB2_2013 Depth=4
	s_or_b64 exec, exec, s[42:43]
	v_mov_b32_e32 v4, v9
	v_mov_b32_e32 v5, v29
	s_and_saveexec_b64 s[36:37], s[40:41]
	s_cbranch_execz .LBB2_2615
; %bb.2614:                             ;   in Loop: Header=BB2_2013 Depth=4
	v_and_b32_e32 v3, 3, v9
	v_and_b32_e32 v14, 0x7c, v9
	v_cmp_eq_u32_e32 vcc, s85, v14
	v_ffbh_u32_e32 v14, v3
	v_min_u32_e32 v19, 32, v14
	v_subrev_u32_e32 v14, 29, v19
	v_bfe_u32 v17, v9, 2, 5
	v_lshlrev_b64 v[14:15], v14, v[4:5]
	v_cmp_eq_u32_e64 s[40:41], 0, v17
	v_sub_u32_e32 v5, 30, v19
	v_lshlrev_b32_e32 v15, 24, v9
	v_and_b32_e32 v14, 3, v14
	v_cndmask_b32_e64 v5, v17, v5, s[40:41]
	v_and_b32_e32 v15, 0x80000000, v15
	v_cndmask_b32_e64 v14, v3, v14, s[40:41]
	v_lshl_add_u32 v5, v5, 23, v15
	v_cmp_gt_i16_sdwa s[42:43], sext(v9), v48 src0_sel:BYTE_0 src1_sel:DWORD
	v_lshl_or_b32 v5, v14, 21, v5
	v_cmp_eq_u32_e64 s[40:41], 0, v3
	v_cndmask_b32_e64 v3, v7, v0, s[42:43]
	v_add_u32_e32 v5, 0x38000000, v5
	v_cndmask_b32_e64 v3, v35, v3, s[40:41]
	v_cndmask_b32_e32 v3, v5, v3, vcc
.LBB2_2615:                             ;   in Loop: Header=BB2_2013 Depth=4
	s_or_b64 exec, exec, s[36:37]
	v_add_f32_e32 v15, v2, v3
	v_and_b32_e32 v38, 0x7f800000, v15
	v_mov_b32_e32 v39, v29
	v_cmp_ne_u64_e32 vcc, s[76:77], v[38:39]
	v_and_b32_e32 v2, 0x7fffff, v15
	v_mov_b32_e32 v3, v29
                                        ; implicit-def: $vgpr14
	s_and_saveexec_b64 s[40:41], vcc
	s_xor_b64 s[42:43], exec, s[40:41]
	s_cbranch_execz .LBB2_2629
; %bb.2616:                             ;   in Loop: Header=BB2_2013 Depth=4
	v_and_b32_e32 v38, 0x7fffffff, v15
	v_mov_b32_e32 v39, v29
	v_cmp_gt_u64_e32 vcc, s[78:79], v[38:39]
	v_and_b32_sdwa v5, v15, s96 dst_sel:DWORD dst_unused:UNUSED_PAD src0_sel:BYTE_3 src1_sel:DWORD
                                        ; implicit-def: $vgpr14
	s_and_saveexec_b64 s[40:41], vcc
	s_xor_b64 s[36:37], exec, s[40:41]
	s_cbranch_execz .LBB2_2626
; %bb.2617:                             ;   in Loop: Header=BB2_2013 Depth=4
	v_mov_b32_e32 v14, 0
	v_cmp_ne_u32_e32 vcc, 0, v15
	s_and_saveexec_b64 s[38:39], vcc
	s_cbranch_execz .LBB2_2625
; %bb.2618:                             ;   in Loop: Header=BB2_2013 Depth=4
	v_bfe_u32 v17, v15, 23, 8
	v_cmp_gt_u32_e64 s[40:41], s46, v17
	v_sub_u32_e32 v14, 0x71, v17
	v_cmp_eq_u32_e32 vcc, 0, v17
	v_cndmask_b32_e64 v14, 0, v14, s[40:41]
	v_mov_b32_e32 v19, 0x70
	v_cndmask_b32_e32 v19, v14, v19, vcc
	v_or_b32_e32 v15, 0x800000, v2
	v_add_u32_e32 v14, 21, v19
	v_cndmask_b32_e32 v2, v15, v2, vcc
	v_lshlrev_b64 v[14:15], v14, -1
	v_add_u32_e32 v38, 20, v19
	v_bfi_b32 v14, v14, 0, v2
	v_lshlrev_b64 v[38:39], v38, 1
	v_lshrrev_b64 v[2:3], v19, v[2:3]
	v_bfi_b32 v15, v15, 0, 0
	v_cmp_eq_u64_e64 s[40:41], v[14:15], v[38:39]
	v_mov_b32_e32 v15, v3
	v_mov_b32_e32 v14, v2
	s_and_saveexec_b64 s[48:49], s[40:41]
; %bb.2619:                             ;   in Loop: Header=BB2_2013 Depth=4
	v_bfe_u32 v3, v2, 21, 1
	v_add_co_u32_e64 v3, s[40:41], v2, v3
	v_add_co_u32_e64 v14, s[40:41], -1, v3
; %bb.2620:                             ;   in Loop: Header=BB2_2013 Depth=4
	s_or_b64 exec, exec, s[48:49]
	v_add_u32_e32 v3, 0xffffff81, v17
	v_cndmask_b32_e32 v3, v3, v1, vcc
	v_lshrrev_b32_e32 v15, 23, v2
	v_add3_u32 v17, v19, v3, v15
	v_add_u32_e32 v15, 14, v17
	v_and_b32_e32 v3, 0x1fffff, v14
	v_add_u32_e32 v2, v3, v2
	v_mov_b32_e32 v3, v29
	v_cmp_ne_u32_e32 vcc, 0, v15
                                        ; implicit-def: $vgpr14
	s_and_saveexec_b64 s[40:41], vcc
	s_xor_b64 s[40:41], exec, s[40:41]
; %bb.2621:                             ;   in Loop: Header=BB2_2013 Depth=4
	v_cmp_lt_u64_e32 vcc, s[88:89], v[2:3]
	v_add_u32_e32 v14, 15, v17
	v_cndmask_b32_e32 v14, v15, v14, vcc
	v_cndmask_b32_e64 v15, 0, 1, vcc
	v_lshrrev_b64 v[2:3], v15, v[2:3]
; %bb.2622:                             ;   in Loop: Header=BB2_2013 Depth=4
	s_andn2_saveexec_b64 s[40:41], s[40:41]
; %bb.2623:                             ;   in Loop: Header=BB2_2013 Depth=4
	v_bfe_u32 v14, v2, 23, 1
; %bb.2624:                             ;   in Loop: Header=BB2_2013 Depth=4
	s_or_b64 exec, exec, s[40:41]
	v_lshrrev_b64 v[2:3], 21, v[2:3]
	v_cmp_gt_i32_e32 vcc, 32, v14
	v_cndmask_b32_e32 v3, 0, v3, vcc
	v_cndmask_b32_e32 v2, 3, v2, vcc
	v_cmp_eq_u64_e64 s[40:41], 0, v[2:3]
	v_min_i32_e32 v3, 31, v14
	v_lshlrev_b32_e32 v3, 2, v3
	v_cmp_eq_u32_e32 vcc, 0, v14
	v_and_b32_e32 v3, 0xfc, v3
	v_and_or_b32 v2, v2, 3, v3
	s_and_b64 s[40:41], vcc, s[40:41]
	v_cndmask_b32_e64 v2, v2, 0, s[40:41]
	v_or_b32_e32 v14, v2, v5
.LBB2_2625:                             ;   in Loop: Header=BB2_2013 Depth=4
	s_or_b64 exec, exec, s[38:39]
                                        ; implicit-def: $vgpr5
.LBB2_2626:                             ;   in Loop: Header=BB2_2013 Depth=4
	s_andn2_saveexec_b64 s[40:41], s[36:37]
; %bb.2627:                             ;   in Loop: Header=BB2_2013 Depth=4
	v_or_b32_e32 v14, 0x7b, v5
; %bb.2628:                             ;   in Loop: Header=BB2_2013 Depth=4
	s_or_b64 exec, exec, s[40:41]
                                        ; implicit-def: $vgpr15
                                        ; implicit-def: $vgpr2_vgpr3
.LBB2_2629:                             ;   in Loop: Header=BB2_2013 Depth=4
	s_andn2_saveexec_b64 s[40:41], s[42:43]
	s_cbranch_execz .LBB2_2635
; %bb.2630:                             ;   in Loop: Header=BB2_2013 Depth=4
	v_cmp_ne_u64_e32 vcc, 0, v[2:3]
                                        ; implicit-def: $vgpr14
	s_and_saveexec_b64 s[42:43], vcc
	s_xor_b64 s[42:43], exec, s[42:43]
; %bb.2631:                             ;   in Loop: Header=BB2_2013 Depth=4
	v_or_b32_sdwa v14, v15, s47 dst_sel:DWORD dst_unused:UNUSED_PAD src0_sel:BYTE_3 src1_sel:DWORD
                                        ; implicit-def: $vgpr15
; %bb.2632:                             ;   in Loop: Header=BB2_2013 Depth=4
	s_andn2_saveexec_b64 s[42:43], s[42:43]
; %bb.2633:                             ;   in Loop: Header=BB2_2013 Depth=4
	v_cmp_lt_i32_e32 vcc, -1, v15
	v_cndmask_b32_e32 v14, v6, v22, vcc
; %bb.2634:                             ;   in Loop: Header=BB2_2013 Depth=4
	s_or_b64 exec, exec, s[42:43]
.LBB2_2635:                             ;   in Loop: Header=BB2_2013 Depth=4
	s_or_b64 exec, exec, s[40:41]
	v_lshrrev_b16_e32 v2, 8, v49
	v_cmp_ne_u16_e32 vcc, 0, v2
	v_mov_b32_e32 v5, 0
	s_and_saveexec_b64 s[40:41], vcc
	s_cbranch_execz .LBB2_2643
; %bb.2636:                             ;   in Loop: Header=BB2_2013 Depth=4
	v_cmp_ne_u16_e32 vcc, s96, v2
	v_bfrev_b32_e32 v5, 1
	s_and_saveexec_b64 s[42:43], vcc
	s_cbranch_execz .LBB2_2642
; %bb.2637:                             ;   in Loop: Header=BB2_2013 Depth=4
	v_and_b32_e32 v3, 0x7c, v2
	v_and_b32_e32 v15, 3, v2
	v_cmp_ne_u32_e32 vcc, s85, v3
                                        ; implicit-def: $vgpr5
	s_and_saveexec_b64 s[36:37], vcc
	s_xor_b64 s[36:37], exec, s[36:37]
	s_cbranch_execz .LBB2_2639
; %bb.2638:                             ;   in Loop: Header=BB2_2013 Depth=4
	v_ffbh_u32_e32 v17, v15
	v_min_u32_e32 v17, 32, v17
	v_mov_b32_e32 v3, v29
	v_subrev_u32_e32 v19, 29, v17
	v_bfe_u32 v5, v2, 2, 5
	v_lshlrev_b64 v[2:3], v19, v[2:3]
	v_sub_u32_e32 v3, 30, v17
	v_cmp_eq_u32_e32 vcc, 0, v5
	v_cndmask_b32_e32 v3, v5, v3, vcc
	v_lshlrev_b32_e32 v5, 16, v49
	v_and_b32_e32 v2, 3, v2
	v_and_b32_e32 v5, 0x80000000, v5
	v_cndmask_b32_e32 v2, v15, v2, vcc
	v_lshl_add_u32 v3, v3, 23, v5
	v_lshl_or_b32 v2, v2, 21, v3
	v_add_u32_e32 v5, 0x38000000, v2
                                        ; implicit-def: $vgpr15
                                        ; implicit-def: $vgpr49
.LBB2_2639:                             ;   in Loop: Header=BB2_2013 Depth=4
	s_andn2_saveexec_b64 s[36:37], s[36:37]
; %bb.2640:                             ;   in Loop: Header=BB2_2013 Depth=4
	v_cmp_lt_i16_e32 vcc, -1, v49
	v_cndmask_b32_e32 v2, v7, v0, vcc
	v_cmp_eq_u32_e32 vcc, 0, v15
	v_cndmask_b32_e32 v5, v35, v2, vcc
; %bb.2641:                             ;   in Loop: Header=BB2_2013 Depth=4
	s_or_b64 exec, exec, s[36:37]
.LBB2_2642:                             ;   in Loop: Header=BB2_2013 Depth=4
	s_or_b64 exec, exec, s[42:43]
.LBB2_2643:                             ;   in Loop: Header=BB2_2013 Depth=4
	s_or_b64 exec, exec, s[40:41]
	v_lshrrev_b16_e32 v2, 8, v4
	v_cmp_lt_i16_e32 vcc, s47, v2
	s_mov_b64 s[40:41], 0
	s_and_saveexec_b64 s[42:43], vcc
	s_xor_b64 s[42:43], exec, s[42:43]
	s_cbranch_execz .LBB2_2998
; %bb.2644:                             ;   in Loop: Header=BB2_2013 Depth=4
	v_cmp_eq_u16_e32 vcc, s96, v2
	s_mov_b64 s[40:41], -1
	s_and_saveexec_b64 s[36:37], vcc
; %bb.2645:                             ;   in Loop: Header=BB2_2013 Depth=4
	s_xor_b64 s[40:41], exec, -1
; %bb.2646:                             ;   in Loop: Header=BB2_2013 Depth=4
	s_or_b64 exec, exec, s[36:37]
	s_and_b64 s[40:41], s[40:41], exec
	s_or_saveexec_b64 s[42:43], s[42:43]
	v_bfrev_b32_e32 v3, 1
	s_xor_b64 exec, exec, s[42:43]
	s_cbranch_execnz .LBB2_2999
.LBB2_2647:                             ;   in Loop: Header=BB2_2013 Depth=4
	s_or_b64 exec, exec, s[42:43]
	s_and_saveexec_b64 s[36:37], s[40:41]
	s_cbranch_execz .LBB2_2649
.LBB2_2648:                             ;   in Loop: Header=BB2_2013 Depth=4
	v_and_b32_e32 v15, 3, v2
	v_and_b32_e32 v19, 0x7c, v2
	v_cmp_eq_u32_e32 vcc, s85, v19
	v_ffbh_u32_e32 v19, v15
	v_min_u32_e32 v19, 32, v19
	v_mov_b32_e32 v3, v29
	v_subrev_u32_e32 v38, 29, v19
	v_bfe_u32 v17, v2, 2, 5
	v_lshlrev_b64 v[38:39], v38, v[2:3]
	v_cmp_eq_u32_e64 s[40:41], 0, v17
	v_sub_u32_e32 v3, 30, v19
	v_lshlrev_b32_e32 v2, 24, v2
	v_and_b32_e32 v19, 3, v38
	v_cndmask_b32_e64 v3, v17, v3, s[40:41]
	v_and_b32_e32 v2, 0x80000000, v2
	v_cndmask_b32_e64 v17, v15, v19, s[40:41]
	v_lshl_add_u32 v2, v3, 23, v2
	v_cmp_lt_i16_e64 s[42:43], -1, v4
	v_lshl_or_b32 v2, v17, 21, v2
	v_cmp_eq_u32_e64 s[40:41], 0, v15
	v_cndmask_b32_e64 v3, v7, v0, s[42:43]
	v_add_u32_e32 v2, 0x38000000, v2
	v_cndmask_b32_e64 v3, v35, v3, s[40:41]
	v_cndmask_b32_e32 v3, v2, v3, vcc
.LBB2_2649:                             ;   in Loop: Header=BB2_2013 Depth=4
	s_or_b64 exec, exec, s[36:37]
	v_add_f32_e32 v4, v5, v3
	v_and_b32_e32 v38, 0x7f800000, v4
	v_mov_b32_e32 v39, v29
	v_cmp_ne_u64_e32 vcc, s[76:77], v[38:39]
	v_and_b32_e32 v2, 0x7fffff, v4
	v_mov_b32_e32 v3, v29
                                        ; implicit-def: $vgpr15
	s_and_saveexec_b64 s[40:41], vcc
	s_xor_b64 s[42:43], exec, s[40:41]
	s_cbranch_execz .LBB2_2663
; %bb.2650:                             ;   in Loop: Header=BB2_2013 Depth=4
	v_and_b32_e32 v38, 0x7fffffff, v4
	v_mov_b32_e32 v39, v29
	v_cmp_gt_u64_e32 vcc, s[78:79], v[38:39]
	v_and_b32_sdwa v5, v4, s96 dst_sel:DWORD dst_unused:UNUSED_PAD src0_sel:BYTE_3 src1_sel:DWORD
                                        ; implicit-def: $vgpr15
	s_and_saveexec_b64 s[40:41], vcc
	s_xor_b64 s[36:37], exec, s[40:41]
	s_cbranch_execz .LBB2_2660
; %bb.2651:                             ;   in Loop: Header=BB2_2013 Depth=4
	v_mov_b32_e32 v15, 0
	v_cmp_ne_u32_e32 vcc, 0, v4
	s_and_saveexec_b64 s[38:39], vcc
	s_cbranch_execz .LBB2_2659
; %bb.2652:                             ;   in Loop: Header=BB2_2013 Depth=4
	v_bfe_u32 v15, v4, 23, 8
	v_cmp_gt_u32_e64 s[40:41], s46, v15
	v_sub_u32_e32 v4, 0x71, v15
	v_cmp_eq_u32_e32 vcc, 0, v15
	v_cndmask_b32_e64 v4, 0, v4, s[40:41]
	v_mov_b32_e32 v17, 0x70
	v_cndmask_b32_e32 v17, v4, v17, vcc
	v_add_u32_e32 v4, 21, v17
	v_or_b32_e32 v19, 0x800000, v2
	v_lshlrev_b64 v[38:39], v4, -1
	v_cndmask_b32_e32 v2, v19, v2, vcc
	v_add_u32_e32 v4, 20, v17
	v_bfi_b32 v38, v38, 0, v2
	v_lshlrev_b64 v[40:41], v4, 1
	v_lshrrev_b64 v[2:3], v17, v[2:3]
	v_bfi_b32 v39, v39, 0, 0
	v_cmp_eq_u64_e64 s[40:41], v[38:39], v[40:41]
	v_mov_b32_e32 v4, v3
	v_mov_b32_e32 v3, v2
	s_and_saveexec_b64 s[48:49], s[40:41]
; %bb.2653:                             ;   in Loop: Header=BB2_2013 Depth=4
	v_bfe_u32 v3, v2, 21, 1
	v_add_co_u32_e64 v3, s[40:41], v2, v3
	v_add_co_u32_e64 v3, s[40:41], -1, v3
; %bb.2654:                             ;   in Loop: Header=BB2_2013 Depth=4
	s_or_b64 exec, exec, s[48:49]
	v_add_u32_e32 v4, 0xffffff81, v15
	v_cndmask_b32_e32 v4, v4, v1, vcc
	v_lshrrev_b32_e32 v15, 23, v2
	v_add3_u32 v17, v17, v4, v15
	v_add_u32_e32 v15, 14, v17
	v_and_b32_e32 v3, 0x1fffff, v3
	v_add_u32_e32 v2, v3, v2
	v_mov_b32_e32 v3, v29
	v_cmp_ne_u32_e32 vcc, 0, v15
                                        ; implicit-def: $vgpr4
	s_and_saveexec_b64 s[40:41], vcc
	s_xor_b64 s[40:41], exec, s[40:41]
; %bb.2655:                             ;   in Loop: Header=BB2_2013 Depth=4
	v_cmp_lt_u64_e32 vcc, s[88:89], v[2:3]
	v_add_u32_e32 v4, 15, v17
	v_cndmask_b32_e32 v4, v15, v4, vcc
	v_cndmask_b32_e64 v15, 0, 1, vcc
	v_lshrrev_b64 v[2:3], v15, v[2:3]
; %bb.2656:                             ;   in Loop: Header=BB2_2013 Depth=4
	s_andn2_saveexec_b64 s[40:41], s[40:41]
; %bb.2657:                             ;   in Loop: Header=BB2_2013 Depth=4
	v_bfe_u32 v4, v2, 23, 1
; %bb.2658:                             ;   in Loop: Header=BB2_2013 Depth=4
	s_or_b64 exec, exec, s[40:41]
	v_lshrrev_b64 v[2:3], 21, v[2:3]
	v_cmp_gt_i32_e32 vcc, 32, v4
	v_cndmask_b32_e32 v3, 0, v3, vcc
	v_cndmask_b32_e32 v2, 3, v2, vcc
	v_cmp_eq_u64_e64 s[40:41], 0, v[2:3]
	v_min_i32_e32 v3, 31, v4
	v_lshlrev_b32_e32 v3, 2, v3
	v_cmp_eq_u32_e32 vcc, 0, v4
	v_and_b32_e32 v3, 0xfc, v3
	v_and_or_b32 v2, v2, 3, v3
	s_and_b64 s[40:41], vcc, s[40:41]
	v_cndmask_b32_e64 v2, v2, 0, s[40:41]
	v_or_b32_e32 v15, v2, v5
.LBB2_2659:                             ;   in Loop: Header=BB2_2013 Depth=4
	s_or_b64 exec, exec, s[38:39]
                                        ; implicit-def: $vgpr5
.LBB2_2660:                             ;   in Loop: Header=BB2_2013 Depth=4
	s_andn2_saveexec_b64 s[40:41], s[36:37]
; %bb.2661:                             ;   in Loop: Header=BB2_2013 Depth=4
	v_or_b32_e32 v15, 0x7b, v5
; %bb.2662:                             ;   in Loop: Header=BB2_2013 Depth=4
	s_or_b64 exec, exec, s[40:41]
                                        ; implicit-def: $vgpr4
                                        ; implicit-def: $vgpr2_vgpr3
.LBB2_2663:                             ;   in Loop: Header=BB2_2013 Depth=4
	s_andn2_saveexec_b64 s[40:41], s[42:43]
	s_cbranch_execz .LBB2_2669
; %bb.2664:                             ;   in Loop: Header=BB2_2013 Depth=4
	v_cmp_ne_u64_e32 vcc, 0, v[2:3]
                                        ; implicit-def: $vgpr15
	s_and_saveexec_b64 s[42:43], vcc
	s_xor_b64 s[42:43], exec, s[42:43]
; %bb.2665:                             ;   in Loop: Header=BB2_2013 Depth=4
	v_or_b32_sdwa v15, v4, s47 dst_sel:DWORD dst_unused:UNUSED_PAD src0_sel:BYTE_3 src1_sel:DWORD
                                        ; implicit-def: $vgpr4
; %bb.2666:                             ;   in Loop: Header=BB2_2013 Depth=4
	s_andn2_saveexec_b64 s[42:43], s[42:43]
; %bb.2667:                             ;   in Loop: Header=BB2_2013 Depth=4
	v_cmp_lt_i32_e32 vcc, -1, v4
	v_cndmask_b32_e32 v15, v6, v22, vcc
; %bb.2668:                             ;   in Loop: Header=BB2_2013 Depth=4
	s_or_b64 exec, exec, s[42:43]
.LBB2_2669:                             ;   in Loop: Header=BB2_2013 Depth=4
	s_or_b64 exec, exec, s[40:41]
	v_and_b32_sdwa v4, v28, s87 dst_sel:DWORD dst_unused:UNUSED_PAD src0_sel:WORD_1 src1_sel:DWORD
	v_lshrrev_b32_e32 v2, 16, v28
	v_cmp_ne_u16_e32 vcc, 0, v4
	v_mov_b32_e32 v3, 0
	s_and_saveexec_b64 s[40:41], vcc
	s_cbranch_execz .LBB2_2677
; %bb.2670:                             ;   in Loop: Header=BB2_2013 Depth=4
	v_cmp_ne_u16_e32 vcc, s96, v4
	v_bfrev_b32_e32 v3, 1
	s_and_saveexec_b64 s[42:43], vcc
	s_cbranch_execz .LBB2_2676
; %bb.2671:                             ;   in Loop: Header=BB2_2013 Depth=4
	v_and_b32_e32 v3, 0x7c0000, v28
	v_bfe_u32 v4, v28, 16, 2
	v_cmp_ne_u32_e32 vcc, s44, v3
                                        ; implicit-def: $vgpr3
	s_and_saveexec_b64 s[36:37], vcc
	s_xor_b64 s[36:37], exec, s[36:37]
	s_cbranch_execz .LBB2_2673
; %bb.2672:                             ;   in Loop: Header=BB2_2013 Depth=4
	v_ffbh_u32_e32 v3, v4
	v_min_u32_e32 v17, 32, v3
	v_subrev_u32_e32 v3, 29, v17
	v_lshlrev_b64 v[2:3], v3, v[2:3]
	v_bfe_u32 v5, v28, 18, 5
	v_and_b32_e32 v2, 3, v2
	v_cmp_eq_u32_e32 vcc, 0, v5
	v_sub_u32_e32 v3, 30, v17
	v_cndmask_b32_e32 v2, v4, v2, vcc
	v_lshlrev_b32_e32 v4, 8, v28
	v_cndmask_b32_e32 v3, v5, v3, vcc
	v_and_b32_e32 v4, 0x80000000, v4
	v_lshl_add_u32 v3, v3, 23, v4
	v_lshl_or_b32 v2, v2, 21, v3
	v_add_u32_e32 v3, 0x38000000, v2
                                        ; implicit-def: $vgpr4
                                        ; implicit-def: $vgpr2
.LBB2_2673:                             ;   in Loop: Header=BB2_2013 Depth=4
	s_andn2_saveexec_b64 s[36:37], s[36:37]
; %bb.2674:                             ;   in Loop: Header=BB2_2013 Depth=4
	v_cmp_gt_i16_sdwa vcc, sext(v2), v48 src0_sel:BYTE_0 src1_sel:DWORD
	v_cndmask_b32_e32 v2, v7, v0, vcc
	v_cmp_eq_u32_e32 vcc, 0, v4
	v_cndmask_b32_e32 v3, v35, v2, vcc
; %bb.2675:                             ;   in Loop: Header=BB2_2013 Depth=4
	s_or_b64 exec, exec, s[36:37]
.LBB2_2676:                             ;   in Loop: Header=BB2_2013 Depth=4
	s_or_b64 exec, exec, s[42:43]
.LBB2_2677:                             ;   in Loop: Header=BB2_2013 Depth=4
	s_or_b64 exec, exec, s[40:41]
	v_lshrrev_b32_e32 v2, 16, v9
	v_cmp_gt_i16_sdwa s[42:43], v2, s47 src0_sel:BYTE_0 src1_sel:DWORD
	s_mov_b64 s[40:41], 0
	s_and_saveexec_b64 vcc, s[42:43]
	s_xor_b64 s[42:43], exec, vcc
	s_cbranch_execz .LBB2_3000
; %bb.2678:                             ;   in Loop: Header=BB2_2013 Depth=4
	v_cmp_eq_u16_sdwa s[36:37], v2, s96 src0_sel:BYTE_0 src1_sel:DWORD
	s_mov_b64 s[40:41], -1
	s_and_saveexec_b64 vcc, s[36:37]
; %bb.2679:                             ;   in Loop: Header=BB2_2013 Depth=4
	s_xor_b64 s[40:41], exec, -1
; %bb.2680:                             ;   in Loop: Header=BB2_2013 Depth=4
	s_or_b64 exec, exec, vcc
	s_and_b64 s[40:41], s[40:41], exec
	s_or_saveexec_b64 s[42:43], s[42:43]
	v_bfrev_b32_e32 v4, 1
	s_xor_b64 exec, exec, s[42:43]
	s_cbranch_execnz .LBB2_3001
.LBB2_2681:                             ;   in Loop: Header=BB2_2013 Depth=4
	s_or_b64 exec, exec, s[42:43]
	s_and_saveexec_b64 s[36:37], s[40:41]
	s_cbranch_execz .LBB2_2683
.LBB2_2682:                             ;   in Loop: Header=BB2_2013 Depth=4
	v_and_b32_e32 v17, 3, v2
	v_and_b32_e32 v4, 0x7c0000, v9
	v_cmp_eq_u32_e32 vcc, s44, v4
	v_ffbh_u32_e32 v4, v17
	v_min_u32_e32 v38, 32, v4
	v_subrev_u32_e32 v4, 29, v38
	v_bfe_u32 v19, v9, 18, 5
	v_lshlrev_b64 v[4:5], v4, v[2:3]
	v_cmp_eq_u32_e64 s[40:41], 0, v19
	v_sub_u32_e32 v5, 30, v38
	v_cndmask_b32_e64 v5, v19, v5, s[40:41]
	v_lshlrev_b32_e32 v19, 24, v2
	v_and_b32_e32 v4, 3, v4
	v_and_b32_e32 v19, 0x80000000, v19
	v_cndmask_b32_e64 v4, v17, v4, s[40:41]
	v_lshl_add_u32 v5, v5, 23, v19
	v_cmp_gt_i16_sdwa s[42:43], sext(v2), v48 src0_sel:BYTE_0 src1_sel:DWORD
	v_lshl_or_b32 v4, v4, 21, v5
	v_cmp_eq_u32_e64 s[40:41], 0, v17
	v_cndmask_b32_e64 v2, v7, v0, s[42:43]
	v_add_u32_e32 v4, 0x38000000, v4
	v_cndmask_b32_e64 v2, v35, v2, s[40:41]
	v_cndmask_b32_e32 v4, v4, v2, vcc
.LBB2_2683:                             ;   in Loop: Header=BB2_2013 Depth=4
	s_or_b64 exec, exec, s[36:37]
	v_add_f32_e32 v4, v3, v4
	v_and_b32_e32 v38, 0x7f800000, v4
	v_mov_b32_e32 v39, v29
	v_cmp_ne_u64_e32 vcc, s[76:77], v[38:39]
	v_and_b32_e32 v2, 0x7fffff, v4
	v_mov_b32_e32 v3, v29
                                        ; implicit-def: $vgpr17
	s_and_saveexec_b64 s[40:41], vcc
	s_xor_b64 s[42:43], exec, s[40:41]
	s_cbranch_execz .LBB2_2697
; %bb.2684:                             ;   in Loop: Header=BB2_2013 Depth=4
	v_and_b32_e32 v38, 0x7fffffff, v4
	v_mov_b32_e32 v39, v29
	v_cmp_gt_u64_e32 vcc, s[78:79], v[38:39]
	v_and_b32_sdwa v5, v4, s96 dst_sel:DWORD dst_unused:UNUSED_PAD src0_sel:BYTE_3 src1_sel:DWORD
                                        ; implicit-def: $vgpr17
	s_and_saveexec_b64 s[40:41], vcc
	s_xor_b64 s[36:37], exec, s[40:41]
	s_cbranch_execz .LBB2_2694
; %bb.2685:                             ;   in Loop: Header=BB2_2013 Depth=4
	v_mov_b32_e32 v17, 0
	v_cmp_ne_u32_e32 vcc, 0, v4
	s_and_saveexec_b64 s[38:39], vcc
	s_cbranch_execz .LBB2_2693
; %bb.2686:                             ;   in Loop: Header=BB2_2013 Depth=4
	v_bfe_u32 v17, v4, 23, 8
	v_cmp_gt_u32_e64 s[40:41], s46, v17
	v_sub_u32_e32 v4, 0x71, v17
	v_cmp_eq_u32_e32 vcc, 0, v17
	v_cndmask_b32_e64 v4, 0, v4, s[40:41]
	v_mov_b32_e32 v19, 0x70
	v_cndmask_b32_e32 v19, v4, v19, vcc
	v_or_b32_e32 v38, 0x800000, v2
	v_add_u32_e32 v4, 21, v19
	v_cndmask_b32_e32 v2, v38, v2, vcc
	v_lshlrev_b64 v[38:39], v4, -1
	v_add_u32_e32 v4, 20, v19
	v_bfi_b32 v38, v38, 0, v2
	v_lshlrev_b64 v[40:41], v4, 1
	v_lshrrev_b64 v[2:3], v19, v[2:3]
	v_bfi_b32 v39, v39, 0, 0
	v_cmp_eq_u64_e64 s[40:41], v[38:39], v[40:41]
	v_mov_b32_e32 v4, v3
	v_mov_b32_e32 v3, v2
	s_and_saveexec_b64 s[48:49], s[40:41]
; %bb.2687:                             ;   in Loop: Header=BB2_2013 Depth=4
	v_bfe_u32 v3, v2, 21, 1
	v_add_co_u32_e64 v3, s[40:41], v2, v3
	v_add_co_u32_e64 v3, s[40:41], -1, v3
; %bb.2688:                             ;   in Loop: Header=BB2_2013 Depth=4
	s_or_b64 exec, exec, s[48:49]
	v_add_u32_e32 v4, 0xffffff81, v17
	v_cndmask_b32_e32 v4, v4, v1, vcc
	v_lshrrev_b32_e32 v17, 23, v2
	v_add3_u32 v19, v19, v4, v17
	v_add_u32_e32 v17, 14, v19
	v_and_b32_e32 v3, 0x1fffff, v3
	v_add_u32_e32 v2, v3, v2
	v_mov_b32_e32 v3, v29
	v_cmp_ne_u32_e32 vcc, 0, v17
                                        ; implicit-def: $vgpr4
	s_and_saveexec_b64 s[40:41], vcc
	s_xor_b64 s[40:41], exec, s[40:41]
; %bb.2689:                             ;   in Loop: Header=BB2_2013 Depth=4
	v_cmp_lt_u64_e32 vcc, s[88:89], v[2:3]
	v_add_u32_e32 v4, 15, v19
	v_cndmask_b32_e32 v4, v17, v4, vcc
	v_cndmask_b32_e64 v17, 0, 1, vcc
	v_lshrrev_b64 v[2:3], v17, v[2:3]
; %bb.2690:                             ;   in Loop: Header=BB2_2013 Depth=4
	s_andn2_saveexec_b64 s[40:41], s[40:41]
; %bb.2691:                             ;   in Loop: Header=BB2_2013 Depth=4
	v_bfe_u32 v4, v2, 23, 1
; %bb.2692:                             ;   in Loop: Header=BB2_2013 Depth=4
	s_or_b64 exec, exec, s[40:41]
	v_lshrrev_b64 v[2:3], 21, v[2:3]
	v_cmp_gt_i32_e32 vcc, 32, v4
	v_cndmask_b32_e32 v3, 0, v3, vcc
	v_cndmask_b32_e32 v2, 3, v2, vcc
	v_cmp_eq_u64_e64 s[40:41], 0, v[2:3]
	v_min_i32_e32 v3, 31, v4
	v_lshlrev_b32_e32 v3, 2, v3
	v_cmp_eq_u32_e32 vcc, 0, v4
	v_and_b32_e32 v3, 0xfc, v3
	v_and_or_b32 v2, v2, 3, v3
	s_and_b64 s[40:41], vcc, s[40:41]
	v_cndmask_b32_e64 v2, v2, 0, s[40:41]
	v_or_b32_e32 v17, v2, v5
.LBB2_2693:                             ;   in Loop: Header=BB2_2013 Depth=4
	s_or_b64 exec, exec, s[38:39]
                                        ; implicit-def: $vgpr5
.LBB2_2694:                             ;   in Loop: Header=BB2_2013 Depth=4
	s_andn2_saveexec_b64 s[40:41], s[36:37]
; %bb.2695:                             ;   in Loop: Header=BB2_2013 Depth=4
	v_or_b32_e32 v17, 0x7b, v5
; %bb.2696:                             ;   in Loop: Header=BB2_2013 Depth=4
	s_or_b64 exec, exec, s[40:41]
                                        ; implicit-def: $vgpr4
                                        ; implicit-def: $vgpr2_vgpr3
.LBB2_2697:                             ;   in Loop: Header=BB2_2013 Depth=4
	s_andn2_saveexec_b64 s[40:41], s[42:43]
	s_cbranch_execz .LBB2_2703
; %bb.2698:                             ;   in Loop: Header=BB2_2013 Depth=4
	v_cmp_ne_u64_e32 vcc, 0, v[2:3]
                                        ; implicit-def: $vgpr17
	s_and_saveexec_b64 s[42:43], vcc
	s_xor_b64 s[42:43], exec, s[42:43]
; %bb.2699:                             ;   in Loop: Header=BB2_2013 Depth=4
	v_or_b32_sdwa v17, v4, s47 dst_sel:DWORD dst_unused:UNUSED_PAD src0_sel:BYTE_3 src1_sel:DWORD
                                        ; implicit-def: $vgpr4
; %bb.2700:                             ;   in Loop: Header=BB2_2013 Depth=4
	s_andn2_saveexec_b64 s[42:43], s[42:43]
; %bb.2701:                             ;   in Loop: Header=BB2_2013 Depth=4
	v_cmp_lt_i32_e32 vcc, -1, v4
	v_cndmask_b32_e32 v17, v6, v22, vcc
; %bb.2702:                             ;   in Loop: Header=BB2_2013 Depth=4
	s_or_b64 exec, exec, s[42:43]
.LBB2_2703:                             ;   in Loop: Header=BB2_2013 Depth=4
	s_or_b64 exec, exec, s[40:41]
	v_cmp_lt_u32_e32 vcc, s57, v28
	v_mov_b32_e32 v3, 0
	s_and_saveexec_b64 s[40:41], vcc
	s_cbranch_execz .LBB2_2711
; %bb.2704:                             ;   in Loop: Header=BB2_2013 Depth=4
	v_lshrrev_b32_e32 v2, 24, v28
	v_cmp_ne_u32_e32 vcc, s96, v2
	v_bfrev_b32_e32 v3, 1
	s_and_saveexec_b64 s[42:43], vcc
	s_cbranch_execz .LBB2_2710
; %bb.2705:                             ;   in Loop: Header=BB2_2013 Depth=4
	v_and_b32_e32 v3, 0x7c000000, v28
	v_bfe_u32 v4, v28, 24, 2
	v_cmp_ne_u32_e32 vcc, s45, v3
                                        ; implicit-def: $vgpr3
	s_and_saveexec_b64 s[36:37], vcc
	s_xor_b64 s[36:37], exec, s[36:37]
	s_cbranch_execz .LBB2_2707
; %bb.2706:                             ;   in Loop: Header=BB2_2013 Depth=4
	v_ffbh_u32_e32 v3, v4
	v_min_u32_e32 v19, 32, v3
	v_subrev_u32_e32 v3, 29, v19
	v_lshlrev_b64 v[2:3], v3, v[2:3]
	v_bfe_u32 v5, v28, 26, 5
	v_sub_u32_e32 v3, 30, v19
	v_and_b32_e32 v2, 3, v2
	v_cmp_eq_u32_e32 vcc, 0, v5
	v_cndmask_b32_e32 v3, v5, v3, vcc
	v_cndmask_b32_e32 v2, v4, v2, vcc
	v_and_b32_e32 v4, 0x80000000, v28
	v_lshl_add_u32 v3, v3, 23, v4
	v_lshl_or_b32 v2, v2, 21, v3
	v_add_u32_e32 v3, 0x38000000, v2
                                        ; implicit-def: $vgpr4
.LBB2_2707:                             ;   in Loop: Header=BB2_2013 Depth=4
	s_andn2_saveexec_b64 s[36:37], s[36:37]
; %bb.2708:                             ;   in Loop: Header=BB2_2013 Depth=4
	v_cmp_lt_i32_e32 vcc, -1, v28
	v_cndmask_b32_e32 v2, v7, v0, vcc
	v_cmp_eq_u32_e32 vcc, 0, v4
	v_cndmask_b32_e32 v3, v35, v2, vcc
; %bb.2709:                             ;   in Loop: Header=BB2_2013 Depth=4
	s_or_b64 exec, exec, s[36:37]
.LBB2_2710:                             ;   in Loop: Header=BB2_2013 Depth=4
	s_or_b64 exec, exec, s[42:43]
.LBB2_2711:                             ;   in Loop: Header=BB2_2013 Depth=4
	s_or_b64 exec, exec, s[40:41]
	v_bfe_u32 v19, v9, 24, 2
	v_and_b32_e32 v4, 0x7c000000, v9
	v_cmp_eq_u32_e32 vcc, s45, v4
	v_ffbh_u32_e32 v4, v19
	v_min_u32_e32 v38, 32, v4
	v_lshrrev_b32_e32 v2, 24, v9
	v_subrev_u32_e32 v4, 29, v38
	v_bfe_u32 v28, v9, 26, 5
	v_lshlrev_b64 v[4:5], v4, v[2:3]
	v_cmp_eq_u32_e64 s[40:41], 0, v28
	v_sub_u32_e32 v5, 30, v38
	v_and_b32_e32 v4, 3, v4
	v_cndmask_b32_e64 v5, v28, v5, s[40:41]
	v_and_b32_e32 v28, 0x80000000, v9
	v_cmp_lt_i64_e64 s[42:43], -1, v[8:9]
	v_cndmask_b32_e64 v4, v19, v4, s[40:41]
	v_lshl_add_u32 v5, v5, 23, v28
	v_lshl_or_b32 v4, v4, 21, v5
	v_cmp_eq_u32_e64 s[40:41], 0, v19
	v_cndmask_b32_e64 v5, v7, v0, s[42:43]
	v_add_u32_e32 v4, 0x38000000, v4
	v_cndmask_b32_e64 v5, v35, v5, s[40:41]
	v_cndmask_b32_e32 v4, v4, v5, vcc
	v_cmp_ne_u32_e32 vcc, s96, v2
	v_bfrev_b32_e32 v2, 1
	v_cndmask_b32_e32 v2, v2, v4, vcc
	v_cmp_lt_u64_e32 vcc, s[56:57], v[8:9]
	v_mov_b32_e32 v4, v29
	v_cndmask_b32_e32 v2, 0, v2, vcc
	v_add_f32_e32 v2, v2, v3
	v_and_b32_e32 v3, 0x7f800000, v2
	v_cmp_ne_u64_e32 vcc, s[76:77], v[3:4]
	v_and_b32_e32 v28, 0x7fffff, v2
                                        ; implicit-def: $vgpr19
	s_and_saveexec_b64 s[40:41], vcc
	s_xor_b64 s[42:43], exec, s[40:41]
	s_cbranch_execz .LBB2_2725
; %bb.2712:                             ;   in Loop: Header=BB2_2013 Depth=4
	v_and_b32_e32 v3, 0x7fffffff, v2
	v_mov_b32_e32 v4, v29
	v_cmp_gt_u64_e32 vcc, s[78:79], v[3:4]
	v_and_b32_sdwa v5, v2, s96 dst_sel:DWORD dst_unused:UNUSED_PAD src0_sel:BYTE_3 src1_sel:DWORD
                                        ; implicit-def: $vgpr19
	s_and_saveexec_b64 s[40:41], vcc
	s_xor_b64 s[36:37], exec, s[40:41]
	s_cbranch_execz .LBB2_2722
; %bb.2713:                             ;   in Loop: Header=BB2_2013 Depth=4
	v_mov_b32_e32 v19, 0
	v_cmp_ne_u32_e32 vcc, 0, v2
	s_and_saveexec_b64 s[38:39], vcc
	s_cbranch_execz .LBB2_2721
; %bb.2714:                             ;   in Loop: Header=BB2_2013 Depth=4
	v_bfe_u32 v8, v2, 23, 8
	v_cmp_gt_u32_e64 s[40:41], s46, v8
	v_sub_u32_e32 v2, 0x71, v8
	v_cmp_eq_u32_e32 vcc, 0, v8
	v_cndmask_b32_e64 v2, 0, v2, s[40:41]
	v_mov_b32_e32 v4, 0x70
	v_cndmask_b32_e32 v9, v2, v4, vcc
	v_or_b32_e32 v3, 0x800000, v28
	v_add_u32_e32 v2, 21, v9
	v_cndmask_b32_e32 v28, v3, v28, vcc
	v_lshlrev_b64 v[2:3], v2, -1
	v_add_u32_e32 v4, 20, v9
	v_lshlrev_b64 v[38:39], v4, 1
	v_bfi_b32 v3, v3, 0, 0
	v_bfi_b32 v2, v2, 0, v28
	v_cmp_eq_u64_e64 s[40:41], v[2:3], v[38:39]
	v_lshrrev_b64 v[2:3], v9, v[28:29]
	v_mov_b32_e32 v4, v3
	v_mov_b32_e32 v3, v2
	s_and_saveexec_b64 s[48:49], s[40:41]
; %bb.2715:                             ;   in Loop: Header=BB2_2013 Depth=4
	v_bfe_u32 v3, v2, 21, 1
	v_add_co_u32_e64 v3, s[40:41], v2, v3
	v_add_co_u32_e64 v3, s[40:41], -1, v3
; %bb.2716:                             ;   in Loop: Header=BB2_2013 Depth=4
	s_or_b64 exec, exec, s[48:49]
	v_add_u32_e32 v4, 0xffffff81, v8
	v_cndmask_b32_e32 v4, v4, v1, vcc
	v_lshrrev_b32_e32 v8, 23, v2
	v_add3_u32 v9, v9, v4, v8
	v_add_u32_e32 v8, 14, v9
	v_and_b32_e32 v3, 0x1fffff, v3
	v_add_u32_e32 v28, v3, v2
	v_cmp_ne_u32_e32 vcc, 0, v8
                                        ; implicit-def: $vgpr2_vgpr3
                                        ; implicit-def: $vgpr4
	s_and_saveexec_b64 s[40:41], vcc
	s_xor_b64 s[40:41], exec, s[40:41]
; %bb.2717:                             ;   in Loop: Header=BB2_2013 Depth=4
	v_cmp_lt_u64_e32 vcc, s[88:89], v[28:29]
	v_add_u32_e32 v2, 15, v9
	v_cndmask_b32_e32 v4, v8, v2, vcc
	v_cndmask_b32_e64 v2, 0, 1, vcc
	v_lshrrev_b64 v[2:3], v2, v[28:29]
; %bb.2718:                             ;   in Loop: Header=BB2_2013 Depth=4
	s_andn2_saveexec_b64 s[40:41], s[40:41]
; %bb.2719:                             ;   in Loop: Header=BB2_2013 Depth=4
	v_mov_b32_e32 v2, v28
	v_bfe_u32 v4, v28, 23, 1
	v_mov_b32_e32 v3, v29
; %bb.2720:                             ;   in Loop: Header=BB2_2013 Depth=4
	s_or_b64 exec, exec, s[40:41]
	v_lshrrev_b64 v[2:3], 21, v[2:3]
	v_cmp_gt_i32_e32 vcc, 32, v4
	v_cndmask_b32_e32 v3, 0, v3, vcc
	v_cndmask_b32_e32 v2, 3, v2, vcc
	v_cmp_eq_u64_e64 s[40:41], 0, v[2:3]
	v_min_i32_e32 v3, 31, v4
	v_lshlrev_b32_e32 v3, 2, v3
	v_cmp_eq_u32_e32 vcc, 0, v4
	v_and_b32_e32 v3, 0xfc, v3
	v_and_or_b32 v2, v2, 3, v3
	s_and_b64 s[40:41], vcc, s[40:41]
	v_cndmask_b32_e64 v2, v2, 0, s[40:41]
	v_or_b32_e32 v19, v2, v5
.LBB2_2721:                             ;   in Loop: Header=BB2_2013 Depth=4
	s_or_b64 exec, exec, s[38:39]
                                        ; implicit-def: $vgpr5
.LBB2_2722:                             ;   in Loop: Header=BB2_2013 Depth=4
	s_andn2_saveexec_b64 s[40:41], s[36:37]
; %bb.2723:                             ;   in Loop: Header=BB2_2013 Depth=4
	v_or_b32_e32 v19, 0x7b, v5
; %bb.2724:                             ;   in Loop: Header=BB2_2013 Depth=4
	s_or_b64 exec, exec, s[40:41]
                                        ; implicit-def: $vgpr2
.LBB2_2725:                             ;   in Loop: Header=BB2_2013 Depth=4
	s_andn2_saveexec_b64 s[40:41], s[42:43]
	s_cbranch_execz .LBB2_2731
; %bb.2726:                             ;   in Loop: Header=BB2_2013 Depth=4
	v_cmp_ne_u64_e32 vcc, 0, v[28:29]
                                        ; implicit-def: $vgpr19
	s_and_saveexec_b64 s[42:43], vcc
	s_xor_b64 s[42:43], exec, s[42:43]
; %bb.2727:                             ;   in Loop: Header=BB2_2013 Depth=4
	v_or_b32_sdwa v19, v2, s47 dst_sel:DWORD dst_unused:UNUSED_PAD src0_sel:BYTE_3 src1_sel:DWORD
                                        ; implicit-def: $vgpr2
; %bb.2728:                             ;   in Loop: Header=BB2_2013 Depth=4
	s_andn2_saveexec_b64 s[42:43], s[42:43]
; %bb.2729:                             ;   in Loop: Header=BB2_2013 Depth=4
	v_cmp_lt_i32_e32 vcc, -1, v2
	v_cndmask_b32_e32 v19, v6, v22, vcc
; %bb.2730:                             ;   in Loop: Header=BB2_2013 Depth=4
	s_or_b64 exec, exec, s[42:43]
.LBB2_2731:                             ;   in Loop: Header=BB2_2013 Depth=4
	s_or_b64 exec, exec, s[40:41]
	v_lshl_or_b32 v5, v56, 8, v37
	v_lshlrev_b32_e32 v2, 16, v59
	v_lshlrev_b32_e32 v3, 24, v60
	v_or3_b32 v28, v2, v3, v5
	v_cmp_ne_u32_e32 vcc, 0, v37
	v_mov_b32_e32 v2, 0
	s_and_saveexec_b64 s[42:43], vcc
	s_cbranch_execz .LBB2_2739
; %bb.2732:                             ;   in Loop: Header=BB2_2013 Depth=4
	v_cmp_ne_u32_e32 vcc, s96, v37
	v_bfrev_b32_e32 v2, 1
	s_and_saveexec_b64 s[36:37], vcc
	s_cbranch_execz .LBB2_2738
; %bb.2733:                             ;   in Loop: Header=BB2_2013 Depth=4
	v_and_b32_e32 v2, 0x7c, v37
	v_and_b32_e32 v3, 3, v37
	v_cmp_ne_u32_e32 vcc, s85, v2
                                        ; implicit-def: $vgpr2
	s_and_saveexec_b64 s[40:41], vcc
	s_xor_b64 s[40:41], exec, s[40:41]
	s_cbranch_execz .LBB2_2735
; %bb.2734:                             ;   in Loop: Header=BB2_2013 Depth=4
	v_ffbh_u32_e32 v4, v3
	v_min_u32_e32 v4, 32, v4
	v_bfe_u32 v2, v37, 2, 5
	v_subrev_u32_e32 v8, 29, v4
	v_lshlrev_b64 v[8:9], v8, v[28:29]
	v_sub_u32_e32 v4, 30, v4
	v_cmp_eq_u32_e32 vcc, 0, v2
	v_cndmask_b32_e32 v2, v2, v4, vcc
	v_lshlrev_b32_e32 v4, 24, v37
	v_and_b32_e32 v8, 3, v8
	v_and_b32_e32 v4, 0x80000000, v4
	v_cndmask_b32_e32 v3, v3, v8, vcc
	v_lshl_add_u32 v2, v2, 23, v4
	v_lshl_or_b32 v2, v3, 21, v2
	v_add_u32_e32 v2, 0x38000000, v2
                                        ; implicit-def: $vgpr3
                                        ; implicit-def: $vgpr37
.LBB2_2735:                             ;   in Loop: Header=BB2_2013 Depth=4
	s_andn2_saveexec_b64 s[38:39], s[40:41]
; %bb.2736:                             ;   in Loop: Header=BB2_2013 Depth=4
	v_and_b32_e32 v2, 0x80, v37
	v_cmp_eq_u32_e64 s[40:41], 0, v2
	v_cmp_eq_u32_e32 vcc, 0, v3
	v_cndmask_b32_e64 v2, v7, v0, s[40:41]
	v_cndmask_b32_e32 v2, v35, v2, vcc
; %bb.2737:                             ;   in Loop: Header=BB2_2013 Depth=4
	s_or_b64 exec, exec, s[38:39]
.LBB2_2738:                             ;   in Loop: Header=BB2_2013 Depth=4
	s_or_b64 exec, exec, s[36:37]
.LBB2_2739:                             ;   in Loop: Header=BB2_2013 Depth=4
	s_or_b64 exec, exec, s[42:43]
	v_cmp_gt_i16_sdwa s[42:43], v10, s47 src0_sel:BYTE_0 src1_sel:DWORD
	s_mov_b64 s[40:41], 0
	s_and_saveexec_b64 vcc, s[42:43]
	s_xor_b64 s[42:43], exec, vcc
	s_cbranch_execz .LBB2_3002
; %bb.2740:                             ;   in Loop: Header=BB2_2013 Depth=4
	v_cmp_eq_u16_sdwa s[36:37], v10, s96 src0_sel:BYTE_0 src1_sel:DWORD
	s_mov_b64 s[40:41], -1
	s_and_saveexec_b64 vcc, s[36:37]
; %bb.2741:                             ;   in Loop: Header=BB2_2013 Depth=4
	s_xor_b64 s[40:41], exec, -1
; %bb.2742:                             ;   in Loop: Header=BB2_2013 Depth=4
	s_or_b64 exec, exec, vcc
	s_and_b64 s[40:41], s[40:41], exec
	s_or_saveexec_b64 s[42:43], s[42:43]
	v_bfrev_b32_e32 v3, 1
	s_xor_b64 exec, exec, s[42:43]
	s_cbranch_execnz .LBB2_3003
.LBB2_2743:                             ;   in Loop: Header=BB2_2013 Depth=4
	s_or_b64 exec, exec, s[42:43]
	s_and_saveexec_b64 s[36:37], s[40:41]
	s_cbranch_execz .LBB2_2745
.LBB2_2744:                             ;   in Loop: Header=BB2_2013 Depth=4
	v_and_b32_e32 v8, 3, v10
	v_and_b32_e32 v3, 0x7c, v10
	v_cmp_eq_u32_e32 vcc, s85, v3
	v_ffbh_u32_e32 v3, v8
	v_min_u32_e32 v37, 32, v3
	v_subrev_u32_e32 v3, 29, v37
	v_bfe_u32 v9, v10, 2, 5
	v_lshlrev_b64 v[3:4], v3, v[10:11]
	v_cmp_eq_u32_e64 s[40:41], 0, v9
	v_sub_u32_e32 v4, 30, v37
	v_cndmask_b32_e64 v4, v9, v4, s[40:41]
	v_lshlrev_b32_e32 v9, 24, v10
	v_and_b32_e32 v3, 3, v3
	v_and_b32_e32 v9, 0x80000000, v9
	v_cndmask_b32_e64 v3, v8, v3, s[40:41]
	v_lshl_add_u32 v4, v4, 23, v9
	v_cmp_gt_i16_sdwa s[42:43], sext(v10), v48 src0_sel:BYTE_0 src1_sel:DWORD
	v_lshl_or_b32 v3, v3, 21, v4
	v_cmp_eq_u32_e64 s[40:41], 0, v8
	v_cndmask_b32_e64 v4, v7, v0, s[42:43]
	v_add_u32_e32 v3, 0x38000000, v3
	v_cndmask_b32_e64 v4, v35, v4, s[40:41]
	v_cndmask_b32_e32 v3, v3, v4, vcc
.LBB2_2745:                             ;   in Loop: Header=BB2_2013 Depth=4
	s_or_b64 exec, exec, s[36:37]
	v_add_f32_e32 v4, v2, v3
	v_and_b32_e32 v8, 0x7f800000, v4
	v_mov_b32_e32 v9, v29
	v_cmp_ne_u64_e32 vcc, s[76:77], v[8:9]
	v_and_b32_e32 v2, 0x7fffff, v4
	v_mov_b32_e32 v3, v29
                                        ; implicit-def: $vgpr37
	s_and_saveexec_b64 s[40:41], vcc
	s_xor_b64 s[42:43], exec, s[40:41]
	s_cbranch_execz .LBB2_2759
; %bb.2746:                             ;   in Loop: Header=BB2_2013 Depth=4
	v_and_b32_e32 v8, 0x7fffffff, v4
	v_mov_b32_e32 v9, v29
	v_cmp_gt_u64_e32 vcc, s[78:79], v[8:9]
	v_and_b32_sdwa v8, v4, s96 dst_sel:DWORD dst_unused:UNUSED_PAD src0_sel:BYTE_3 src1_sel:DWORD
                                        ; implicit-def: $vgpr37
	s_and_saveexec_b64 s[40:41], vcc
	s_xor_b64 s[36:37], exec, s[40:41]
	s_cbranch_execz .LBB2_2756
; %bb.2747:                             ;   in Loop: Header=BB2_2013 Depth=4
	v_mov_b32_e32 v37, 0
	v_cmp_ne_u32_e32 vcc, 0, v4
	s_and_saveexec_b64 s[38:39], vcc
	s_cbranch_execz .LBB2_2755
; %bb.2748:                             ;   in Loop: Header=BB2_2013 Depth=4
	v_bfe_u32 v9, v4, 23, 8
	v_cmp_gt_u32_e64 s[40:41], s46, v9
	v_sub_u32_e32 v4, 0x71, v9
	v_cmp_eq_u32_e32 vcc, 0, v9
	v_cndmask_b32_e64 v4, 0, v4, s[40:41]
	v_mov_b32_e32 v37, 0x70
	v_cndmask_b32_e32 v37, v4, v37, vcc
	v_or_b32_e32 v38, 0x800000, v2
	v_add_u32_e32 v4, 21, v37
	v_cndmask_b32_e32 v2, v38, v2, vcc
	v_lshlrev_b64 v[38:39], v4, -1
	v_add_u32_e32 v4, 20, v37
	v_bfi_b32 v38, v38, 0, v2
	v_lshlrev_b64 v[40:41], v4, 1
	v_lshrrev_b64 v[2:3], v37, v[2:3]
	v_bfi_b32 v39, v39, 0, 0
	v_cmp_eq_u64_e64 s[40:41], v[38:39], v[40:41]
	v_mov_b32_e32 v4, v3
	v_mov_b32_e32 v3, v2
	s_and_saveexec_b64 s[48:49], s[40:41]
; %bb.2749:                             ;   in Loop: Header=BB2_2013 Depth=4
	v_bfe_u32 v3, v2, 21, 1
	v_add_co_u32_e64 v3, s[40:41], v2, v3
	v_add_co_u32_e64 v3, s[40:41], -1, v3
; %bb.2750:                             ;   in Loop: Header=BB2_2013 Depth=4
	s_or_b64 exec, exec, s[48:49]
	v_add_u32_e32 v4, 0xffffff81, v9
	v_cndmask_b32_e32 v4, v4, v1, vcc
	v_lshrrev_b32_e32 v9, 23, v2
	v_add3_u32 v37, v37, v4, v9
	v_add_u32_e32 v9, 14, v37
	v_and_b32_e32 v3, 0x1fffff, v3
	v_add_u32_e32 v2, v3, v2
	v_mov_b32_e32 v3, v29
	v_cmp_ne_u32_e32 vcc, 0, v9
                                        ; implicit-def: $vgpr4
	s_and_saveexec_b64 s[40:41], vcc
	s_xor_b64 s[40:41], exec, s[40:41]
; %bb.2751:                             ;   in Loop: Header=BB2_2013 Depth=4
	v_cmp_lt_u64_e32 vcc, s[88:89], v[2:3]
	v_add_u32_e32 v4, 15, v37
	v_cndmask_b32_e32 v4, v9, v4, vcc
	v_cndmask_b32_e64 v9, 0, 1, vcc
	v_lshrrev_b64 v[2:3], v9, v[2:3]
; %bb.2752:                             ;   in Loop: Header=BB2_2013 Depth=4
	s_andn2_saveexec_b64 s[40:41], s[40:41]
; %bb.2753:                             ;   in Loop: Header=BB2_2013 Depth=4
	v_bfe_u32 v4, v2, 23, 1
; %bb.2754:                             ;   in Loop: Header=BB2_2013 Depth=4
	s_or_b64 exec, exec, s[40:41]
	v_lshrrev_b64 v[2:3], 21, v[2:3]
	v_cmp_gt_i32_e32 vcc, 32, v4
	v_cndmask_b32_e32 v3, 0, v3, vcc
	v_cndmask_b32_e32 v2, 3, v2, vcc
	v_cmp_eq_u64_e64 s[40:41], 0, v[2:3]
	v_min_i32_e32 v3, 31, v4
	v_lshlrev_b32_e32 v3, 2, v3
	v_cmp_eq_u32_e32 vcc, 0, v4
	v_and_b32_e32 v3, 0xfc, v3
	v_and_or_b32 v2, v2, 3, v3
	s_and_b64 s[40:41], vcc, s[40:41]
	v_cndmask_b32_e64 v2, v2, 0, s[40:41]
	v_or_b32_e32 v37, v2, v8
.LBB2_2755:                             ;   in Loop: Header=BB2_2013 Depth=4
	s_or_b64 exec, exec, s[38:39]
                                        ; implicit-def: $vgpr8
.LBB2_2756:                             ;   in Loop: Header=BB2_2013 Depth=4
	s_andn2_saveexec_b64 s[40:41], s[36:37]
; %bb.2757:                             ;   in Loop: Header=BB2_2013 Depth=4
	v_or_b32_e32 v37, 0x7b, v8
; %bb.2758:                             ;   in Loop: Header=BB2_2013 Depth=4
	s_or_b64 exec, exec, s[40:41]
                                        ; implicit-def: $vgpr4
                                        ; implicit-def: $vgpr2_vgpr3
.LBB2_2759:                             ;   in Loop: Header=BB2_2013 Depth=4
	s_andn2_saveexec_b64 s[40:41], s[42:43]
	s_cbranch_execz .LBB2_2765
; %bb.2760:                             ;   in Loop: Header=BB2_2013 Depth=4
	v_cmp_ne_u64_e32 vcc, 0, v[2:3]
                                        ; implicit-def: $vgpr37
	s_and_saveexec_b64 s[42:43], vcc
	s_xor_b64 s[42:43], exec, s[42:43]
; %bb.2761:                             ;   in Loop: Header=BB2_2013 Depth=4
	v_or_b32_sdwa v37, v4, s47 dst_sel:DWORD dst_unused:UNUSED_PAD src0_sel:BYTE_3 src1_sel:DWORD
                                        ; implicit-def: $vgpr4
; %bb.2762:                             ;   in Loop: Header=BB2_2013 Depth=4
	s_andn2_saveexec_b64 s[42:43], s[42:43]
; %bb.2763:                             ;   in Loop: Header=BB2_2013 Depth=4
	v_cmp_lt_i32_e32 vcc, -1, v4
	v_cndmask_b32_e32 v37, v6, v22, vcc
; %bb.2764:                             ;   in Loop: Header=BB2_2013 Depth=4
	s_or_b64 exec, exec, s[42:43]
.LBB2_2765:                             ;   in Loop: Header=BB2_2013 Depth=4
	s_or_b64 exec, exec, s[40:41]
	v_lshrrev_b16_e32 v2, 8, v5
	v_cmp_ne_u16_e32 vcc, 0, v2
	v_mov_b32_e32 v4, 0
	s_and_saveexec_b64 s[40:41], vcc
	s_cbranch_execz .LBB2_2773
; %bb.2766:                             ;   in Loop: Header=BB2_2013 Depth=4
	v_cmp_ne_u16_e32 vcc, s96, v2
	v_bfrev_b32_e32 v4, 1
	s_and_saveexec_b64 s[42:43], vcc
	s_cbranch_execz .LBB2_2772
; %bb.2767:                             ;   in Loop: Header=BB2_2013 Depth=4
	v_and_b32_e32 v3, 0x7c, v2
	v_and_b32_e32 v8, 3, v2
	v_cmp_ne_u32_e32 vcc, s85, v3
                                        ; implicit-def: $vgpr4
	s_and_saveexec_b64 s[36:37], vcc
	s_xor_b64 s[36:37], exec, s[36:37]
	s_cbranch_execz .LBB2_2769
; %bb.2768:                             ;   in Loop: Header=BB2_2013 Depth=4
	v_ffbh_u32_e32 v9, v8
	v_min_u32_e32 v9, 32, v9
	v_mov_b32_e32 v3, v29
	v_subrev_u32_e32 v38, 29, v9
	v_bfe_u32 v4, v2, 2, 5
	v_lshlrev_b64 v[2:3], v38, v[2:3]
	v_sub_u32_e32 v3, 30, v9
	v_cmp_eq_u32_e32 vcc, 0, v4
	v_cndmask_b32_e32 v3, v4, v3, vcc
	v_lshlrev_b32_e32 v4, 16, v5
	v_and_b32_e32 v2, 3, v2
	v_and_b32_e32 v4, 0x80000000, v4
	v_cndmask_b32_e32 v2, v8, v2, vcc
	v_lshl_add_u32 v3, v3, 23, v4
	v_lshl_or_b32 v2, v2, 21, v3
	v_add_u32_e32 v4, 0x38000000, v2
                                        ; implicit-def: $vgpr8
                                        ; implicit-def: $vgpr5
.LBB2_2769:                             ;   in Loop: Header=BB2_2013 Depth=4
	s_andn2_saveexec_b64 s[36:37], s[36:37]
; %bb.2770:                             ;   in Loop: Header=BB2_2013 Depth=4
	v_cmp_lt_i16_e32 vcc, -1, v5
	v_cndmask_b32_e32 v2, v7, v0, vcc
	v_cmp_eq_u32_e32 vcc, 0, v8
	v_cndmask_b32_e32 v4, v35, v2, vcc
; %bb.2771:                             ;   in Loop: Header=BB2_2013 Depth=4
	s_or_b64 exec, exec, s[36:37]
.LBB2_2772:                             ;   in Loop: Header=BB2_2013 Depth=4
	s_or_b64 exec, exec, s[42:43]
.LBB2_2773:                             ;   in Loop: Header=BB2_2013 Depth=4
	s_or_b64 exec, exec, s[40:41]
	v_lshrrev_b16_e32 v2, 8, v10
	v_cmp_lt_i16_e32 vcc, s47, v2
	s_mov_b64 s[40:41], 0
	s_and_saveexec_b64 s[42:43], vcc
	s_xor_b64 s[42:43], exec, s[42:43]
	s_cbranch_execz .LBB2_3004
; %bb.2774:                             ;   in Loop: Header=BB2_2013 Depth=4
	v_cmp_eq_u16_e32 vcc, s96, v2
	s_mov_b64 s[40:41], -1
	s_and_saveexec_b64 s[36:37], vcc
; %bb.2775:                             ;   in Loop: Header=BB2_2013 Depth=4
	s_xor_b64 s[40:41], exec, -1
; %bb.2776:                             ;   in Loop: Header=BB2_2013 Depth=4
	s_or_b64 exec, exec, s[36:37]
	s_and_b64 s[40:41], s[40:41], exec
	s_or_saveexec_b64 s[42:43], s[42:43]
	v_bfrev_b32_e32 v3, 1
	s_xor_b64 exec, exec, s[42:43]
	s_cbranch_execnz .LBB2_3005
.LBB2_2777:                             ;   in Loop: Header=BB2_2013 Depth=4
	s_or_b64 exec, exec, s[42:43]
	s_and_saveexec_b64 s[36:37], s[40:41]
	s_cbranch_execz .LBB2_2779
.LBB2_2778:                             ;   in Loop: Header=BB2_2013 Depth=4
	v_and_b32_e32 v5, 3, v2
	v_and_b32_e32 v8, 0x7c, v2
	v_cmp_eq_u32_e32 vcc, s85, v8
	v_ffbh_u32_e32 v8, v5
	v_min_u32_e32 v39, 32, v8
	v_mov_b32_e32 v3, v29
	v_subrev_u32_e32 v8, 29, v39
	v_bfe_u32 v38, v2, 2, 5
	v_lshlrev_b64 v[8:9], v8, v[2:3]
	v_cmp_eq_u32_e64 s[40:41], 0, v38
	v_sub_u32_e32 v3, 30, v39
	v_lshlrev_b32_e32 v2, 24, v2
	v_and_b32_e32 v8, 3, v8
	v_cndmask_b32_e64 v3, v38, v3, s[40:41]
	v_and_b32_e32 v2, 0x80000000, v2
	v_cndmask_b32_e64 v8, v5, v8, s[40:41]
	v_lshl_add_u32 v2, v3, 23, v2
	v_cmp_lt_i16_e64 s[42:43], -1, v10
	v_lshl_or_b32 v2, v8, 21, v2
	v_cmp_eq_u32_e64 s[40:41], 0, v5
	v_cndmask_b32_e64 v3, v7, v0, s[42:43]
	v_add_u32_e32 v2, 0x38000000, v2
	v_cndmask_b32_e64 v3, v35, v3, s[40:41]
	v_cndmask_b32_e32 v3, v2, v3, vcc
.LBB2_2779:                             ;   in Loop: Header=BB2_2013 Depth=4
	s_or_b64 exec, exec, s[36:37]
	v_add_f32_e32 v4, v4, v3
	v_and_b32_e32 v8, 0x7f800000, v4
	v_mov_b32_e32 v9, v29
	v_cmp_ne_u64_e32 vcc, s[76:77], v[8:9]
	v_and_b32_e32 v2, 0x7fffff, v4
	v_mov_b32_e32 v3, v29
                                        ; implicit-def: $vgpr56
	s_and_saveexec_b64 s[40:41], vcc
	s_xor_b64 s[42:43], exec, s[40:41]
	s_cbranch_execz .LBB2_2793
; %bb.2780:                             ;   in Loop: Header=BB2_2013 Depth=4
	v_and_b32_e32 v8, 0x7fffffff, v4
	v_mov_b32_e32 v9, v29
	v_cmp_gt_u64_e32 vcc, s[78:79], v[8:9]
	v_and_b32_sdwa v5, v4, s96 dst_sel:DWORD dst_unused:UNUSED_PAD src0_sel:BYTE_3 src1_sel:DWORD
                                        ; implicit-def: $vgpr56
	s_and_saveexec_b64 s[40:41], vcc
	s_xor_b64 s[36:37], exec, s[40:41]
	s_cbranch_execz .LBB2_2790
; %bb.2781:                             ;   in Loop: Header=BB2_2013 Depth=4
	v_mov_b32_e32 v56, 0
	v_cmp_ne_u32_e32 vcc, 0, v4
	s_and_saveexec_b64 s[38:39], vcc
	s_cbranch_execz .LBB2_2789
; %bb.2782:                             ;   in Loop: Header=BB2_2013 Depth=4
	v_bfe_u32 v8, v4, 23, 8
	v_cmp_gt_u32_e64 s[40:41], s46, v8
	v_sub_u32_e32 v4, 0x71, v8
	v_cmp_eq_u32_e32 vcc, 0, v8
	v_cndmask_b32_e64 v4, 0, v4, s[40:41]
	v_mov_b32_e32 v9, 0x70
	v_cndmask_b32_e32 v9, v4, v9, vcc
	v_or_b32_e32 v38, 0x800000, v2
	v_add_u32_e32 v4, 21, v9
	v_cndmask_b32_e32 v2, v38, v2, vcc
	v_lshlrev_b64 v[38:39], v4, -1
	v_add_u32_e32 v4, 20, v9
	v_bfi_b32 v38, v38, 0, v2
	v_lshlrev_b64 v[40:41], v4, 1
	v_lshrrev_b64 v[2:3], v9, v[2:3]
	v_bfi_b32 v39, v39, 0, 0
	v_cmp_eq_u64_e64 s[40:41], v[38:39], v[40:41]
	v_mov_b32_e32 v4, v3
	v_mov_b32_e32 v3, v2
	s_and_saveexec_b64 s[48:49], s[40:41]
; %bb.2783:                             ;   in Loop: Header=BB2_2013 Depth=4
	v_bfe_u32 v3, v2, 21, 1
	v_add_co_u32_e64 v3, s[40:41], v2, v3
	v_add_co_u32_e64 v3, s[40:41], -1, v3
; %bb.2784:                             ;   in Loop: Header=BB2_2013 Depth=4
	s_or_b64 exec, exec, s[48:49]
	v_add_u32_e32 v4, 0xffffff81, v8
	v_cndmask_b32_e32 v4, v4, v1, vcc
	v_lshrrev_b32_e32 v8, 23, v2
	v_add3_u32 v9, v9, v4, v8
	v_add_u32_e32 v8, 14, v9
	v_and_b32_e32 v3, 0x1fffff, v3
	v_add_u32_e32 v2, v3, v2
	v_mov_b32_e32 v3, v29
	v_cmp_ne_u32_e32 vcc, 0, v8
                                        ; implicit-def: $vgpr4
	s_and_saveexec_b64 s[40:41], vcc
	s_xor_b64 s[40:41], exec, s[40:41]
; %bb.2785:                             ;   in Loop: Header=BB2_2013 Depth=4
	v_cmp_lt_u64_e32 vcc, s[88:89], v[2:3]
	v_add_u32_e32 v4, 15, v9
	v_cndmask_b32_e32 v4, v8, v4, vcc
	v_cndmask_b32_e64 v8, 0, 1, vcc
	v_lshrrev_b64 v[2:3], v8, v[2:3]
; %bb.2786:                             ;   in Loop: Header=BB2_2013 Depth=4
	s_andn2_saveexec_b64 s[40:41], s[40:41]
; %bb.2787:                             ;   in Loop: Header=BB2_2013 Depth=4
	v_bfe_u32 v4, v2, 23, 1
; %bb.2788:                             ;   in Loop: Header=BB2_2013 Depth=4
	s_or_b64 exec, exec, s[40:41]
	v_lshrrev_b64 v[2:3], 21, v[2:3]
	v_cmp_gt_i32_e32 vcc, 32, v4
	v_cndmask_b32_e32 v3, 0, v3, vcc
	v_cndmask_b32_e32 v2, 3, v2, vcc
	v_cmp_eq_u64_e64 s[40:41], 0, v[2:3]
	v_min_i32_e32 v3, 31, v4
	v_lshlrev_b32_e32 v3, 2, v3
	v_cmp_eq_u32_e32 vcc, 0, v4
	v_and_b32_e32 v3, 0xfc, v3
	v_and_or_b32 v2, v2, 3, v3
	s_and_b64 s[40:41], vcc, s[40:41]
	v_cndmask_b32_e64 v2, v2, 0, s[40:41]
	v_or_b32_e32 v56, v2, v5
.LBB2_2789:                             ;   in Loop: Header=BB2_2013 Depth=4
	s_or_b64 exec, exec, s[38:39]
                                        ; implicit-def: $vgpr5
.LBB2_2790:                             ;   in Loop: Header=BB2_2013 Depth=4
	s_andn2_saveexec_b64 s[40:41], s[36:37]
; %bb.2791:                             ;   in Loop: Header=BB2_2013 Depth=4
	v_or_b32_e32 v56, 0x7b, v5
; %bb.2792:                             ;   in Loop: Header=BB2_2013 Depth=4
	s_or_b64 exec, exec, s[40:41]
                                        ; implicit-def: $vgpr4
                                        ; implicit-def: $vgpr2_vgpr3
.LBB2_2793:                             ;   in Loop: Header=BB2_2013 Depth=4
	s_andn2_saveexec_b64 s[40:41], s[42:43]
	s_cbranch_execz .LBB2_2799
; %bb.2794:                             ;   in Loop: Header=BB2_2013 Depth=4
	v_cmp_ne_u64_e32 vcc, 0, v[2:3]
                                        ; implicit-def: $vgpr56
	s_and_saveexec_b64 s[42:43], vcc
	s_xor_b64 s[42:43], exec, s[42:43]
; %bb.2795:                             ;   in Loop: Header=BB2_2013 Depth=4
	v_or_b32_sdwa v56, v4, s47 dst_sel:DWORD dst_unused:UNUSED_PAD src0_sel:BYTE_3 src1_sel:DWORD
                                        ; implicit-def: $vgpr4
; %bb.2796:                             ;   in Loop: Header=BB2_2013 Depth=4
	s_andn2_saveexec_b64 s[42:43], s[42:43]
; %bb.2797:                             ;   in Loop: Header=BB2_2013 Depth=4
	v_cmp_lt_i32_e32 vcc, -1, v4
	v_cndmask_b32_e32 v56, v6, v22, vcc
; %bb.2798:                             ;   in Loop: Header=BB2_2013 Depth=4
	s_or_b64 exec, exec, s[42:43]
.LBB2_2799:                             ;   in Loop: Header=BB2_2013 Depth=4
	s_or_b64 exec, exec, s[40:41]
	v_and_b32_sdwa v4, v28, s87 dst_sel:DWORD dst_unused:UNUSED_PAD src0_sel:WORD_1 src1_sel:DWORD
	v_lshrrev_b32_e32 v2, 16, v28
	v_cmp_ne_u16_e32 vcc, 0, v4
	v_mov_b32_e32 v3, 0
	s_and_saveexec_b64 s[40:41], vcc
	s_cbranch_execz .LBB2_2807
; %bb.2800:                             ;   in Loop: Header=BB2_2013 Depth=4
	v_cmp_ne_u16_e32 vcc, s96, v4
	v_bfrev_b32_e32 v3, 1
	s_and_saveexec_b64 s[42:43], vcc
	s_cbranch_execz .LBB2_2806
; %bb.2801:                             ;   in Loop: Header=BB2_2013 Depth=4
	v_and_b32_e32 v3, 0x7c0000, v28
	v_bfe_u32 v4, v28, 16, 2
	v_cmp_ne_u32_e32 vcc, s44, v3
                                        ; implicit-def: $vgpr3
	s_and_saveexec_b64 s[36:37], vcc
	s_xor_b64 s[36:37], exec, s[36:37]
	s_cbranch_execz .LBB2_2803
; %bb.2802:                             ;   in Loop: Header=BB2_2013 Depth=4
	v_ffbh_u32_e32 v3, v4
	v_min_u32_e32 v8, 32, v3
	v_subrev_u32_e32 v3, 29, v8
	v_lshlrev_b64 v[2:3], v3, v[2:3]
	v_bfe_u32 v5, v28, 18, 5
	v_and_b32_e32 v2, 3, v2
	v_cmp_eq_u32_e32 vcc, 0, v5
	v_sub_u32_e32 v3, 30, v8
	v_cndmask_b32_e32 v2, v4, v2, vcc
	v_lshlrev_b32_e32 v4, 8, v28
	v_cndmask_b32_e32 v3, v5, v3, vcc
	v_and_b32_e32 v4, 0x80000000, v4
	v_lshl_add_u32 v3, v3, 23, v4
	v_lshl_or_b32 v2, v2, 21, v3
	v_add_u32_e32 v3, 0x38000000, v2
                                        ; implicit-def: $vgpr4
                                        ; implicit-def: $vgpr2
.LBB2_2803:                             ;   in Loop: Header=BB2_2013 Depth=4
	s_andn2_saveexec_b64 s[36:37], s[36:37]
; %bb.2804:                             ;   in Loop: Header=BB2_2013 Depth=4
	v_cmp_gt_i16_sdwa vcc, sext(v2), v48 src0_sel:BYTE_0 src1_sel:DWORD
	v_cndmask_b32_e32 v2, v7, v0, vcc
	v_cmp_eq_u32_e32 vcc, 0, v4
	v_cndmask_b32_e32 v3, v35, v2, vcc
; %bb.2805:                             ;   in Loop: Header=BB2_2013 Depth=4
	s_or_b64 exec, exec, s[36:37]
.LBB2_2806:                             ;   in Loop: Header=BB2_2013 Depth=4
	s_or_b64 exec, exec, s[42:43]
.LBB2_2807:                             ;   in Loop: Header=BB2_2013 Depth=4
	s_or_b64 exec, exec, s[40:41]
	v_lshrrev_b32_e32 v2, 16, v10
	v_cmp_gt_i16_sdwa s[42:43], v2, s47 src0_sel:BYTE_0 src1_sel:DWORD
	s_mov_b64 s[40:41], 0
	s_and_saveexec_b64 vcc, s[42:43]
	s_xor_b64 s[42:43], exec, vcc
	s_cbranch_execz .LBB2_3006
; %bb.2808:                             ;   in Loop: Header=BB2_2013 Depth=4
	v_cmp_eq_u16_sdwa s[36:37], v2, s96 src0_sel:BYTE_0 src1_sel:DWORD
	s_mov_b64 s[40:41], -1
	s_and_saveexec_b64 vcc, s[36:37]
; %bb.2809:                             ;   in Loop: Header=BB2_2013 Depth=4
	s_xor_b64 s[40:41], exec, -1
; %bb.2810:                             ;   in Loop: Header=BB2_2013 Depth=4
	s_or_b64 exec, exec, vcc
	s_and_b64 s[40:41], s[40:41], exec
	s_or_saveexec_b64 s[42:43], s[42:43]
	v_bfrev_b32_e32 v4, 1
	s_xor_b64 exec, exec, s[42:43]
	s_cbranch_execnz .LBB2_3007
.LBB2_2811:                             ;   in Loop: Header=BB2_2013 Depth=4
	s_or_b64 exec, exec, s[42:43]
	s_and_saveexec_b64 s[36:37], s[40:41]
	s_cbranch_execz .LBB2_2813
.LBB2_2812:                             ;   in Loop: Header=BB2_2013 Depth=4
	v_and_b32_e32 v8, 3, v2
	v_and_b32_e32 v4, 0x7c0000, v10
	v_cmp_eq_u32_e32 vcc, s44, v4
	v_ffbh_u32_e32 v4, v8
	v_min_u32_e32 v38, 32, v4
	v_subrev_u32_e32 v4, 29, v38
	v_bfe_u32 v9, v10, 18, 5
	v_lshlrev_b64 v[4:5], v4, v[2:3]
	v_cmp_eq_u32_e64 s[40:41], 0, v9
	v_sub_u32_e32 v5, 30, v38
	v_cndmask_b32_e64 v5, v9, v5, s[40:41]
	v_lshlrev_b32_e32 v9, 24, v2
	v_and_b32_e32 v4, 3, v4
	v_and_b32_e32 v9, 0x80000000, v9
	v_cndmask_b32_e64 v4, v8, v4, s[40:41]
	v_lshl_add_u32 v5, v5, 23, v9
	v_cmp_gt_i16_sdwa s[42:43], sext(v2), v48 src0_sel:BYTE_0 src1_sel:DWORD
	v_lshl_or_b32 v4, v4, 21, v5
	v_cmp_eq_u32_e64 s[40:41], 0, v8
	v_cndmask_b32_e64 v2, v7, v0, s[42:43]
	v_add_u32_e32 v4, 0x38000000, v4
	v_cndmask_b32_e64 v2, v35, v2, s[40:41]
	v_cndmask_b32_e32 v4, v4, v2, vcc
.LBB2_2813:                             ;   in Loop: Header=BB2_2013 Depth=4
	s_or_b64 exec, exec, s[36:37]
	v_add_f32_e32 v4, v3, v4
	v_and_b32_e32 v8, 0x7f800000, v4
	v_mov_b32_e32 v9, v29
	v_cmp_ne_u64_e32 vcc, s[76:77], v[8:9]
	v_and_b32_e32 v2, 0x7fffff, v4
	v_mov_b32_e32 v3, v29
                                        ; implicit-def: $vgpr59
	s_and_saveexec_b64 s[40:41], vcc
	s_xor_b64 s[42:43], exec, s[40:41]
	s_cbranch_execz .LBB2_2827
; %bb.2814:                             ;   in Loop: Header=BB2_2013 Depth=4
	v_and_b32_e32 v8, 0x7fffffff, v4
	v_mov_b32_e32 v9, v29
	v_cmp_gt_u64_e32 vcc, s[78:79], v[8:9]
	v_and_b32_sdwa v5, v4, s96 dst_sel:DWORD dst_unused:UNUSED_PAD src0_sel:BYTE_3 src1_sel:DWORD
                                        ; implicit-def: $vgpr59
	s_and_saveexec_b64 s[40:41], vcc
	s_xor_b64 s[36:37], exec, s[40:41]
	s_cbranch_execz .LBB2_2824
; %bb.2815:                             ;   in Loop: Header=BB2_2013 Depth=4
	v_mov_b32_e32 v59, 0
	v_cmp_ne_u32_e32 vcc, 0, v4
	s_and_saveexec_b64 s[38:39], vcc
	s_cbranch_execz .LBB2_2823
; %bb.2816:                             ;   in Loop: Header=BB2_2013 Depth=4
	v_bfe_u32 v8, v4, 23, 8
	v_cmp_gt_u32_e64 s[40:41], s46, v8
	v_sub_u32_e32 v4, 0x71, v8
	v_cmp_eq_u32_e32 vcc, 0, v8
	v_cndmask_b32_e64 v4, 0, v4, s[40:41]
	v_mov_b32_e32 v9, 0x70
	v_cndmask_b32_e32 v9, v4, v9, vcc
	v_or_b32_e32 v38, 0x800000, v2
	v_add_u32_e32 v4, 21, v9
	v_cndmask_b32_e32 v2, v38, v2, vcc
	v_lshlrev_b64 v[38:39], v4, -1
	v_add_u32_e32 v4, 20, v9
	v_bfi_b32 v38, v38, 0, v2
	v_lshlrev_b64 v[40:41], v4, 1
	v_lshrrev_b64 v[2:3], v9, v[2:3]
	v_bfi_b32 v39, v39, 0, 0
	v_cmp_eq_u64_e64 s[40:41], v[38:39], v[40:41]
	v_mov_b32_e32 v4, v3
	v_mov_b32_e32 v3, v2
	s_and_saveexec_b64 s[48:49], s[40:41]
; %bb.2817:                             ;   in Loop: Header=BB2_2013 Depth=4
	v_bfe_u32 v3, v2, 21, 1
	v_add_co_u32_e64 v3, s[40:41], v2, v3
	v_add_co_u32_e64 v3, s[40:41], -1, v3
; %bb.2818:                             ;   in Loop: Header=BB2_2013 Depth=4
	s_or_b64 exec, exec, s[48:49]
	v_add_u32_e32 v4, 0xffffff81, v8
	v_cndmask_b32_e32 v4, v4, v1, vcc
	v_lshrrev_b32_e32 v8, 23, v2
	v_add3_u32 v9, v9, v4, v8
	v_add_u32_e32 v8, 14, v9
	v_and_b32_e32 v3, 0x1fffff, v3
	v_add_u32_e32 v2, v3, v2
	v_mov_b32_e32 v3, v29
	v_cmp_ne_u32_e32 vcc, 0, v8
                                        ; implicit-def: $vgpr4
	s_and_saveexec_b64 s[40:41], vcc
	s_xor_b64 s[40:41], exec, s[40:41]
; %bb.2819:                             ;   in Loop: Header=BB2_2013 Depth=4
	v_cmp_lt_u64_e32 vcc, s[88:89], v[2:3]
	v_add_u32_e32 v4, 15, v9
	v_cndmask_b32_e32 v4, v8, v4, vcc
	v_cndmask_b32_e64 v8, 0, 1, vcc
	v_lshrrev_b64 v[2:3], v8, v[2:3]
; %bb.2820:                             ;   in Loop: Header=BB2_2013 Depth=4
	s_andn2_saveexec_b64 s[40:41], s[40:41]
; %bb.2821:                             ;   in Loop: Header=BB2_2013 Depth=4
	v_bfe_u32 v4, v2, 23, 1
; %bb.2822:                             ;   in Loop: Header=BB2_2013 Depth=4
	s_or_b64 exec, exec, s[40:41]
	v_lshrrev_b64 v[2:3], 21, v[2:3]
	v_cmp_gt_i32_e32 vcc, 32, v4
	v_cndmask_b32_e32 v3, 0, v3, vcc
	v_cndmask_b32_e32 v2, 3, v2, vcc
	v_cmp_eq_u64_e64 s[40:41], 0, v[2:3]
	v_min_i32_e32 v3, 31, v4
	v_lshlrev_b32_e32 v3, 2, v3
	v_cmp_eq_u32_e32 vcc, 0, v4
	v_and_b32_e32 v3, 0xfc, v3
	v_and_or_b32 v2, v2, 3, v3
	s_and_b64 s[40:41], vcc, s[40:41]
	v_cndmask_b32_e64 v2, v2, 0, s[40:41]
	v_or_b32_e32 v59, v2, v5
.LBB2_2823:                             ;   in Loop: Header=BB2_2013 Depth=4
	s_or_b64 exec, exec, s[38:39]
                                        ; implicit-def: $vgpr5
.LBB2_2824:                             ;   in Loop: Header=BB2_2013 Depth=4
	s_andn2_saveexec_b64 s[40:41], s[36:37]
; %bb.2825:                             ;   in Loop: Header=BB2_2013 Depth=4
	v_or_b32_e32 v59, 0x7b, v5
; %bb.2826:                             ;   in Loop: Header=BB2_2013 Depth=4
	s_or_b64 exec, exec, s[40:41]
                                        ; implicit-def: $vgpr4
                                        ; implicit-def: $vgpr2_vgpr3
.LBB2_2827:                             ;   in Loop: Header=BB2_2013 Depth=4
	s_andn2_saveexec_b64 s[40:41], s[42:43]
	s_cbranch_execz .LBB2_2833
; %bb.2828:                             ;   in Loop: Header=BB2_2013 Depth=4
	v_cmp_ne_u64_e32 vcc, 0, v[2:3]
                                        ; implicit-def: $vgpr59
	s_and_saveexec_b64 s[42:43], vcc
	s_xor_b64 s[42:43], exec, s[42:43]
; %bb.2829:                             ;   in Loop: Header=BB2_2013 Depth=4
	v_or_b32_sdwa v59, v4, s47 dst_sel:DWORD dst_unused:UNUSED_PAD src0_sel:BYTE_3 src1_sel:DWORD
                                        ; implicit-def: $vgpr4
; %bb.2830:                             ;   in Loop: Header=BB2_2013 Depth=4
	s_andn2_saveexec_b64 s[42:43], s[42:43]
; %bb.2831:                             ;   in Loop: Header=BB2_2013 Depth=4
	v_cmp_lt_i32_e32 vcc, -1, v4
	v_cndmask_b32_e32 v59, v6, v22, vcc
; %bb.2832:                             ;   in Loop: Header=BB2_2013 Depth=4
	s_or_b64 exec, exec, s[42:43]
.LBB2_2833:                             ;   in Loop: Header=BB2_2013 Depth=4
	s_or_b64 exec, exec, s[40:41]
	v_cmp_lt_u32_e32 vcc, s57, v28
	v_mov_b32_e32 v3, 0
	s_and_saveexec_b64 s[40:41], vcc
	s_cbranch_execz .LBB2_2841
; %bb.2834:                             ;   in Loop: Header=BB2_2013 Depth=4
	v_lshrrev_b32_e32 v2, 24, v28
	v_cmp_ne_u32_e32 vcc, s96, v2
	v_bfrev_b32_e32 v3, 1
	s_and_saveexec_b64 s[42:43], vcc
	s_cbranch_execz .LBB2_2840
; %bb.2835:                             ;   in Loop: Header=BB2_2013 Depth=4
	v_and_b32_e32 v3, 0x7c000000, v28
	v_bfe_u32 v4, v28, 24, 2
	v_cmp_ne_u32_e32 vcc, s45, v3
                                        ; implicit-def: $vgpr3
	s_and_saveexec_b64 s[36:37], vcc
	s_xor_b64 s[36:37], exec, s[36:37]
	s_cbranch_execz .LBB2_2837
; %bb.2836:                             ;   in Loop: Header=BB2_2013 Depth=4
	v_ffbh_u32_e32 v3, v4
	v_min_u32_e32 v8, 32, v3
	v_subrev_u32_e32 v3, 29, v8
	v_lshlrev_b64 v[2:3], v3, v[2:3]
	v_bfe_u32 v5, v28, 26, 5
	v_sub_u32_e32 v3, 30, v8
	v_and_b32_e32 v2, 3, v2
	v_cmp_eq_u32_e32 vcc, 0, v5
	v_cndmask_b32_e32 v3, v5, v3, vcc
	v_cndmask_b32_e32 v2, v4, v2, vcc
	v_and_b32_e32 v4, 0x80000000, v28
	v_lshl_add_u32 v3, v3, 23, v4
	v_lshl_or_b32 v2, v2, 21, v3
	v_add_u32_e32 v3, 0x38000000, v2
                                        ; implicit-def: $vgpr4
.LBB2_2837:                             ;   in Loop: Header=BB2_2013 Depth=4
	s_andn2_saveexec_b64 s[36:37], s[36:37]
; %bb.2838:                             ;   in Loop: Header=BB2_2013 Depth=4
	v_cmp_lt_i32_e32 vcc, -1, v28
	v_cndmask_b32_e32 v2, v7, v0, vcc
	v_cmp_eq_u32_e32 vcc, 0, v4
	v_cndmask_b32_e32 v3, v35, v2, vcc
; %bb.2839:                             ;   in Loop: Header=BB2_2013 Depth=4
	s_or_b64 exec, exec, s[36:37]
.LBB2_2840:                             ;   in Loop: Header=BB2_2013 Depth=4
	s_or_b64 exec, exec, s[42:43]
.LBB2_2841:                             ;   in Loop: Header=BB2_2013 Depth=4
	s_or_b64 exec, exec, s[40:41]
	v_bfe_u32 v8, v10, 24, 2
	v_and_b32_e32 v4, 0x7c000000, v10
	v_cmp_eq_u32_e32 vcc, s45, v4
	v_ffbh_u32_e32 v4, v8
	v_min_u32_e32 v28, 32, v4
	v_lshrrev_b32_e32 v2, 24, v10
	v_subrev_u32_e32 v4, 29, v28
	v_bfe_u32 v9, v10, 26, 5
	v_lshlrev_b64 v[4:5], v4, v[2:3]
	v_cmp_eq_u32_e64 s[40:41], 0, v9
	v_sub_u32_e32 v5, 30, v28
	v_and_b32_e32 v4, 3, v4
	v_cndmask_b32_e64 v5, v9, v5, s[40:41]
	v_and_b32_e32 v9, 0x80000000, v10
	v_cndmask_b32_e64 v4, v8, v4, s[40:41]
	v_lshl_add_u32 v5, v5, 23, v9
	v_cmp_lt_i32_e64 s[42:43], -1, v10
	v_lshl_or_b32 v4, v4, 21, v5
	v_cmp_eq_u32_e64 s[40:41], 0, v8
	v_cndmask_b32_e64 v5, v7, v0, s[42:43]
	v_add_u32_e32 v4, 0x38000000, v4
	v_cndmask_b32_e64 v5, v35, v5, s[40:41]
	v_cndmask_b32_e32 v4, v4, v5, vcc
	v_cmp_ne_u32_e32 vcc, s96, v2
	v_bfrev_b32_e32 v2, 1
	v_cndmask_b32_e32 v2, v2, v4, vcc
	v_cmp_lt_u32_e32 vcc, s57, v10
	v_cndmask_b32_e32 v2, 0, v2, vcc
	v_add_f32_e32 v2, v2, v3
	v_and_b32_e32 v3, 0x7f800000, v2
	v_mov_b32_e32 v4, v29
	v_cmp_ne_u64_e32 vcc, s[76:77], v[3:4]
	v_and_b32_e32 v28, 0x7fffff, v2
                                        ; implicit-def: $vgpr60
	s_and_saveexec_b64 s[40:41], vcc
	s_xor_b64 s[42:43], exec, s[40:41]
	s_cbranch_execz .LBB2_2855
; %bb.2842:                             ;   in Loop: Header=BB2_2013 Depth=4
	v_and_b32_e32 v3, 0x7fffffff, v2
	v_mov_b32_e32 v4, v29
	v_cmp_gt_u64_e32 vcc, s[78:79], v[3:4]
	v_and_b32_sdwa v5, v2, s96 dst_sel:DWORD dst_unused:UNUSED_PAD src0_sel:BYTE_3 src1_sel:DWORD
                                        ; implicit-def: $vgpr60
	s_and_saveexec_b64 s[40:41], vcc
	s_xor_b64 s[36:37], exec, s[40:41]
	s_cbranch_execz .LBB2_2852
; %bb.2843:                             ;   in Loop: Header=BB2_2013 Depth=4
	v_mov_b32_e32 v60, 0
	v_cmp_ne_u32_e32 vcc, 0, v2
	s_and_saveexec_b64 s[38:39], vcc
	s_cbranch_execz .LBB2_2851
; %bb.2844:                             ;   in Loop: Header=BB2_2013 Depth=4
	v_bfe_u32 v8, v2, 23, 8
	v_cmp_gt_u32_e64 s[40:41], s46, v8
	v_sub_u32_e32 v2, 0x71, v8
	v_cmp_eq_u32_e32 vcc, 0, v8
	v_cndmask_b32_e64 v2, 0, v2, s[40:41]
	v_mov_b32_e32 v4, 0x70
	v_cndmask_b32_e32 v9, v2, v4, vcc
	v_or_b32_e32 v3, 0x800000, v28
	v_add_u32_e32 v2, 21, v9
	v_cndmask_b32_e32 v28, v3, v28, vcc
	v_lshlrev_b64 v[2:3], v2, -1
	v_add_u32_e32 v4, 20, v9
	v_lshlrev_b64 v[38:39], v4, 1
	v_bfi_b32 v3, v3, 0, 0
	v_bfi_b32 v2, v2, 0, v28
	v_cmp_eq_u64_e64 s[40:41], v[2:3], v[38:39]
	v_lshrrev_b64 v[2:3], v9, v[28:29]
	v_mov_b32_e32 v4, v3
	v_mov_b32_e32 v3, v2
	s_and_saveexec_b64 s[48:49], s[40:41]
; %bb.2845:                             ;   in Loop: Header=BB2_2013 Depth=4
	v_bfe_u32 v3, v2, 21, 1
	v_add_co_u32_e64 v3, s[40:41], v2, v3
	v_add_co_u32_e64 v3, s[40:41], -1, v3
; %bb.2846:                             ;   in Loop: Header=BB2_2013 Depth=4
	s_or_b64 exec, exec, s[48:49]
	v_add_u32_e32 v4, 0xffffff81, v8
	v_cndmask_b32_e32 v4, v4, v1, vcc
	v_lshrrev_b32_e32 v8, 23, v2
	v_add3_u32 v9, v9, v4, v8
	v_add_u32_e32 v8, 14, v9
	v_and_b32_e32 v3, 0x1fffff, v3
	v_add_u32_e32 v28, v3, v2
	v_cmp_ne_u32_e32 vcc, 0, v8
                                        ; implicit-def: $vgpr2_vgpr3
                                        ; implicit-def: $vgpr4
	s_and_saveexec_b64 s[40:41], vcc
	s_xor_b64 s[40:41], exec, s[40:41]
; %bb.2847:                             ;   in Loop: Header=BB2_2013 Depth=4
	v_cmp_lt_u64_e32 vcc, s[88:89], v[28:29]
	v_add_u32_e32 v2, 15, v9
	v_cndmask_b32_e32 v4, v8, v2, vcc
	v_cndmask_b32_e64 v2, 0, 1, vcc
	v_lshrrev_b64 v[2:3], v2, v[28:29]
; %bb.2848:                             ;   in Loop: Header=BB2_2013 Depth=4
	s_andn2_saveexec_b64 s[40:41], s[40:41]
; %bb.2849:                             ;   in Loop: Header=BB2_2013 Depth=4
	v_mov_b32_e32 v2, v28
	v_bfe_u32 v4, v28, 23, 1
	v_mov_b32_e32 v3, v29
; %bb.2850:                             ;   in Loop: Header=BB2_2013 Depth=4
	s_or_b64 exec, exec, s[40:41]
	v_lshrrev_b64 v[2:3], 21, v[2:3]
	v_cmp_gt_i32_e32 vcc, 32, v4
	v_cndmask_b32_e32 v3, 0, v3, vcc
	v_cndmask_b32_e32 v2, 3, v2, vcc
	v_cmp_eq_u64_e64 s[40:41], 0, v[2:3]
	v_min_i32_e32 v3, 31, v4
	v_lshlrev_b32_e32 v3, 2, v3
	v_cmp_eq_u32_e32 vcc, 0, v4
	v_and_b32_e32 v3, 0xfc, v3
	v_and_or_b32 v2, v2, 3, v3
	s_and_b64 s[40:41], vcc, s[40:41]
	v_cndmask_b32_e64 v2, v2, 0, s[40:41]
	v_or_b32_e32 v60, v2, v5
.LBB2_2851:                             ;   in Loop: Header=BB2_2013 Depth=4
	s_or_b64 exec, exec, s[38:39]
                                        ; implicit-def: $vgpr5
.LBB2_2852:                             ;   in Loop: Header=BB2_2013 Depth=4
	s_andn2_saveexec_b64 s[40:41], s[36:37]
; %bb.2853:                             ;   in Loop: Header=BB2_2013 Depth=4
	v_or_b32_e32 v60, 0x7b, v5
; %bb.2854:                             ;   in Loop: Header=BB2_2013 Depth=4
	s_or_b64 exec, exec, s[40:41]
                                        ; implicit-def: $vgpr2
.LBB2_2855:                             ;   in Loop: Header=BB2_2013 Depth=4
	s_andn2_saveexec_b64 s[40:41], s[42:43]
	s_cbranch_execz .LBB2_2861
; %bb.2856:                             ;   in Loop: Header=BB2_2013 Depth=4
	v_cmp_ne_u64_e32 vcc, 0, v[28:29]
                                        ; implicit-def: $vgpr60
	s_and_saveexec_b64 s[42:43], vcc
	s_xor_b64 s[42:43], exec, s[42:43]
; %bb.2857:                             ;   in Loop: Header=BB2_2013 Depth=4
	v_or_b32_sdwa v60, v2, s47 dst_sel:DWORD dst_unused:UNUSED_PAD src0_sel:BYTE_3 src1_sel:DWORD
                                        ; implicit-def: $vgpr2
; %bb.2858:                             ;   in Loop: Header=BB2_2013 Depth=4
	s_andn2_saveexec_b64 s[42:43], s[42:43]
; %bb.2859:                             ;   in Loop: Header=BB2_2013 Depth=4
	v_cmp_lt_i32_e32 vcc, -1, v2
	v_cndmask_b32_e32 v60, v6, v22, vcc
; %bb.2860:                             ;   in Loop: Header=BB2_2013 Depth=4
	s_or_b64 exec, exec, s[42:43]
.LBB2_2861:                             ;   in Loop: Header=BB2_2013 Depth=4
	s_or_b64 exec, exec, s[40:41]
	v_lshlrev_b32_e32 v2, 24, v57
	v_lshlrev_b32_e32 v3, 16, v53
	v_lshl_or_b32 v49, v51, 8, v31
	v_or3_b32 v28, v3, v2, v49
	v_cmp_ne_u32_e32 vcc, 0, v31
	v_mov_b32_e32 v2, 0
	s_and_saveexec_b64 s[42:43], vcc
	s_cbranch_execz .LBB2_2869
; %bb.2862:                             ;   in Loop: Header=BB2_2013 Depth=4
	v_cmp_ne_u32_e32 vcc, s96, v31
	v_bfrev_b32_e32 v2, 1
	s_and_saveexec_b64 s[36:37], vcc
	s_cbranch_execz .LBB2_2868
; %bb.2863:                             ;   in Loop: Header=BB2_2013 Depth=4
	v_and_b32_e32 v2, 0x7c, v31
	v_and_b32_e32 v3, 3, v31
	v_cmp_ne_u32_e32 vcc, s85, v2
                                        ; implicit-def: $vgpr2
	s_and_saveexec_b64 s[40:41], vcc
	s_xor_b64 s[40:41], exec, s[40:41]
	s_cbranch_execz .LBB2_2865
; %bb.2864:                             ;   in Loop: Header=BB2_2013 Depth=4
	v_ffbh_u32_e32 v4, v3
	v_min_u32_e32 v8, 32, v4
	v_subrev_u32_e32 v4, 29, v8
	v_lshlrev_b64 v[4:5], v4, v[28:29]
	v_bfe_u32 v2, v31, 2, 5
	v_and_b32_e32 v4, 3, v4
	v_cmp_eq_u32_e32 vcc, 0, v2
	v_sub_u32_e32 v5, 30, v8
	v_cndmask_b32_e32 v3, v3, v4, vcc
	v_lshlrev_b32_e32 v4, 24, v31
	v_cndmask_b32_e32 v2, v2, v5, vcc
	v_and_b32_e32 v4, 0x80000000, v4
	v_lshl_add_u32 v2, v2, 23, v4
	v_lshl_or_b32 v2, v3, 21, v2
	v_add_u32_e32 v2, 0x38000000, v2
                                        ; implicit-def: $vgpr3
                                        ; implicit-def: $vgpr31
.LBB2_2865:                             ;   in Loop: Header=BB2_2013 Depth=4
	s_andn2_saveexec_b64 s[38:39], s[40:41]
; %bb.2866:                             ;   in Loop: Header=BB2_2013 Depth=4
	v_and_b32_e32 v2, 0x80, v31
	v_cmp_eq_u32_e64 s[40:41], 0, v2
	v_cmp_eq_u32_e32 vcc, 0, v3
	v_cndmask_b32_e64 v2, v7, v0, s[40:41]
	v_cndmask_b32_e32 v2, v35, v2, vcc
; %bb.2867:                             ;   in Loop: Header=BB2_2013 Depth=4
	s_or_b64 exec, exec, s[38:39]
.LBB2_2868:                             ;   in Loop: Header=BB2_2013 Depth=4
	s_or_b64 exec, exec, s[36:37]
.LBB2_2869:                             ;   in Loop: Header=BB2_2013 Depth=4
	s_or_b64 exec, exec, s[42:43]
	v_cmp_gt_i16_sdwa s[42:43], v11, s47 src0_sel:BYTE_0 src1_sel:DWORD
	s_mov_b64 s[40:41], 0
	s_and_saveexec_b64 vcc, s[42:43]
	s_xor_b64 s[42:43], exec, vcc
	s_cbranch_execz .LBB2_2873
; %bb.2870:                             ;   in Loop: Header=BB2_2013 Depth=4
	v_cmp_eq_u16_sdwa s[36:37], v11, s96 src0_sel:BYTE_0 src1_sel:DWORD
	s_mov_b64 s[40:41], -1
	s_and_saveexec_b64 vcc, s[36:37]
; %bb.2871:                             ;   in Loop: Header=BB2_2013 Depth=4
	s_xor_b64 s[40:41], exec, -1
; %bb.2872:                             ;   in Loop: Header=BB2_2013 Depth=4
	s_or_b64 exec, exec, vcc
	s_and_b64 s[40:41], s[40:41], exec
.LBB2_2873:                             ;   in Loop: Header=BB2_2013 Depth=4
	s_or_saveexec_b64 s[42:43], s[42:43]
	v_bfrev_b32_e32 v3, 1
	s_xor_b64 exec, exec, s[42:43]
; %bb.2874:                             ;   in Loop: Header=BB2_2013 Depth=4
	v_cmp_ne_u16_sdwa vcc, v11, v29 src0_sel:BYTE_0 src1_sel:DWORD
	s_andn2_b64 s[40:41], s[40:41], exec
	s_and_b64 vcc, vcc, exec
	v_mov_b32_e32 v3, 0
	s_or_b64 s[40:41], s[40:41], vcc
; %bb.2875:                             ;   in Loop: Header=BB2_2013 Depth=4
	s_or_b64 exec, exec, s[42:43]
	v_mov_b32_e32 v4, v11
	v_mov_b32_e32 v5, v29
	s_and_saveexec_b64 s[36:37], s[40:41]
	s_cbranch_execz .LBB2_2877
; %bb.2876:                             ;   in Loop: Header=BB2_2013 Depth=4
	v_and_b32_e32 v3, 3, v11
	v_and_b32_e32 v8, 0x7c, v11
	v_cmp_eq_u32_e32 vcc, s85, v8
	v_ffbh_u32_e32 v8, v3
	v_min_u32_e32 v38, 32, v8
	v_subrev_u32_e32 v8, 29, v38
	v_bfe_u32 v31, v11, 2, 5
	v_lshlrev_b64 v[8:9], v8, v[4:5]
	v_cmp_eq_u32_e64 s[40:41], 0, v31
	v_sub_u32_e32 v5, 30, v38
	v_lshlrev_b32_e32 v9, 24, v11
	v_and_b32_e32 v8, 3, v8
	v_cndmask_b32_e64 v5, v31, v5, s[40:41]
	v_and_b32_e32 v9, 0x80000000, v9
	v_cndmask_b32_e64 v8, v3, v8, s[40:41]
	v_lshl_add_u32 v5, v5, 23, v9
	v_cmp_gt_i16_sdwa s[42:43], sext(v11), v48 src0_sel:BYTE_0 src1_sel:DWORD
	v_lshl_or_b32 v5, v8, 21, v5
	v_cmp_eq_u32_e64 s[40:41], 0, v3
	v_cndmask_b32_e64 v3, v7, v0, s[42:43]
	v_add_u32_e32 v5, 0x38000000, v5
	v_cndmask_b32_e64 v3, v35, v3, s[40:41]
	v_cndmask_b32_e32 v3, v5, v3, vcc
.LBB2_2877:                             ;   in Loop: Header=BB2_2013 Depth=4
	s_or_b64 exec, exec, s[36:37]
	v_add_f32_e32 v8, v2, v3
	v_and_b32_e32 v38, 0x7f800000, v8
	v_mov_b32_e32 v39, v29
	v_cmp_ne_u64_e32 vcc, s[76:77], v[38:39]
	v_and_b32_e32 v2, 0x7fffff, v8
	v_mov_b32_e32 v3, v29
                                        ; implicit-def: $vgpr5
	s_and_saveexec_b64 s[40:41], vcc
	s_xor_b64 s[42:43], exec, s[40:41]
	s_cbranch_execz .LBB2_2891
; %bb.2878:                             ;   in Loop: Header=BB2_2013 Depth=4
	v_and_b32_e32 v38, 0x7fffffff, v8
	v_mov_b32_e32 v39, v29
	v_cmp_gt_u64_e32 vcc, s[78:79], v[38:39]
	v_and_b32_sdwa v31, v8, s96 dst_sel:DWORD dst_unused:UNUSED_PAD src0_sel:BYTE_3 src1_sel:DWORD
                                        ; implicit-def: $vgpr5
	s_and_saveexec_b64 s[40:41], vcc
	s_xor_b64 s[36:37], exec, s[40:41]
	s_cbranch_execz .LBB2_2888
; %bb.2879:                             ;   in Loop: Header=BB2_2013 Depth=4
	v_mov_b32_e32 v5, 0
	v_cmp_ne_u32_e32 vcc, 0, v8
	s_and_saveexec_b64 s[38:39], vcc
	s_cbranch_execz .LBB2_2887
; %bb.2880:                             ;   in Loop: Header=BB2_2013 Depth=4
	v_bfe_u32 v5, v8, 23, 8
	v_cmp_gt_u32_e64 s[40:41], s46, v5
	v_sub_u32_e32 v8, 0x71, v5
	v_cmp_eq_u32_e32 vcc, 0, v5
	v_cndmask_b32_e64 v8, 0, v8, s[40:41]
	v_mov_b32_e32 v38, 0x70
	v_cndmask_b32_e32 v51, v8, v38, vcc
	v_or_b32_e32 v9, 0x800000, v2
	v_add_u32_e32 v8, 21, v51
	v_cndmask_b32_e32 v2, v9, v2, vcc
	v_lshlrev_b64 v[8:9], v8, -1
	v_add_u32_e32 v38, 20, v51
	v_bfi_b32 v8, v8, 0, v2
	v_lshlrev_b64 v[38:39], v38, 1
	v_lshrrev_b64 v[2:3], v51, v[2:3]
	v_bfi_b32 v9, v9, 0, 0
	v_cmp_eq_u64_e64 s[40:41], v[8:9], v[38:39]
	v_mov_b32_e32 v9, v3
	v_mov_b32_e32 v8, v2
	s_and_saveexec_b64 s[48:49], s[40:41]
; %bb.2881:                             ;   in Loop: Header=BB2_2013 Depth=4
	v_bfe_u32 v3, v2, 21, 1
	v_add_co_u32_e64 v3, s[40:41], v2, v3
	v_add_co_u32_e64 v8, s[40:41], -1, v3
; %bb.2882:                             ;   in Loop: Header=BB2_2013 Depth=4
	s_or_b64 exec, exec, s[48:49]
	v_add_u32_e32 v3, 0xffffff81, v5
	v_cndmask_b32_e32 v3, v3, v1, vcc
	v_lshrrev_b32_e32 v5, 23, v2
	v_add3_u32 v51, v51, v3, v5
	v_add_u32_e32 v9, 14, v51
	v_and_b32_e32 v3, 0x1fffff, v8
	v_add_u32_e32 v2, v3, v2
	v_mov_b32_e32 v3, v29
	v_cmp_ne_u32_e32 vcc, 0, v9
                                        ; implicit-def: $vgpr5
	s_and_saveexec_b64 s[40:41], vcc
	s_xor_b64 s[40:41], exec, s[40:41]
; %bb.2883:                             ;   in Loop: Header=BB2_2013 Depth=4
	v_cmp_lt_u64_e32 vcc, s[88:89], v[2:3]
	v_add_u32_e32 v5, 15, v51
	v_cndmask_b32_e64 v8, 0, 1, vcc
	v_cndmask_b32_e32 v5, v9, v5, vcc
	v_lshrrev_b64 v[2:3], v8, v[2:3]
; %bb.2884:                             ;   in Loop: Header=BB2_2013 Depth=4
	s_andn2_saveexec_b64 s[40:41], s[40:41]
; %bb.2885:                             ;   in Loop: Header=BB2_2013 Depth=4
	v_bfe_u32 v5, v2, 23, 1
; %bb.2886:                             ;   in Loop: Header=BB2_2013 Depth=4
	s_or_b64 exec, exec, s[40:41]
	v_lshrrev_b64 v[2:3], 21, v[2:3]
	v_cmp_gt_i32_e32 vcc, 32, v5
	v_cndmask_b32_e32 v3, 0, v3, vcc
	v_cndmask_b32_e32 v2, 3, v2, vcc
	v_cmp_eq_u64_e64 s[40:41], 0, v[2:3]
	v_min_i32_e32 v3, 31, v5
	v_lshlrev_b32_e32 v3, 2, v3
	v_cmp_eq_u32_e32 vcc, 0, v5
	v_and_b32_e32 v3, 0xfc, v3
	v_and_or_b32 v2, v2, 3, v3
	s_and_b64 s[40:41], vcc, s[40:41]
	v_cndmask_b32_e64 v2, v2, 0, s[40:41]
	v_or_b32_e32 v5, v2, v31
.LBB2_2887:                             ;   in Loop: Header=BB2_2013 Depth=4
	s_or_b64 exec, exec, s[38:39]
                                        ; implicit-def: $vgpr31
.LBB2_2888:                             ;   in Loop: Header=BB2_2013 Depth=4
	s_andn2_saveexec_b64 s[40:41], s[36:37]
; %bb.2889:                             ;   in Loop: Header=BB2_2013 Depth=4
	v_or_b32_e32 v5, 0x7b, v31
; %bb.2890:                             ;   in Loop: Header=BB2_2013 Depth=4
	s_or_b64 exec, exec, s[40:41]
                                        ; implicit-def: $vgpr8
                                        ; implicit-def: $vgpr2_vgpr3
.LBB2_2891:                             ;   in Loop: Header=BB2_2013 Depth=4
	s_andn2_saveexec_b64 s[40:41], s[42:43]
	s_cbranch_execz .LBB2_2897
; %bb.2892:                             ;   in Loop: Header=BB2_2013 Depth=4
	v_cmp_ne_u64_e32 vcc, 0, v[2:3]
                                        ; implicit-def: $vgpr5
	s_and_saveexec_b64 s[42:43], vcc
	s_xor_b64 s[42:43], exec, s[42:43]
; %bb.2893:                             ;   in Loop: Header=BB2_2013 Depth=4
	v_or_b32_sdwa v5, v8, s47 dst_sel:DWORD dst_unused:UNUSED_PAD src0_sel:BYTE_3 src1_sel:DWORD
                                        ; implicit-def: $vgpr8
; %bb.2894:                             ;   in Loop: Header=BB2_2013 Depth=4
	s_andn2_saveexec_b64 s[42:43], s[42:43]
; %bb.2895:                             ;   in Loop: Header=BB2_2013 Depth=4
	v_cmp_lt_i32_e32 vcc, -1, v8
	v_cndmask_b32_e32 v5, v6, v22, vcc
; %bb.2896:                             ;   in Loop: Header=BB2_2013 Depth=4
	s_or_b64 exec, exec, s[42:43]
.LBB2_2897:                             ;   in Loop: Header=BB2_2013 Depth=4
	s_or_b64 exec, exec, s[40:41]
	v_lshrrev_b16_e32 v2, 8, v49
	v_cmp_ne_u16_e32 vcc, 0, v2
	v_mov_b32_e32 v8, 0
	s_and_saveexec_b64 s[40:41], vcc
	s_cbranch_execz .LBB2_2905
; %bb.2898:                             ;   in Loop: Header=BB2_2013 Depth=4
	v_cmp_ne_u16_e32 vcc, s96, v2
	v_bfrev_b32_e32 v8, 1
	s_and_saveexec_b64 s[42:43], vcc
	s_cbranch_execz .LBB2_2904
; %bb.2899:                             ;   in Loop: Header=BB2_2013 Depth=4
	v_and_b32_e32 v3, 0x7c, v2
	v_and_b32_e32 v9, 3, v2
	v_cmp_ne_u32_e32 vcc, s85, v3
                                        ; implicit-def: $vgpr8
	s_and_saveexec_b64 s[36:37], vcc
	s_xor_b64 s[36:37], exec, s[36:37]
	s_cbranch_execz .LBB2_2901
; %bb.2900:                             ;   in Loop: Header=BB2_2013 Depth=4
	v_ffbh_u32_e32 v31, v9
	v_min_u32_e32 v31, 32, v31
	v_mov_b32_e32 v3, v29
	v_subrev_u32_e32 v38, 29, v31
	v_bfe_u32 v8, v2, 2, 5
	v_lshlrev_b64 v[2:3], v38, v[2:3]
	v_sub_u32_e32 v3, 30, v31
	v_cmp_eq_u32_e32 vcc, 0, v8
	v_cndmask_b32_e32 v3, v8, v3, vcc
	v_lshlrev_b32_e32 v8, 16, v49
	v_and_b32_e32 v2, 3, v2
	v_and_b32_e32 v8, 0x80000000, v8
	v_cndmask_b32_e32 v2, v9, v2, vcc
	v_lshl_add_u32 v3, v3, 23, v8
	v_lshl_or_b32 v2, v2, 21, v3
	v_add_u32_e32 v8, 0x38000000, v2
                                        ; implicit-def: $vgpr9
                                        ; implicit-def: $vgpr49
.LBB2_2901:                             ;   in Loop: Header=BB2_2013 Depth=4
	s_andn2_saveexec_b64 s[36:37], s[36:37]
; %bb.2902:                             ;   in Loop: Header=BB2_2013 Depth=4
	v_cmp_lt_i16_e32 vcc, -1, v49
	v_cndmask_b32_e32 v2, v7, v0, vcc
	v_cmp_eq_u32_e32 vcc, 0, v9
	v_cndmask_b32_e32 v8, v35, v2, vcc
; %bb.2903:                             ;   in Loop: Header=BB2_2013 Depth=4
	s_or_b64 exec, exec, s[36:37]
.LBB2_2904:                             ;   in Loop: Header=BB2_2013 Depth=4
	s_or_b64 exec, exec, s[42:43]
.LBB2_2905:                             ;   in Loop: Header=BB2_2013 Depth=4
	s_or_b64 exec, exec, s[40:41]
	v_lshrrev_b16_e32 v2, 8, v4
	v_cmp_lt_i16_e32 vcc, s47, v2
	s_mov_b64 s[40:41], 0
	s_and_saveexec_b64 s[42:43], vcc
	s_xor_b64 s[42:43], exec, s[42:43]
	s_cbranch_execz .LBB2_3008
; %bb.2906:                             ;   in Loop: Header=BB2_2013 Depth=4
	v_cmp_eq_u16_e32 vcc, s96, v2
	s_mov_b64 s[40:41], -1
	s_and_saveexec_b64 s[36:37], vcc
; %bb.2907:                             ;   in Loop: Header=BB2_2013 Depth=4
	s_xor_b64 s[40:41], exec, -1
; %bb.2908:                             ;   in Loop: Header=BB2_2013 Depth=4
	s_or_b64 exec, exec, s[36:37]
	s_and_b64 s[40:41], s[40:41], exec
	s_or_saveexec_b64 s[42:43], s[42:43]
	v_bfrev_b32_e32 v3, 1
	s_xor_b64 exec, exec, s[42:43]
	s_cbranch_execnz .LBB2_3009
.LBB2_2909:                             ;   in Loop: Header=BB2_2013 Depth=4
	s_or_b64 exec, exec, s[42:43]
	s_and_saveexec_b64 s[36:37], s[40:41]
	s_cbranch_execz .LBB2_2911
.LBB2_2910:                             ;   in Loop: Header=BB2_2013 Depth=4
	v_and_b32_e32 v9, 3, v2
	v_and_b32_e32 v38, 0x7c, v2
	v_cmp_eq_u32_e32 vcc, s85, v38
	v_ffbh_u32_e32 v38, v9
	v_min_u32_e32 v49, 32, v38
	v_mov_b32_e32 v3, v29
	v_subrev_u32_e32 v38, 29, v49
	v_bfe_u32 v31, v2, 2, 5
	v_lshlrev_b64 v[38:39], v38, v[2:3]
	v_cmp_eq_u32_e64 s[40:41], 0, v31
	v_sub_u32_e32 v3, 30, v49
	v_lshlrev_b32_e32 v2, 24, v2
	v_and_b32_e32 v38, 3, v38
	v_cndmask_b32_e64 v3, v31, v3, s[40:41]
	v_and_b32_e32 v2, 0x80000000, v2
	v_cndmask_b32_e64 v31, v9, v38, s[40:41]
	v_lshl_add_u32 v2, v3, 23, v2
	v_cmp_lt_i16_e64 s[42:43], -1, v4
	v_lshl_or_b32 v2, v31, 21, v2
	v_cmp_eq_u32_e64 s[40:41], 0, v9
	v_cndmask_b32_e64 v3, v7, v0, s[42:43]
	v_add_u32_e32 v2, 0x38000000, v2
	v_cndmask_b32_e64 v3, v35, v3, s[40:41]
	v_cndmask_b32_e32 v3, v2, v3, vcc
.LBB2_2911:                             ;   in Loop: Header=BB2_2013 Depth=4
	s_or_b64 exec, exec, s[36:37]
	v_add_f32_e32 v4, v8, v3
	v_and_b32_e32 v8, 0x7f800000, v4
	v_mov_b32_e32 v9, v29
	v_cmp_ne_u64_e32 vcc, s[76:77], v[8:9]
	v_and_b32_e32 v2, 0x7fffff, v4
	v_mov_b32_e32 v3, v29
                                        ; implicit-def: $vgpr8
	s_and_saveexec_b64 s[40:41], vcc
	s_xor_b64 s[42:43], exec, s[40:41]
	s_cbranch_execz .LBB2_2925
; %bb.2912:                             ;   in Loop: Header=BB2_2013 Depth=4
	v_and_b32_e32 v8, 0x7fffffff, v4
	v_mov_b32_e32 v9, v29
	v_cmp_gt_u64_e32 vcc, s[78:79], v[8:9]
	v_and_b32_sdwa v9, v4, s96 dst_sel:DWORD dst_unused:UNUSED_PAD src0_sel:BYTE_3 src1_sel:DWORD
                                        ; implicit-def: $vgpr8
	s_and_saveexec_b64 s[40:41], vcc
	s_xor_b64 s[36:37], exec, s[40:41]
	s_cbranch_execz .LBB2_2922
; %bb.2913:                             ;   in Loop: Header=BB2_2013 Depth=4
	v_mov_b32_e32 v8, 0
	v_cmp_ne_u32_e32 vcc, 0, v4
	s_and_saveexec_b64 s[38:39], vcc
	s_cbranch_execz .LBB2_2921
; %bb.2914:                             ;   in Loop: Header=BB2_2013 Depth=4
	v_bfe_u32 v8, v4, 23, 8
	v_cmp_gt_u32_e64 s[40:41], s46, v8
	v_sub_u32_e32 v4, 0x71, v8
	v_cmp_eq_u32_e32 vcc, 0, v8
	v_cndmask_b32_e64 v4, 0, v4, s[40:41]
	v_mov_b32_e32 v31, 0x70
	v_cndmask_b32_e32 v31, v4, v31, vcc
	v_or_b32_e32 v38, 0x800000, v2
	v_add_u32_e32 v4, 21, v31
	v_cndmask_b32_e32 v2, v38, v2, vcc
	v_lshlrev_b64 v[38:39], v4, -1
	v_add_u32_e32 v4, 20, v31
	v_bfi_b32 v38, v38, 0, v2
	v_lshlrev_b64 v[40:41], v4, 1
	v_lshrrev_b64 v[2:3], v31, v[2:3]
	v_bfi_b32 v39, v39, 0, 0
	v_cmp_eq_u64_e64 s[40:41], v[38:39], v[40:41]
	v_mov_b32_e32 v4, v3
	v_mov_b32_e32 v3, v2
	s_and_saveexec_b64 s[48:49], s[40:41]
; %bb.2915:                             ;   in Loop: Header=BB2_2013 Depth=4
	v_bfe_u32 v3, v2, 21, 1
	v_add_co_u32_e64 v3, s[40:41], v2, v3
	v_add_co_u32_e64 v3, s[40:41], -1, v3
; %bb.2916:                             ;   in Loop: Header=BB2_2013 Depth=4
	s_or_b64 exec, exec, s[48:49]
	v_add_u32_e32 v4, 0xffffff81, v8
	v_cndmask_b32_e32 v4, v4, v1, vcc
	v_lshrrev_b32_e32 v8, 23, v2
	v_add3_u32 v31, v31, v4, v8
	v_add_u32_e32 v8, 14, v31
	v_and_b32_e32 v3, 0x1fffff, v3
	v_add_u32_e32 v2, v3, v2
	v_mov_b32_e32 v3, v29
	v_cmp_ne_u32_e32 vcc, 0, v8
                                        ; implicit-def: $vgpr4
	s_and_saveexec_b64 s[40:41], vcc
	s_xor_b64 s[40:41], exec, s[40:41]
; %bb.2917:                             ;   in Loop: Header=BB2_2013 Depth=4
	v_cmp_lt_u64_e32 vcc, s[88:89], v[2:3]
	v_add_u32_e32 v4, 15, v31
	v_cndmask_b32_e32 v4, v8, v4, vcc
	v_cndmask_b32_e64 v8, 0, 1, vcc
	v_lshrrev_b64 v[2:3], v8, v[2:3]
; %bb.2918:                             ;   in Loop: Header=BB2_2013 Depth=4
	s_andn2_saveexec_b64 s[40:41], s[40:41]
; %bb.2919:                             ;   in Loop: Header=BB2_2013 Depth=4
	v_bfe_u32 v4, v2, 23, 1
; %bb.2920:                             ;   in Loop: Header=BB2_2013 Depth=4
	s_or_b64 exec, exec, s[40:41]
	v_lshrrev_b64 v[2:3], 21, v[2:3]
	v_cmp_gt_i32_e32 vcc, 32, v4
	v_cndmask_b32_e32 v3, 0, v3, vcc
	v_cndmask_b32_e32 v2, 3, v2, vcc
	v_cmp_eq_u64_e64 s[40:41], 0, v[2:3]
	v_min_i32_e32 v3, 31, v4
	v_lshlrev_b32_e32 v3, 2, v3
	v_cmp_eq_u32_e32 vcc, 0, v4
	v_and_b32_e32 v3, 0xfc, v3
	v_and_or_b32 v2, v2, 3, v3
	s_and_b64 s[40:41], vcc, s[40:41]
	v_cndmask_b32_e64 v2, v2, 0, s[40:41]
	v_or_b32_e32 v8, v2, v9
.LBB2_2921:                             ;   in Loop: Header=BB2_2013 Depth=4
	s_or_b64 exec, exec, s[38:39]
                                        ; implicit-def: $vgpr9
.LBB2_2922:                             ;   in Loop: Header=BB2_2013 Depth=4
	s_andn2_saveexec_b64 s[40:41], s[36:37]
; %bb.2923:                             ;   in Loop: Header=BB2_2013 Depth=4
	v_or_b32_e32 v8, 0x7b, v9
; %bb.2924:                             ;   in Loop: Header=BB2_2013 Depth=4
	s_or_b64 exec, exec, s[40:41]
                                        ; implicit-def: $vgpr4
                                        ; implicit-def: $vgpr2_vgpr3
.LBB2_2925:                             ;   in Loop: Header=BB2_2013 Depth=4
	s_andn2_saveexec_b64 s[40:41], s[42:43]
	s_cbranch_execz .LBB2_2931
; %bb.2926:                             ;   in Loop: Header=BB2_2013 Depth=4
	v_cmp_ne_u64_e32 vcc, 0, v[2:3]
                                        ; implicit-def: $vgpr8
	s_and_saveexec_b64 s[42:43], vcc
	s_xor_b64 s[42:43], exec, s[42:43]
; %bb.2927:                             ;   in Loop: Header=BB2_2013 Depth=4
	v_or_b32_sdwa v8, v4, s47 dst_sel:DWORD dst_unused:UNUSED_PAD src0_sel:BYTE_3 src1_sel:DWORD
                                        ; implicit-def: $vgpr4
; %bb.2928:                             ;   in Loop: Header=BB2_2013 Depth=4
	s_andn2_saveexec_b64 s[42:43], s[42:43]
; %bb.2929:                             ;   in Loop: Header=BB2_2013 Depth=4
	v_cmp_lt_i32_e32 vcc, -1, v4
	v_cndmask_b32_e32 v8, v6, v22, vcc
; %bb.2930:                             ;   in Loop: Header=BB2_2013 Depth=4
	s_or_b64 exec, exec, s[42:43]
.LBB2_2931:                             ;   in Loop: Header=BB2_2013 Depth=4
	s_or_b64 exec, exec, s[40:41]
	v_and_b32_sdwa v4, v28, s87 dst_sel:DWORD dst_unused:UNUSED_PAD src0_sel:WORD_1 src1_sel:DWORD
	v_lshrrev_b32_e32 v2, 16, v28
	v_cmp_ne_u16_e32 vcc, 0, v4
	v_mov_b32_e32 v3, 0
	s_and_saveexec_b64 s[40:41], vcc
	s_cbranch_execz .LBB2_2939
; %bb.2932:                             ;   in Loop: Header=BB2_2013 Depth=4
	v_cmp_ne_u16_e32 vcc, s96, v4
	v_bfrev_b32_e32 v3, 1
	s_and_saveexec_b64 s[42:43], vcc
	s_cbranch_execz .LBB2_2938
; %bb.2933:                             ;   in Loop: Header=BB2_2013 Depth=4
	v_and_b32_e32 v3, 0x7c0000, v28
	v_bfe_u32 v4, v28, 16, 2
	v_cmp_ne_u32_e32 vcc, s44, v3
                                        ; implicit-def: $vgpr3
	s_and_saveexec_b64 s[36:37], vcc
	s_xor_b64 s[36:37], exec, s[36:37]
	s_cbranch_execz .LBB2_2935
; %bb.2934:                             ;   in Loop: Header=BB2_2013 Depth=4
	v_ffbh_u32_e32 v3, v4
	v_min_u32_e32 v31, 32, v3
	v_subrev_u32_e32 v3, 29, v31
	v_lshlrev_b64 v[2:3], v3, v[2:3]
	v_bfe_u32 v9, v28, 18, 5
	v_and_b32_e32 v2, 3, v2
	v_cmp_eq_u32_e32 vcc, 0, v9
	v_sub_u32_e32 v3, 30, v31
	v_cndmask_b32_e32 v2, v4, v2, vcc
	v_lshlrev_b32_e32 v4, 8, v28
	v_cndmask_b32_e32 v3, v9, v3, vcc
	v_and_b32_e32 v4, 0x80000000, v4
	v_lshl_add_u32 v3, v3, 23, v4
	v_lshl_or_b32 v2, v2, 21, v3
	v_add_u32_e32 v3, 0x38000000, v2
                                        ; implicit-def: $vgpr4
                                        ; implicit-def: $vgpr2
.LBB2_2935:                             ;   in Loop: Header=BB2_2013 Depth=4
	s_andn2_saveexec_b64 s[36:37], s[36:37]
; %bb.2936:                             ;   in Loop: Header=BB2_2013 Depth=4
	v_cmp_gt_i16_sdwa vcc, sext(v2), v48 src0_sel:BYTE_0 src1_sel:DWORD
	v_cndmask_b32_e32 v2, v7, v0, vcc
	v_cmp_eq_u32_e32 vcc, 0, v4
	v_cndmask_b32_e32 v3, v35, v2, vcc
; %bb.2937:                             ;   in Loop: Header=BB2_2013 Depth=4
	s_or_b64 exec, exec, s[36:37]
.LBB2_2938:                             ;   in Loop: Header=BB2_2013 Depth=4
	s_or_b64 exec, exec, s[42:43]
.LBB2_2939:                             ;   in Loop: Header=BB2_2013 Depth=4
	s_or_b64 exec, exec, s[40:41]
	v_lshrrev_b32_e32 v2, 16, v11
	v_cmp_gt_i16_sdwa s[42:43], v2, s47 src0_sel:BYTE_0 src1_sel:DWORD
	s_mov_b64 s[40:41], 0
	s_and_saveexec_b64 vcc, s[42:43]
	s_xor_b64 s[42:43], exec, vcc
	s_cbranch_execz .LBB2_3010
; %bb.2940:                             ;   in Loop: Header=BB2_2013 Depth=4
	v_cmp_eq_u16_sdwa s[36:37], v2, s96 src0_sel:BYTE_0 src1_sel:DWORD
	s_mov_b64 s[40:41], -1
	s_and_saveexec_b64 vcc, s[36:37]
; %bb.2941:                             ;   in Loop: Header=BB2_2013 Depth=4
	s_xor_b64 s[40:41], exec, -1
; %bb.2942:                             ;   in Loop: Header=BB2_2013 Depth=4
	s_or_b64 exec, exec, vcc
	s_and_b64 s[40:41], s[40:41], exec
	s_or_saveexec_b64 s[42:43], s[42:43]
	v_bfrev_b32_e32 v4, 1
	s_xor_b64 exec, exec, s[42:43]
	s_cbranch_execnz .LBB2_3011
.LBB2_2943:                             ;   in Loop: Header=BB2_2013 Depth=4
	s_or_b64 exec, exec, s[42:43]
	s_and_saveexec_b64 s[36:37], s[40:41]
	s_cbranch_execz .LBB2_2945
.LBB2_2944:                             ;   in Loop: Header=BB2_2013 Depth=4
	v_and_b32_e32 v4, 3, v2
	v_and_b32_e32 v31, 0x7c0000, v11
	v_cmp_eq_u32_e32 vcc, s44, v31
	v_ffbh_u32_e32 v31, v4
	v_min_u32_e32 v31, 32, v31
	v_subrev_u32_e32 v38, 29, v31
	v_lshlrev_b64 v[38:39], v38, v[2:3]
	v_bfe_u32 v9, v11, 18, 5
	v_cmp_eq_u32_e64 s[40:41], 0, v9
	v_sub_u32_e32 v31, 30, v31
	v_and_b32_e32 v38, 3, v38
	v_cndmask_b32_e64 v9, v9, v31, s[40:41]
	v_cndmask_b32_e64 v31, v4, v38, s[40:41]
	v_lshlrev_b32_e32 v38, 24, v2
	v_and_b32_e32 v38, 0x80000000, v38
	v_lshl_add_u32 v9, v9, 23, v38
	v_cmp_gt_i16_sdwa s[42:43], sext(v2), v48 src0_sel:BYTE_0 src1_sel:DWORD
	v_lshl_or_b32 v9, v31, 21, v9
	v_cmp_eq_u32_e64 s[40:41], 0, v4
	v_cndmask_b32_e64 v2, v7, v0, s[42:43]
	v_add_u32_e32 v9, 0x38000000, v9
	v_cndmask_b32_e64 v2, v35, v2, s[40:41]
	v_cndmask_b32_e32 v4, v9, v2, vcc
.LBB2_2945:                             ;   in Loop: Header=BB2_2013 Depth=4
	s_or_b64 exec, exec, s[36:37]
	v_add_f32_e32 v4, v3, v4
	v_and_b32_e32 v38, 0x7f800000, v4
	v_mov_b32_e32 v39, v29
	v_cmp_ne_u64_e32 vcc, s[76:77], v[38:39]
	v_and_b32_e32 v2, 0x7fffff, v4
	v_mov_b32_e32 v3, v29
                                        ; implicit-def: $vgpr9
	s_and_saveexec_b64 s[40:41], vcc
	s_xor_b64 s[42:43], exec, s[40:41]
	s_cbranch_execz .LBB2_2959
; %bb.2946:                             ;   in Loop: Header=BB2_2013 Depth=4
	v_and_b32_e32 v38, 0x7fffffff, v4
	v_mov_b32_e32 v39, v29
	v_cmp_gt_u64_e32 vcc, s[78:79], v[38:39]
	v_and_b32_sdwa v31, v4, s96 dst_sel:DWORD dst_unused:UNUSED_PAD src0_sel:BYTE_3 src1_sel:DWORD
                                        ; implicit-def: $vgpr9
	s_and_saveexec_b64 s[40:41], vcc
	s_xor_b64 s[36:37], exec, s[40:41]
	s_cbranch_execz .LBB2_2956
; %bb.2947:                             ;   in Loop: Header=BB2_2013 Depth=4
	v_mov_b32_e32 v9, 0
	v_cmp_ne_u32_e32 vcc, 0, v4
	s_and_saveexec_b64 s[38:39], vcc
	s_cbranch_execz .LBB2_2955
; %bb.2948:                             ;   in Loop: Header=BB2_2013 Depth=4
	v_bfe_u32 v9, v4, 23, 8
	v_cmp_gt_u32_e64 s[40:41], s46, v9
	v_sub_u32_e32 v4, 0x71, v9
	v_cmp_eq_u32_e32 vcc, 0, v9
	v_cndmask_b32_e64 v4, 0, v4, s[40:41]
	v_mov_b32_e32 v39, 0x70
	v_cndmask_b32_e32 v49, v4, v39, vcc
	v_or_b32_e32 v38, 0x800000, v2
	v_add_u32_e32 v4, 21, v49
	v_cndmask_b32_e32 v2, v38, v2, vcc
	v_lshlrev_b64 v[38:39], v4, -1
	v_add_u32_e32 v4, 20, v49
	v_bfi_b32 v38, v38, 0, v2
	v_lshlrev_b64 v[40:41], v4, 1
	v_lshrrev_b64 v[2:3], v49, v[2:3]
	v_bfi_b32 v39, v39, 0, 0
	v_cmp_eq_u64_e64 s[40:41], v[38:39], v[40:41]
	v_mov_b32_e32 v4, v3
	v_mov_b32_e32 v3, v2
	s_and_saveexec_b64 s[48:49], s[40:41]
; %bb.2949:                             ;   in Loop: Header=BB2_2013 Depth=4
	v_bfe_u32 v3, v2, 21, 1
	v_add_co_u32_e64 v3, s[40:41], v2, v3
	v_add_co_u32_e64 v3, s[40:41], -1, v3
; %bb.2950:                             ;   in Loop: Header=BB2_2013 Depth=4
	s_or_b64 exec, exec, s[48:49]
	v_add_u32_e32 v4, 0xffffff81, v9
	v_cndmask_b32_e32 v4, v4, v1, vcc
	v_lshrrev_b32_e32 v9, 23, v2
	v_add3_u32 v49, v49, v4, v9
	v_add_u32_e32 v9, 14, v49
	v_and_b32_e32 v3, 0x1fffff, v3
	v_add_u32_e32 v2, v3, v2
	v_mov_b32_e32 v3, v29
	v_cmp_ne_u32_e32 vcc, 0, v9
                                        ; implicit-def: $vgpr4
	s_and_saveexec_b64 s[40:41], vcc
	s_xor_b64 s[40:41], exec, s[40:41]
; %bb.2951:                             ;   in Loop: Header=BB2_2013 Depth=4
	v_cmp_lt_u64_e32 vcc, s[88:89], v[2:3]
	v_add_u32_e32 v4, 15, v49
	v_cndmask_b32_e32 v4, v9, v4, vcc
	v_cndmask_b32_e64 v9, 0, 1, vcc
	v_lshrrev_b64 v[2:3], v9, v[2:3]
; %bb.2952:                             ;   in Loop: Header=BB2_2013 Depth=4
	s_andn2_saveexec_b64 s[40:41], s[40:41]
; %bb.2953:                             ;   in Loop: Header=BB2_2013 Depth=4
	v_bfe_u32 v4, v2, 23, 1
; %bb.2954:                             ;   in Loop: Header=BB2_2013 Depth=4
	s_or_b64 exec, exec, s[40:41]
	v_lshrrev_b64 v[2:3], 21, v[2:3]
	v_cmp_gt_i32_e32 vcc, 32, v4
	v_cndmask_b32_e32 v3, 0, v3, vcc
	v_cndmask_b32_e32 v2, 3, v2, vcc
	v_cmp_eq_u64_e64 s[40:41], 0, v[2:3]
	v_min_i32_e32 v3, 31, v4
	v_lshlrev_b32_e32 v3, 2, v3
	v_cmp_eq_u32_e32 vcc, 0, v4
	v_and_b32_e32 v3, 0xfc, v3
	v_and_or_b32 v2, v2, 3, v3
	s_and_b64 s[40:41], vcc, s[40:41]
	v_cndmask_b32_e64 v2, v2, 0, s[40:41]
	v_or_b32_e32 v9, v2, v31
.LBB2_2955:                             ;   in Loop: Header=BB2_2013 Depth=4
	s_or_b64 exec, exec, s[38:39]
                                        ; implicit-def: $vgpr31
.LBB2_2956:                             ;   in Loop: Header=BB2_2013 Depth=4
	s_andn2_saveexec_b64 s[40:41], s[36:37]
; %bb.2957:                             ;   in Loop: Header=BB2_2013 Depth=4
	v_or_b32_e32 v9, 0x7b, v31
; %bb.2958:                             ;   in Loop: Header=BB2_2013 Depth=4
	s_or_b64 exec, exec, s[40:41]
                                        ; implicit-def: $vgpr4
                                        ; implicit-def: $vgpr2_vgpr3
.LBB2_2959:                             ;   in Loop: Header=BB2_2013 Depth=4
	s_andn2_saveexec_b64 s[40:41], s[42:43]
	s_cbranch_execz .LBB2_2965
; %bb.2960:                             ;   in Loop: Header=BB2_2013 Depth=4
	v_cmp_ne_u64_e32 vcc, 0, v[2:3]
                                        ; implicit-def: $vgpr9
	s_and_saveexec_b64 s[42:43], vcc
	s_xor_b64 s[42:43], exec, s[42:43]
; %bb.2961:                             ;   in Loop: Header=BB2_2013 Depth=4
	v_or_b32_sdwa v9, v4, s47 dst_sel:DWORD dst_unused:UNUSED_PAD src0_sel:BYTE_3 src1_sel:DWORD
                                        ; implicit-def: $vgpr4
; %bb.2962:                             ;   in Loop: Header=BB2_2013 Depth=4
	s_andn2_saveexec_b64 s[42:43], s[42:43]
; %bb.2963:                             ;   in Loop: Header=BB2_2013 Depth=4
	v_cmp_lt_i32_e32 vcc, -1, v4
	v_cndmask_b32_e32 v9, v6, v22, vcc
; %bb.2964:                             ;   in Loop: Header=BB2_2013 Depth=4
	s_or_b64 exec, exec, s[42:43]
.LBB2_2965:                             ;   in Loop: Header=BB2_2013 Depth=4
	s_or_b64 exec, exec, s[40:41]
	v_cmp_lt_u32_e32 vcc, s57, v28
	v_mov_b32_e32 v3, 0
	s_and_saveexec_b64 s[40:41], vcc
	s_cbranch_execz .LBB2_2973
; %bb.2966:                             ;   in Loop: Header=BB2_2013 Depth=4
	v_lshrrev_b32_e32 v2, 24, v28
	v_cmp_ne_u32_e32 vcc, s96, v2
	v_bfrev_b32_e32 v3, 1
	s_and_saveexec_b64 s[42:43], vcc
	s_cbranch_execz .LBB2_2972
; %bb.2967:                             ;   in Loop: Header=BB2_2013 Depth=4
	v_and_b32_e32 v3, 0x7c000000, v28
	v_bfe_u32 v4, v28, 24, 2
	v_cmp_ne_u32_e32 vcc, s45, v3
                                        ; implicit-def: $vgpr3
	s_and_saveexec_b64 s[36:37], vcc
	s_xor_b64 s[36:37], exec, s[36:37]
	s_cbranch_execz .LBB2_2969
; %bb.2968:                             ;   in Loop: Header=BB2_2013 Depth=4
	v_ffbh_u32_e32 v3, v4
	v_min_u32_e32 v38, 32, v3
	v_subrev_u32_e32 v3, 29, v38
	v_lshlrev_b64 v[2:3], v3, v[2:3]
	v_bfe_u32 v31, v28, 26, 5
	v_sub_u32_e32 v3, 30, v38
	v_and_b32_e32 v2, 3, v2
	v_cmp_eq_u32_e32 vcc, 0, v31
	v_cndmask_b32_e32 v3, v31, v3, vcc
	v_cndmask_b32_e32 v2, v4, v2, vcc
	v_and_b32_e32 v4, 0x80000000, v28
	v_lshl_add_u32 v3, v3, 23, v4
	v_lshl_or_b32 v2, v2, 21, v3
	v_add_u32_e32 v3, 0x38000000, v2
                                        ; implicit-def: $vgpr4
.LBB2_2969:                             ;   in Loop: Header=BB2_2013 Depth=4
	s_andn2_saveexec_b64 s[36:37], s[36:37]
; %bb.2970:                             ;   in Loop: Header=BB2_2013 Depth=4
	v_cmp_lt_i32_e32 vcc, -1, v28
	v_cndmask_b32_e32 v2, v7, v0, vcc
	v_cmp_eq_u32_e32 vcc, 0, v4
	v_cndmask_b32_e32 v3, v35, v2, vcc
; %bb.2971:                             ;   in Loop: Header=BB2_2013 Depth=4
	s_or_b64 exec, exec, s[36:37]
.LBB2_2972:                             ;   in Loop: Header=BB2_2013 Depth=4
	s_or_b64 exec, exec, s[42:43]
.LBB2_2973:                             ;   in Loop: Header=BB2_2013 Depth=4
	s_or_b64 exec, exec, s[40:41]
	v_bfe_u32 v4, v11, 24, 2
	v_and_b32_e32 v31, 0x7c000000, v11
	v_cmp_eq_u32_e32 vcc, s45, v31
	v_ffbh_u32_e32 v31, v4
	v_min_u32_e32 v31, 32, v31
	v_lshrrev_b32_e32 v2, 24, v11
	v_subrev_u32_e32 v38, 29, v31
	v_lshlrev_b64 v[38:39], v38, v[2:3]
	v_bfe_u32 v28, v11, 26, 5
	v_cmp_eq_u32_e64 s[40:41], 0, v28
	v_sub_u32_e32 v31, 30, v31
	v_and_b32_e32 v38, 3, v38
	v_cndmask_b32_e64 v28, v28, v31, s[40:41]
	v_cndmask_b32_e64 v31, v4, v38, s[40:41]
	v_and_b32_e32 v38, 0x80000000, v11
	v_cmp_lt_i64_e64 s[42:43], -1, v[10:11]
	v_lshl_add_u32 v28, v28, 23, v38
	v_lshl_or_b32 v28, v31, 21, v28
	v_cmp_eq_u32_e64 s[40:41], 0, v4
	v_cndmask_b32_e64 v4, v7, v0, s[42:43]
	v_add_u32_e32 v28, 0x38000000, v28
	v_cndmask_b32_e64 v4, v35, v4, s[40:41]
	v_cndmask_b32_e32 v4, v28, v4, vcc
	v_cmp_ne_u32_e32 vcc, s96, v2
	v_bfrev_b32_e32 v2, 1
	v_cndmask_b32_e32 v2, v2, v4, vcc
	v_cmp_lt_u64_e32 vcc, s[56:57], v[10:11]
	v_mov_b32_e32 v11, v29
	v_cndmask_b32_e32 v2, 0, v2, vcc
	v_add_f32_e32 v3, v2, v3
	v_and_b32_e32 v10, 0x7f800000, v3
	v_cmp_ne_u64_e32 vcc, s[76:77], v[10:11]
	v_and_b32_e32 v28, 0x7fffff, v3
                                        ; implicit-def: $vgpr2
	s_and_saveexec_b64 s[40:41], vcc
	s_xor_b64 s[42:43], exec, s[40:41]
	s_cbranch_execz .LBB2_2987
; %bb.2974:                             ;   in Loop: Header=BB2_2013 Depth=4
	v_and_b32_e32 v10, 0x7fffffff, v3
	v_mov_b32_e32 v11, v29
	v_cmp_gt_u64_e32 vcc, s[78:79], v[10:11]
	v_and_b32_sdwa v10, v3, s96 dst_sel:DWORD dst_unused:UNUSED_PAD src0_sel:BYTE_3 src1_sel:DWORD
                                        ; implicit-def: $vgpr2
	s_and_saveexec_b64 s[40:41], vcc
	s_xor_b64 s[36:37], exec, s[40:41]
	s_cbranch_execz .LBB2_2984
; %bb.2975:                             ;   in Loop: Header=BB2_2013 Depth=4
	v_mov_b32_e32 v2, 0
	v_cmp_ne_u32_e32 vcc, 0, v3
	s_and_saveexec_b64 s[38:39], vcc
	s_cbranch_execz .LBB2_2983
; %bb.2976:                             ;   in Loop: Header=BB2_2013 Depth=4
	v_bfe_u32 v11, v3, 23, 8
	v_cmp_gt_u32_e64 s[40:41], s46, v11
	v_sub_u32_e32 v2, 0x71, v11
	v_cmp_eq_u32_e32 vcc, 0, v11
	v_cndmask_b32_e64 v2, 0, v2, s[40:41]
	v_mov_b32_e32 v4, 0x70
	v_cndmask_b32_e32 v31, v2, v4, vcc
	v_or_b32_e32 v3, 0x800000, v28
	v_add_u32_e32 v2, 21, v31
	v_cndmask_b32_e32 v28, v3, v28, vcc
	v_lshlrev_b64 v[2:3], v2, -1
	v_add_u32_e32 v4, 20, v31
	v_lshlrev_b64 v[38:39], v4, 1
	v_bfi_b32 v3, v3, 0, 0
	v_bfi_b32 v2, v2, 0, v28
	v_cmp_eq_u64_e64 s[40:41], v[2:3], v[38:39]
	v_lshrrev_b64 v[2:3], v31, v[28:29]
	v_mov_b32_e32 v4, v3
	v_mov_b32_e32 v3, v2
	s_and_saveexec_b64 s[48:49], s[40:41]
; %bb.2977:                             ;   in Loop: Header=BB2_2013 Depth=4
	v_bfe_u32 v3, v2, 21, 1
	v_add_co_u32_e64 v3, s[40:41], v2, v3
	v_add_co_u32_e64 v3, s[40:41], -1, v3
; %bb.2978:                             ;   in Loop: Header=BB2_2013 Depth=4
	s_or_b64 exec, exec, s[48:49]
	v_add_u32_e32 v4, 0xffffff81, v11
	v_cndmask_b32_e32 v4, v4, v1, vcc
	v_lshrrev_b32_e32 v11, 23, v2
	v_add3_u32 v31, v31, v4, v11
	v_add_u32_e32 v11, 14, v31
	v_and_b32_e32 v3, 0x1fffff, v3
	v_add_u32_e32 v28, v3, v2
	v_cmp_ne_u32_e32 vcc, 0, v11
                                        ; implicit-def: $vgpr2_vgpr3
                                        ; implicit-def: $vgpr4
	s_and_saveexec_b64 s[40:41], vcc
	s_xor_b64 s[40:41], exec, s[40:41]
; %bb.2979:                             ;   in Loop: Header=BB2_2013 Depth=4
	v_cmp_lt_u64_e32 vcc, s[88:89], v[28:29]
	v_add_u32_e32 v2, 15, v31
	v_cndmask_b32_e32 v4, v11, v2, vcc
	v_cndmask_b32_e64 v2, 0, 1, vcc
	v_lshrrev_b64 v[2:3], v2, v[28:29]
; %bb.2980:                             ;   in Loop: Header=BB2_2013 Depth=4
	s_andn2_saveexec_b64 s[40:41], s[40:41]
; %bb.2981:                             ;   in Loop: Header=BB2_2013 Depth=4
	v_mov_b32_e32 v2, v28
	v_bfe_u32 v4, v28, 23, 1
	v_mov_b32_e32 v3, v29
; %bb.2982:                             ;   in Loop: Header=BB2_2013 Depth=4
	s_or_b64 exec, exec, s[40:41]
	v_lshrrev_b64 v[2:3], 21, v[2:3]
	v_cmp_gt_i32_e32 vcc, 32, v4
	v_cndmask_b32_e32 v3, 0, v3, vcc
	v_cndmask_b32_e32 v2, 3, v2, vcc
	v_cmp_eq_u64_e64 s[40:41], 0, v[2:3]
	v_min_i32_e32 v3, 31, v4
	v_lshlrev_b32_e32 v3, 2, v3
	v_cmp_eq_u32_e32 vcc, 0, v4
	v_and_b32_e32 v3, 0xfc, v3
	v_and_or_b32 v2, v2, 3, v3
	s_and_b64 s[40:41], vcc, s[40:41]
	v_cndmask_b32_e64 v2, v2, 0, s[40:41]
	v_or_b32_e32 v2, v2, v10
.LBB2_2983:                             ;   in Loop: Header=BB2_2013 Depth=4
	s_or_b64 exec, exec, s[38:39]
                                        ; implicit-def: $vgpr10
.LBB2_2984:                             ;   in Loop: Header=BB2_2013 Depth=4
	s_andn2_saveexec_b64 s[40:41], s[36:37]
; %bb.2985:                             ;   in Loop: Header=BB2_2013 Depth=4
	v_or_b32_e32 v2, 0x7b, v10
; %bb.2986:                             ;   in Loop: Header=BB2_2013 Depth=4
	s_or_b64 exec, exec, s[40:41]
                                        ; implicit-def: $vgpr3
.LBB2_2987:                             ;   in Loop: Header=BB2_2013 Depth=4
	s_andn2_saveexec_b64 s[40:41], s[42:43]
	s_cbranch_execz .LBB2_2012
; %bb.2988:                             ;   in Loop: Header=BB2_2013 Depth=4
	v_cmp_ne_u64_e32 vcc, 0, v[28:29]
                                        ; implicit-def: $vgpr2
	s_and_saveexec_b64 s[42:43], vcc
	s_xor_b64 s[42:43], exec, s[42:43]
; %bb.2989:                             ;   in Loop: Header=BB2_2013 Depth=4
	v_or_b32_sdwa v2, v3, s47 dst_sel:DWORD dst_unused:UNUSED_PAD src0_sel:BYTE_3 src1_sel:DWORD
                                        ; implicit-def: $vgpr3
; %bb.2990:                             ;   in Loop: Header=BB2_2013 Depth=4
	s_andn2_saveexec_b64 s[42:43], s[42:43]
	s_cbranch_execz .LBB2_2011
; %bb.2991:                             ;   in Loop: Header=BB2_2013 Depth=4
	v_cmp_lt_i32_e32 vcc, -1, v3
	v_cndmask_b32_e32 v2, v6, v22, vcc
	s_branch .LBB2_2011
.LBB2_2992:                             ;   in Loop: Header=BB2_2013 Depth=4
	s_or_saveexec_b64 s[42:43], s[42:43]
	v_bfrev_b32_e32 v3, 1
	s_xor_b64 exec, exec, s[42:43]
	s_cbranch_execz .LBB2_2481
.LBB2_2993:                             ;   in Loop: Header=BB2_2013 Depth=4
	v_cmp_ne_u16_sdwa vcc, v8, v29 src0_sel:BYTE_0 src1_sel:DWORD
	s_andn2_b64 s[40:41], s[40:41], exec
	s_and_b64 vcc, vcc, exec
	v_mov_b32_e32 v3, 0
	s_or_b64 s[40:41], s[40:41], vcc
	s_or_b64 exec, exec, s[42:43]
	s_and_saveexec_b64 s[36:37], s[40:41]
	s_cbranch_execnz .LBB2_2482
	s_branch .LBB2_2483
.LBB2_2994:                             ;   in Loop: Header=BB2_2013 Depth=4
	s_or_saveexec_b64 s[42:43], s[42:43]
	v_bfrev_b32_e32 v3, 1
	s_xor_b64 exec, exec, s[42:43]
	s_cbranch_execz .LBB2_2515
.LBB2_2995:                             ;   in Loop: Header=BB2_2013 Depth=4
	v_cmp_ne_u16_e32 vcc, 0, v2
	s_andn2_b64 s[40:41], s[40:41], exec
	s_and_b64 vcc, vcc, exec
	v_mov_b32_e32 v3, 0
	s_or_b64 s[40:41], s[40:41], vcc
	s_or_b64 exec, exec, s[42:43]
	s_and_saveexec_b64 s[36:37], s[40:41]
	s_cbranch_execnz .LBB2_2516
	s_branch .LBB2_2517
.LBB2_2996:                             ;   in Loop: Header=BB2_2013 Depth=4
	s_or_saveexec_b64 s[42:43], s[42:43]
	v_bfrev_b32_e32 v4, 1
	s_xor_b64 exec, exec, s[42:43]
	s_cbranch_execz .LBB2_2549
.LBB2_2997:                             ;   in Loop: Header=BB2_2013 Depth=4
	v_cmp_ne_u16_sdwa vcc, v2, v29 src0_sel:BYTE_0 src1_sel:DWORD
	s_andn2_b64 s[40:41], s[40:41], exec
	s_and_b64 vcc, vcc, exec
	v_mov_b32_e32 v4, 0
	s_or_b64 s[40:41], s[40:41], vcc
	s_or_b64 exec, exec, s[42:43]
	s_and_saveexec_b64 s[36:37], s[40:41]
	s_cbranch_execnz .LBB2_2550
	s_branch .LBB2_2551
.LBB2_2998:                             ;   in Loop: Header=BB2_2013 Depth=4
	s_or_saveexec_b64 s[42:43], s[42:43]
	v_bfrev_b32_e32 v3, 1
	s_xor_b64 exec, exec, s[42:43]
	s_cbranch_execz .LBB2_2647
.LBB2_2999:                             ;   in Loop: Header=BB2_2013 Depth=4
	v_cmp_ne_u16_e32 vcc, 0, v2
	s_andn2_b64 s[40:41], s[40:41], exec
	s_and_b64 vcc, vcc, exec
	v_mov_b32_e32 v3, 0
	s_or_b64 s[40:41], s[40:41], vcc
	s_or_b64 exec, exec, s[42:43]
	s_and_saveexec_b64 s[36:37], s[40:41]
	s_cbranch_execnz .LBB2_2648
	s_branch .LBB2_2649
.LBB2_3000:                             ;   in Loop: Header=BB2_2013 Depth=4
	s_or_saveexec_b64 s[42:43], s[42:43]
	v_bfrev_b32_e32 v4, 1
	s_xor_b64 exec, exec, s[42:43]
	s_cbranch_execz .LBB2_2681
.LBB2_3001:                             ;   in Loop: Header=BB2_2013 Depth=4
	v_cmp_ne_u16_sdwa vcc, v2, v29 src0_sel:BYTE_0 src1_sel:DWORD
	s_andn2_b64 s[40:41], s[40:41], exec
	s_and_b64 vcc, vcc, exec
	v_mov_b32_e32 v4, 0
	s_or_b64 s[40:41], s[40:41], vcc
	s_or_b64 exec, exec, s[42:43]
	s_and_saveexec_b64 s[36:37], s[40:41]
	s_cbranch_execnz .LBB2_2682
	s_branch .LBB2_2683
.LBB2_3002:                             ;   in Loop: Header=BB2_2013 Depth=4
	s_or_saveexec_b64 s[42:43], s[42:43]
	v_bfrev_b32_e32 v3, 1
	s_xor_b64 exec, exec, s[42:43]
	s_cbranch_execz .LBB2_2743
.LBB2_3003:                             ;   in Loop: Header=BB2_2013 Depth=4
	v_cmp_ne_u16_sdwa vcc, v10, v29 src0_sel:BYTE_0 src1_sel:DWORD
	s_andn2_b64 s[40:41], s[40:41], exec
	s_and_b64 vcc, vcc, exec
	v_mov_b32_e32 v3, 0
	s_or_b64 s[40:41], s[40:41], vcc
	s_or_b64 exec, exec, s[42:43]
	s_and_saveexec_b64 s[36:37], s[40:41]
	s_cbranch_execnz .LBB2_2744
	s_branch .LBB2_2745
.LBB2_3004:                             ;   in Loop: Header=BB2_2013 Depth=4
	s_or_saveexec_b64 s[42:43], s[42:43]
	v_bfrev_b32_e32 v3, 1
	s_xor_b64 exec, exec, s[42:43]
	s_cbranch_execz .LBB2_2777
.LBB2_3005:                             ;   in Loop: Header=BB2_2013 Depth=4
	v_cmp_ne_u16_e32 vcc, 0, v2
	s_andn2_b64 s[40:41], s[40:41], exec
	s_and_b64 vcc, vcc, exec
	v_mov_b32_e32 v3, 0
	s_or_b64 s[40:41], s[40:41], vcc
	s_or_b64 exec, exec, s[42:43]
	s_and_saveexec_b64 s[36:37], s[40:41]
	s_cbranch_execnz .LBB2_2778
	s_branch .LBB2_2779
.LBB2_3006:                             ;   in Loop: Header=BB2_2013 Depth=4
	s_or_saveexec_b64 s[42:43], s[42:43]
	v_bfrev_b32_e32 v4, 1
	s_xor_b64 exec, exec, s[42:43]
	s_cbranch_execz .LBB2_2811
.LBB2_3007:                             ;   in Loop: Header=BB2_2013 Depth=4
	v_cmp_ne_u16_sdwa vcc, v2, v29 src0_sel:BYTE_0 src1_sel:DWORD
	s_andn2_b64 s[40:41], s[40:41], exec
	s_and_b64 vcc, vcc, exec
	v_mov_b32_e32 v4, 0
	s_or_b64 s[40:41], s[40:41], vcc
	s_or_b64 exec, exec, s[42:43]
	s_and_saveexec_b64 s[36:37], s[40:41]
	s_cbranch_execnz .LBB2_2812
	s_branch .LBB2_2813
.LBB2_3008:                             ;   in Loop: Header=BB2_2013 Depth=4
	s_or_saveexec_b64 s[42:43], s[42:43]
	v_bfrev_b32_e32 v3, 1
	s_xor_b64 exec, exec, s[42:43]
	s_cbranch_execz .LBB2_2909
.LBB2_3009:                             ;   in Loop: Header=BB2_2013 Depth=4
	v_cmp_ne_u16_e32 vcc, 0, v2
	s_andn2_b64 s[40:41], s[40:41], exec
	s_and_b64 vcc, vcc, exec
	v_mov_b32_e32 v3, 0
	s_or_b64 s[40:41], s[40:41], vcc
	s_or_b64 exec, exec, s[42:43]
	s_and_saveexec_b64 s[36:37], s[40:41]
	s_cbranch_execnz .LBB2_2910
	s_branch .LBB2_2911
.LBB2_3010:                             ;   in Loop: Header=BB2_2013 Depth=4
	s_or_saveexec_b64 s[42:43], s[42:43]
	v_bfrev_b32_e32 v4, 1
	s_xor_b64 exec, exec, s[42:43]
	s_cbranch_execz .LBB2_2943
.LBB2_3011:                             ;   in Loop: Header=BB2_2013 Depth=4
	v_cmp_ne_u16_sdwa vcc, v2, v29 src0_sel:BYTE_0 src1_sel:DWORD
	s_andn2_b64 s[40:41], s[40:41], exec
	s_and_b64 vcc, vcc, exec
	v_mov_b32_e32 v4, 0
	s_or_b64 s[40:41], s[40:41], vcc
	s_or_b64 exec, exec, s[42:43]
	s_and_saveexec_b64 s[36:37], s[40:41]
	s_cbranch_execnz .LBB2_2944
	s_branch .LBB2_2945
.LBB2_3012:                             ;   in Loop: Header=BB2_1934 Depth=3
	s_or_b64 exec, exec, s[34:35]
	buffer_load_dword v49, off, s[0:3], s33 offset:144 ; 4-byte Folded Reload
	buffer_load_dword v38, off, s[0:3], s33 offset:176 ; 4-byte Folded Reload
	;; [unrolled: 1-line block ×5, first 2 shown]
.LBB2_3013:                             ;   in Loop: Header=BB2_1934 Depth=3
	s_or_b64 exec, exec, s[30:31]
	s_waitcnt vmcnt(4)
	v_and_b32_e32 v2, 15, v49
	s_waitcnt vmcnt(0)
	v_cndmask_b32_e64 v16, v8, v2, s[28:29]
	v_mov_b32_e32 v5, 0
	v_cmp_ne_u32_e32 vcc, 0, v16
	s_mov_b64 s[42:43], 0
                                        ; implicit-def: $vgpr51
                                        ; implicit-def: $vgpr52
	s_and_saveexec_b64 s[30:31], vcc
	s_cbranch_execz .LBB2_4019
; %bb.3014:                             ;   in Loop: Header=BB2_1934 Depth=3
	buffer_load_dword v3, off, s[0:3], s33 offset:216 ; 4-byte Folded Reload
	v_sub_u32_e32 v2, v8, v2
	v_cndmask_b32_e64 v2, 0, v2, s[28:29]
	v_cmp_lt_i32_e32 vcc, 0, v18
	v_add_u32_e32 v8, v2, v4
	v_cndmask_b32_e32 v2, 0, v36, vcc
	v_sub_u32_e32 v2, v2, v18
	s_waitcnt vmcnt(0)
	v_lshl_or_b32 v2, v2, 6, v3
	v_ashrrev_i32_e32 v3, 31, v2
	v_lshrrev_b32_e32 v3, 26, v3
	v_add_u32_e32 v3, v2, v3
	v_ashrrev_i32_e32 v4, 6, v3
	v_and_b32_e32 v3, 0xffffffc0, v3
	v_sub_u32_e32 v9, v2, v3
	v_ashrrev_i32_e32 v3, 31, v16
	v_lshrrev_b32_e32 v3, 22, v3
	v_add_u32_e32 v3, v16, v3
	v_and_b32_e32 v10, 0xfffffc00, v3
	v_lshlrev_b32_e32 v2, 4, v9
	v_sub_u32_e32 v11, v16, v10
	v_lshl_add_u32 v2, v4, 10, v2
	v_ashrrev_i32_e32 v5, 10, v3
	v_cmp_lt_i32_e64 s[28:29], 15, v11
	v_sub_u32_e32 v32, v16, v2
	v_addc_co_u32_e64 v3, vcc, 0, v5, s[28:29]
	v_sub_u32_e32 v31, v3, v4
	v_cmp_lt_i32_e32 vcc, 15, v32
	s_and_saveexec_b64 s[34:35], vcc
	s_cbranch_execz .LBB2_4018
; %bb.3015:                             ;   in Loop: Header=BB2_1934 Depth=3
	buffer_store_dword v11, off, s[0:3], s33 offset:204 ; 4-byte Folded Spill
	buffer_store_dword v10, off, s[0:3], s33 offset:196 ; 4-byte Folded Spill
	;; [unrolled: 1-line block ×4, first 2 shown]
	v_add_u32_e32 v4, v2, v8
	s_trap 2
	ds_read_b64 v[2:3], v0
	v_ashrrev_i32_e32 v5, 31, v4
	v_add_co_u32_e32 v42, vcc, v4, v54
	v_addc_co_u32_e32 v43, vcc, v5, v55, vcc
	s_waitcnt lgkmcnt(0)
	v_add_co_u32_e32 v44, vcc, v2, v4
	v_addc_co_u32_e32 v45, vcc, v3, v5, vcc
	v_add_co_u32_e32 v46, vcc, v4, v38
	buffer_store_dword v38, off, s[0:3], s33 offset:176 ; 4-byte Folded Spill
	s_nop 0
	buffer_store_dword v39, off, s[0:3], s33 offset:180 ; 4-byte Folded Spill
	v_readfirstlane_b32 s42, v2
	s_bfe_i32 s38, s42, 0x80000
	s_and_b32 s43, s42, 3
	s_bfe_u32 s40, s42, 0x50002
	s_and_b32 s41, s42, 0x7c
	s_cmpk_eq_i32 s41, 0x7c
	s_flbit_i32_b32 s41, s43
	v_addc_co_u32_e32 v47, vcc, v5, v39, vcc
	s_cselect_b64 vcc, -1, 0
	s_min_u32 s41, s41, 32
	s_sub_i32 s36, s41, 29
	v_lshlrev_b64 v[2:3], s36, v[2:3]
	s_sub_i32 s41, 30, s41
	s_cmp_eq_u32 s40, 0
	v_and_b32_e32 v2, 3, v2
	s_cselect_b32 s36, s41, s40
	v_mov_b32_e32 v3, s43
	s_cselect_b64 s[40:41], -1, 0
	v_cndmask_b32_e64 v2, v3, v2, s[40:41]
	s_lshl_b32 s40, s42, 24
	s_and_b32 s40, s40, 0x80000000
	s_lshl_b32 s41, s36, 23
	s_add_i32 s41, s41, s40
	v_lshlrev_b32_e32 v2, 21, v2
	s_cmp_eq_u32 s43, 0
	s_sext_i32_i8 s42, s42
	v_or_b32_e32 v2, s41, v2
	s_cselect_b64 s[40:41], -1, 0
	s_cmp_gt_i32 s42, -1
	s_cselect_b64 s[42:43], -1, 0
	v_cndmask_b32_e64 v3, v7, v0, s[42:43]
	v_add_u32_e32 v2, 0x38000000, v2
	v_cndmask_b32_e64 v3, v35, v3, s[40:41]
	v_cndmask_b32_e32 v2, v2, v3, vcc
	s_mov_b64 s[36:37], 0
	s_and_b32 s52, s38, 0xff
	buffer_store_dword v2, off, s[0:3], s33 offset:148 ; 4-byte Folded Spill
	s_branch .LBB2_3018
.LBB2_3016:                             ;   in Loop: Header=BB2_3018 Depth=4
	s_or_b64 exec, exec, s[42:43]
.LBB2_3017:                             ;   in Loop: Header=BB2_3018 Depth=4
	s_or_b64 exec, exec, s[40:41]
	v_lshl_or_b32 v3, v15, 8, v14
	v_lshlrev_b32_e32 v4, 16, v30
	v_lshlrev_b32_e32 v10, 24, v56
	v_or3_b32 v38, v3, v4, v10
	v_lshl_or_b32 v3, v51, 8, v23
	v_lshlrev_b32_e32 v4, 16, v57
	v_lshlrev_b32_e32 v10, 24, v17
	v_or3_b32 v37, v3, v4, v10
	v_lshl_or_b32 v3, v19, 8, v18
	v_lshlrev_b32_e32 v4, 16, v52
	v_lshlrev_b32_e32 v10, 24, v59
	v_or3_b32 v39, v3, v4, v10
	v_lshlrev_b32_e32 v2, 24, v2
	v_lshlrev_b32_e32 v3, 16, v9
	v_lshl_or_b32 v4, v8, 8, v5
	v_or3_b32 v40, v4, v3, v2
	buffer_load_dword v2, off, s[0:3], s33 offset:56 ; 4-byte Folded Reload
	v_sub_u32_e32 v31, v31, v36
	global_store_dwordx4 v[46:47], v[37:40], off glc slc
	s_waitcnt vmcnt(1)
	v_add_co_u32_e32 v42, vcc, v42, v2
	v_addc_co_u32_e32 v43, vcc, 0, v43, vcc
	v_add_co_u32_e32 v44, vcc, v44, v2
	v_addc_co_u32_e32 v45, vcc, 0, v45, vcc
	;; [unrolled: 2-line block ×3, first 2 shown]
	v_sub_u32_e32 v32, v32, v2
	v_cmp_gt_i32_e32 vcc, 16, v32
	s_or_b64 s[36:37], vcc, s[36:37]
	s_andn2_b64 exec, exec, s[36:37]
	s_cbranch_execz .LBB2_4017
.LBB2_3018:                             ;   Parent Loop BB2_47 Depth=1
                                        ;     Parent Loop BB2_1931 Depth=2
                                        ;       Parent Loop BB2_1934 Depth=3
                                        ; =>      This Inner Loop Header: Depth=4
	s_cmpk_lt_i32 s52, 0x80
	s_cbranch_scc1 .LBB2_3022
; %bb.3019:                             ;   in Loop: Header=BB2_3018 Depth=4
	s_and_b32 s42, 0xffff, s52
	s_mov_b64 s[40:41], -1
	s_cmpk_eq_i32 s42, 0x80
	s_cbranch_scc0 .LBB2_3021
; %bb.3020:                             ;   in Loop: Header=BB2_3018 Depth=4
	s_mov_b64 s[40:41], 0
.LBB2_3021:                             ;   in Loop: Header=BB2_3018 Depth=4
	s_brev_b32 s38, 1
	s_branch .LBB2_3024
.LBB2_3022:                             ;   in Loop: Header=BB2_3018 Depth=4
	s_mov_b64 s[40:41], 0
	s_brev_b32 s38, 1
	s_cbranch_execz .LBB2_3024
; %bb.3023:                             ;   in Loop: Header=BB2_3018 Depth=4
	s_and_b32 s40, 0xffff, s52
	s_cmp_lg_u32 s40, 0
	s_mov_b32 s38, 0
	s_cselect_b64 s[40:41], -1, 0
.LBB2_3024:                             ;   in Loop: Header=BB2_3018 Depth=4
	s_andn2_b64 vcc, exec, s[40:41]
	v_mov_b32_e32 v17, s38
	s_cbranch_vccnz .LBB2_3026
; %bb.3025:                             ;   in Loop: Header=BB2_3018 Depth=4
	buffer_load_dword v17, off, s[0:3], s33 offset:148 ; 4-byte Folded Reload
.LBB2_3026:                             ;   in Loop: Header=BB2_3018 Depth=4
	global_load_dwordx4 v[8:11], v[42:43], off glc slc
	v_mov_b32_e32 v2, 0
	s_waitcnt vmcnt(0)
	v_cmp_ne_u16_sdwa s[42:43], v8, v29 src0_sel:BYTE_0 src1_sel:DWORD
	s_and_saveexec_b64 s[40:41], s[42:43]
	s_cbranch_execz .LBB2_3034
; %bb.3027:                             ;   in Loop: Header=BB2_3018 Depth=4
	v_cmp_ne_u16_sdwa vcc, sext(v8), s97 src0_sel:BYTE_0 src1_sel:DWORD
	v_bfrev_b32_e32 v2, 1
	s_and_saveexec_b64 s[42:43], vcc
	s_cbranch_execz .LBB2_3033
; %bb.3028:                             ;   in Loop: Header=BB2_3018 Depth=4
	v_and_b32_e32 v2, 0x7c, v8
	v_and_b32_e32 v3, 3, v8
	v_cmp_ne_u32_e32 vcc, s85, v2
                                        ; implicit-def: $vgpr2
	s_and_saveexec_b64 s[38:39], vcc
	s_xor_b64 s[38:39], exec, s[38:39]
	s_cbranch_execz .LBB2_3030
; %bb.3029:                             ;   in Loop: Header=BB2_3018 Depth=4
	v_ffbh_u32_e32 v4, v3
	v_min_u32_e32 v14, 32, v4
	v_subrev_u32_e32 v4, 29, v14
	v_lshlrev_b64 v[4:5], v4, v[8:9]
	v_bfe_u32 v2, v8, 2, 5
	v_and_b32_e32 v4, 3, v4
	v_cmp_eq_u32_e32 vcc, 0, v2
	v_sub_u32_e32 v5, 30, v14
	v_cndmask_b32_e32 v3, v3, v4, vcc
	v_lshlrev_b32_e32 v4, 24, v8
	v_cndmask_b32_e32 v2, v2, v5, vcc
	v_and_b32_e32 v4, 0x80000000, v4
	v_lshl_add_u32 v2, v2, 23, v4
	v_lshl_or_b32 v2, v3, 21, v2
	v_add_u32_e32 v2, 0x38000000, v2
                                        ; implicit-def: $vgpr3
.LBB2_3030:                             ;   in Loop: Header=BB2_3018 Depth=4
	s_andn2_saveexec_b64 s[38:39], s[38:39]
; %bb.3031:                             ;   in Loop: Header=BB2_3018 Depth=4
	v_cmp_gt_i16_sdwa vcc, sext(v8), v48 src0_sel:BYTE_0 src1_sel:DWORD
	v_cndmask_b32_e32 v2, v7, v0, vcc
	v_cmp_eq_u32_e32 vcc, 0, v3
	v_cndmask_b32_e32 v2, v35, v2, vcc
; %bb.3032:                             ;   in Loop: Header=BB2_3018 Depth=4
	s_or_b64 exec, exec, s[38:39]
.LBB2_3033:                             ;   in Loop: Header=BB2_3018 Depth=4
	s_or_b64 exec, exec, s[42:43]
.LBB2_3034:                             ;   in Loop: Header=BB2_3018 Depth=4
	s_or_b64 exec, exec, s[40:41]
	v_mul_f32_e32 v2, v17, v2
	v_and_b32_e32 v3, 0x7f800000, v2
	v_mov_b32_e32 v4, v29
	v_cmp_ne_u64_e32 vcc, s[76:77], v[3:4]
	v_and_b32_e32 v28, 0x7fffff, v2
                                        ; implicit-def: $vgpr14
	s_and_saveexec_b64 s[40:41], vcc
	s_xor_b64 s[42:43], exec, s[40:41]
	s_cbranch_execz .LBB2_3048
; %bb.3035:                             ;   in Loop: Header=BB2_3018 Depth=4
	v_and_b32_e32 v3, 0x7fffffff, v2
	v_mov_b32_e32 v4, v29
	v_cmp_gt_u64_e32 vcc, s[78:79], v[3:4]
	v_and_b32_sdwa v5, v2, s96 dst_sel:DWORD dst_unused:UNUSED_PAD src0_sel:BYTE_3 src1_sel:DWORD
                                        ; implicit-def: $vgpr14
	s_and_saveexec_b64 s[40:41], vcc
	s_xor_b64 s[38:39], exec, s[40:41]
	s_cbranch_execz .LBB2_3045
; %bb.3036:                             ;   in Loop: Header=BB2_3018 Depth=4
	v_mov_b32_e32 v14, 0
	v_cmp_ne_u32_e32 vcc, 0, v2
	s_and_saveexec_b64 s[48:49], vcc
	s_cbranch_execz .LBB2_3044
; %bb.3037:                             ;   in Loop: Header=BB2_3018 Depth=4
	v_bfe_u32 v14, v2, 23, 8
	v_cmp_gt_u32_e64 s[40:41], s46, v14
	v_sub_u32_e32 v2, 0x71, v14
	v_cmp_eq_u32_e32 vcc, 0, v14
	v_cndmask_b32_e64 v2, 0, v2, s[40:41]
	v_mov_b32_e32 v4, 0x70
	v_cndmask_b32_e32 v15, v2, v4, vcc
	v_or_b32_e32 v3, 0x800000, v28
	v_add_u32_e32 v2, 21, v15
	v_cndmask_b32_e32 v28, v3, v28, vcc
	v_lshlrev_b64 v[2:3], v2, -1
	v_add_u32_e32 v4, 20, v15
	v_lshlrev_b64 v[18:19], v4, 1
	v_bfi_b32 v3, v3, 0, 0
	v_bfi_b32 v2, v2, 0, v28
	v_cmp_eq_u64_e64 s[40:41], v[2:3], v[18:19]
	v_lshrrev_b64 v[2:3], v15, v[28:29]
	v_mov_b32_e32 v4, v3
	v_mov_b32_e32 v3, v2
	s_and_saveexec_b64 s[50:51], s[40:41]
; %bb.3038:                             ;   in Loop: Header=BB2_3018 Depth=4
	v_bfe_u32 v3, v2, 21, 1
	v_add_co_u32_e64 v3, s[40:41], v2, v3
	v_add_co_u32_e64 v3, s[40:41], -1, v3
; %bb.3039:                             ;   in Loop: Header=BB2_3018 Depth=4
	s_or_b64 exec, exec, s[50:51]
	v_add_u32_e32 v4, 0xffffff81, v14
	v_cndmask_b32_e32 v4, v4, v1, vcc
	v_lshrrev_b32_e32 v14, 23, v2
	v_add3_u32 v15, v15, v4, v14
	v_add_u32_e32 v14, 14, v15
	v_and_b32_e32 v3, 0x1fffff, v3
	v_add_u32_e32 v28, v3, v2
	v_cmp_ne_u32_e32 vcc, 0, v14
                                        ; implicit-def: $vgpr2_vgpr3
                                        ; implicit-def: $vgpr4
	s_and_saveexec_b64 s[40:41], vcc
	s_xor_b64 s[40:41], exec, s[40:41]
; %bb.3040:                             ;   in Loop: Header=BB2_3018 Depth=4
	v_cmp_lt_u64_e32 vcc, s[88:89], v[28:29]
	v_add_u32_e32 v2, 15, v15
	v_cndmask_b32_e32 v4, v14, v2, vcc
	v_cndmask_b32_e64 v2, 0, 1, vcc
	v_lshrrev_b64 v[2:3], v2, v[28:29]
; %bb.3041:                             ;   in Loop: Header=BB2_3018 Depth=4
	s_andn2_saveexec_b64 s[40:41], s[40:41]
; %bb.3042:                             ;   in Loop: Header=BB2_3018 Depth=4
	v_mov_b32_e32 v2, v28
	v_bfe_u32 v4, v28, 23, 1
	v_mov_b32_e32 v3, v29
; %bb.3043:                             ;   in Loop: Header=BB2_3018 Depth=4
	s_or_b64 exec, exec, s[40:41]
	v_lshrrev_b64 v[2:3], 21, v[2:3]
	v_cmp_gt_i32_e32 vcc, 32, v4
	v_cndmask_b32_e32 v3, 0, v3, vcc
	v_cndmask_b32_e32 v2, 3, v2, vcc
	v_cmp_eq_u64_e64 s[40:41], 0, v[2:3]
	v_min_i32_e32 v3, 31, v4
	v_lshlrev_b32_e32 v3, 2, v3
	v_cmp_eq_u32_e32 vcc, 0, v4
	v_and_b32_e32 v3, 0xfc, v3
	v_and_or_b32 v2, v2, 3, v3
	s_and_b64 s[40:41], vcc, s[40:41]
	v_cndmask_b32_e64 v2, v2, 0, s[40:41]
	v_or_b32_e32 v14, v2, v5
.LBB2_3044:                             ;   in Loop: Header=BB2_3018 Depth=4
	s_or_b64 exec, exec, s[48:49]
                                        ; implicit-def: $vgpr5
.LBB2_3045:                             ;   in Loop: Header=BB2_3018 Depth=4
	s_andn2_saveexec_b64 s[40:41], s[38:39]
; %bb.3046:                             ;   in Loop: Header=BB2_3018 Depth=4
	v_or_b32_e32 v14, 0x7b, v5
; %bb.3047:                             ;   in Loop: Header=BB2_3018 Depth=4
	s_or_b64 exec, exec, s[40:41]
                                        ; implicit-def: $vgpr2
.LBB2_3048:                             ;   in Loop: Header=BB2_3018 Depth=4
	s_andn2_saveexec_b64 s[40:41], s[42:43]
	s_cbranch_execz .LBB2_3054
; %bb.3049:                             ;   in Loop: Header=BB2_3018 Depth=4
	v_cmp_ne_u64_e32 vcc, 0, v[28:29]
                                        ; implicit-def: $vgpr14
	s_and_saveexec_b64 s[42:43], vcc
	s_xor_b64 s[42:43], exec, s[42:43]
; %bb.3050:                             ;   in Loop: Header=BB2_3018 Depth=4
	v_or_b32_sdwa v14, v2, s47 dst_sel:DWORD dst_unused:UNUSED_PAD src0_sel:BYTE_3 src1_sel:DWORD
                                        ; implicit-def: $vgpr2
; %bb.3051:                             ;   in Loop: Header=BB2_3018 Depth=4
	s_andn2_saveexec_b64 s[42:43], s[42:43]
; %bb.3052:                             ;   in Loop: Header=BB2_3018 Depth=4
	v_cmp_lt_i32_e32 vcc, -1, v2
	v_cndmask_b32_e32 v14, v6, v22, vcc
; %bb.3053:                             ;   in Loop: Header=BB2_3018 Depth=4
	s_or_b64 exec, exec, s[42:43]
.LBB2_3054:                             ;   in Loop: Header=BB2_3018 Depth=4
	s_or_b64 exec, exec, s[40:41]
	v_lshrrev_b16_e32 v28, 8, v8
	v_cmp_ne_u16_e32 vcc, 0, v28
	v_mov_b32_e32 v2, 0
	s_and_saveexec_b64 s[40:41], vcc
	s_cbranch_execz .LBB2_3062
; %bb.3055:                             ;   in Loop: Header=BB2_3018 Depth=4
	v_cmp_ne_u16_e32 vcc, s96, v28
	v_bfrev_b32_e32 v2, 1
	s_and_saveexec_b64 s[42:43], vcc
	s_cbranch_execz .LBB2_3061
; %bb.3056:                             ;   in Loop: Header=BB2_3018 Depth=4
	v_and_b32_e32 v2, 0x7c, v28
	v_and_b32_e32 v3, 3, v28
	v_cmp_ne_u32_e32 vcc, s85, v2
                                        ; implicit-def: $vgpr2
	s_and_saveexec_b64 s[38:39], vcc
	s_xor_b64 s[38:39], exec, s[38:39]
	s_cbranch_execz .LBB2_3058
; %bb.3057:                             ;   in Loop: Header=BB2_3018 Depth=4
	v_ffbh_u32_e32 v4, v3
	v_min_u32_e32 v15, 32, v4
	v_subrev_u32_e32 v4, 29, v15
	v_lshlrev_b64 v[4:5], v4, v[28:29]
	v_bfe_u32 v2, v28, 2, 5
	v_and_b32_e32 v4, 3, v4
	v_cmp_eq_u32_e32 vcc, 0, v2
	v_sub_u32_e32 v5, 30, v15
	v_cndmask_b32_e32 v3, v3, v4, vcc
	v_lshlrev_b32_e32 v4, 16, v8
	v_cndmask_b32_e32 v2, v2, v5, vcc
	v_and_b32_e32 v4, 0x80000000, v4
	v_lshl_add_u32 v2, v2, 23, v4
	v_lshl_or_b32 v2, v3, 21, v2
	v_add_u32_e32 v2, 0x38000000, v2
                                        ; implicit-def: $vgpr3
.LBB2_3058:                             ;   in Loop: Header=BB2_3018 Depth=4
	s_andn2_saveexec_b64 s[38:39], s[38:39]
; %bb.3059:                             ;   in Loop: Header=BB2_3018 Depth=4
	v_cmp_lt_i16_e32 vcc, -1, v8
	v_cndmask_b32_e32 v2, v7, v0, vcc
	v_cmp_eq_u32_e32 vcc, 0, v3
	v_cndmask_b32_e32 v2, v35, v2, vcc
; %bb.3060:                             ;   in Loop: Header=BB2_3018 Depth=4
	s_or_b64 exec, exec, s[38:39]
.LBB2_3061:                             ;   in Loop: Header=BB2_3018 Depth=4
	s_or_b64 exec, exec, s[42:43]
.LBB2_3062:                             ;   in Loop: Header=BB2_3018 Depth=4
	s_or_b64 exec, exec, s[40:41]
	v_mul_f32_e32 v2, v17, v2
	v_and_b32_e32 v3, 0x7f800000, v2
	v_mov_b32_e32 v4, v29
	v_cmp_ne_u64_e32 vcc, s[76:77], v[3:4]
	v_and_b32_e32 v28, 0x7fffff, v2
                                        ; implicit-def: $vgpr23
	s_and_saveexec_b64 s[40:41], vcc
	s_xor_b64 s[42:43], exec, s[40:41]
	s_cbranch_execz .LBB2_3076
; %bb.3063:                             ;   in Loop: Header=BB2_3018 Depth=4
	v_and_b32_e32 v3, 0x7fffffff, v2
	v_mov_b32_e32 v4, v29
	v_cmp_gt_u64_e32 vcc, s[78:79], v[3:4]
	v_and_b32_sdwa v5, v2, s96 dst_sel:DWORD dst_unused:UNUSED_PAD src0_sel:BYTE_3 src1_sel:DWORD
                                        ; implicit-def: $vgpr23
	s_and_saveexec_b64 s[40:41], vcc
	s_xor_b64 s[38:39], exec, s[40:41]
	s_cbranch_execz .LBB2_3073
; %bb.3064:                             ;   in Loop: Header=BB2_3018 Depth=4
	v_mov_b32_e32 v23, 0
	v_cmp_ne_u32_e32 vcc, 0, v2
	s_and_saveexec_b64 s[48:49], vcc
	s_cbranch_execz .LBB2_3072
; %bb.3065:                             ;   in Loop: Header=BB2_3018 Depth=4
	v_bfe_u32 v15, v2, 23, 8
	v_cmp_gt_u32_e64 s[40:41], s46, v15
	v_sub_u32_e32 v2, 0x71, v15
	v_cmp_eq_u32_e32 vcc, 0, v15
	v_cndmask_b32_e64 v2, 0, v2, s[40:41]
	v_mov_b32_e32 v4, 0x70
	v_cndmask_b32_e32 v18, v2, v4, vcc
	v_or_b32_e32 v3, 0x800000, v28
	v_add_u32_e32 v2, 21, v18
	v_cndmask_b32_e32 v28, v3, v28, vcc
	v_lshlrev_b64 v[2:3], v2, -1
	v_add_u32_e32 v4, 20, v18
	v_lshlrev_b64 v[37:38], v4, 1
	v_bfi_b32 v3, v3, 0, 0
	v_bfi_b32 v2, v2, 0, v28
	v_cmp_eq_u64_e64 s[40:41], v[2:3], v[37:38]
	v_lshrrev_b64 v[2:3], v18, v[28:29]
	v_mov_b32_e32 v4, v3
	v_mov_b32_e32 v3, v2
	s_and_saveexec_b64 s[50:51], s[40:41]
; %bb.3066:                             ;   in Loop: Header=BB2_3018 Depth=4
	v_bfe_u32 v3, v2, 21, 1
	v_add_co_u32_e64 v3, s[40:41], v2, v3
	v_add_co_u32_e64 v3, s[40:41], -1, v3
; %bb.3067:                             ;   in Loop: Header=BB2_3018 Depth=4
	s_or_b64 exec, exec, s[50:51]
	v_add_u32_e32 v4, 0xffffff81, v15
	v_cndmask_b32_e32 v4, v4, v1, vcc
	v_lshrrev_b32_e32 v15, 23, v2
	v_add3_u32 v18, v18, v4, v15
	v_add_u32_e32 v15, 14, v18
	v_and_b32_e32 v3, 0x1fffff, v3
	v_add_u32_e32 v28, v3, v2
	v_cmp_ne_u32_e32 vcc, 0, v15
                                        ; implicit-def: $vgpr2_vgpr3
                                        ; implicit-def: $vgpr4
	s_and_saveexec_b64 s[40:41], vcc
	s_xor_b64 s[40:41], exec, s[40:41]
; %bb.3068:                             ;   in Loop: Header=BB2_3018 Depth=4
	v_cmp_lt_u64_e32 vcc, s[88:89], v[28:29]
	v_add_u32_e32 v2, 15, v18
	v_cndmask_b32_e32 v4, v15, v2, vcc
	v_cndmask_b32_e64 v2, 0, 1, vcc
	v_lshrrev_b64 v[2:3], v2, v[28:29]
; %bb.3069:                             ;   in Loop: Header=BB2_3018 Depth=4
	s_andn2_saveexec_b64 s[40:41], s[40:41]
; %bb.3070:                             ;   in Loop: Header=BB2_3018 Depth=4
	v_mov_b32_e32 v2, v28
	v_bfe_u32 v4, v28, 23, 1
	v_mov_b32_e32 v3, v29
; %bb.3071:                             ;   in Loop: Header=BB2_3018 Depth=4
	s_or_b64 exec, exec, s[40:41]
	v_lshrrev_b64 v[2:3], 21, v[2:3]
	v_cmp_gt_i32_e32 vcc, 32, v4
	v_cndmask_b32_e32 v3, 0, v3, vcc
	v_cndmask_b32_e32 v2, 3, v2, vcc
	v_cmp_eq_u64_e64 s[40:41], 0, v[2:3]
	v_min_i32_e32 v3, 31, v4
	v_lshlrev_b32_e32 v3, 2, v3
	v_cmp_eq_u32_e32 vcc, 0, v4
	v_and_b32_e32 v3, 0xfc, v3
	v_and_or_b32 v2, v2, 3, v3
	s_and_b64 s[40:41], vcc, s[40:41]
	v_cndmask_b32_e64 v2, v2, 0, s[40:41]
	v_or_b32_e32 v23, v2, v5
.LBB2_3072:                             ;   in Loop: Header=BB2_3018 Depth=4
	s_or_b64 exec, exec, s[48:49]
                                        ; implicit-def: $vgpr5
.LBB2_3073:                             ;   in Loop: Header=BB2_3018 Depth=4
	s_andn2_saveexec_b64 s[40:41], s[38:39]
; %bb.3074:                             ;   in Loop: Header=BB2_3018 Depth=4
	v_or_b32_e32 v23, 0x7b, v5
; %bb.3075:                             ;   in Loop: Header=BB2_3018 Depth=4
	s_or_b64 exec, exec, s[40:41]
                                        ; implicit-def: $vgpr2
.LBB2_3076:                             ;   in Loop: Header=BB2_3018 Depth=4
	s_andn2_saveexec_b64 s[40:41], s[42:43]
	s_cbranch_execz .LBB2_3082
; %bb.3077:                             ;   in Loop: Header=BB2_3018 Depth=4
	v_cmp_ne_u64_e32 vcc, 0, v[28:29]
                                        ; implicit-def: $vgpr23
	s_and_saveexec_b64 s[42:43], vcc
	s_xor_b64 s[42:43], exec, s[42:43]
; %bb.3078:                             ;   in Loop: Header=BB2_3018 Depth=4
	v_or_b32_sdwa v23, v2, s47 dst_sel:DWORD dst_unused:UNUSED_PAD src0_sel:BYTE_3 src1_sel:DWORD
                                        ; implicit-def: $vgpr2
; %bb.3079:                             ;   in Loop: Header=BB2_3018 Depth=4
	s_andn2_saveexec_b64 s[42:43], s[42:43]
; %bb.3080:                             ;   in Loop: Header=BB2_3018 Depth=4
	v_cmp_lt_i32_e32 vcc, -1, v2
	v_cndmask_b32_e32 v23, v6, v22, vcc
; %bb.3081:                             ;   in Loop: Header=BB2_3018 Depth=4
	s_or_b64 exec, exec, s[42:43]
.LBB2_3082:                             ;   in Loop: Header=BB2_3018 Depth=4
	s_or_b64 exec, exec, s[40:41]
	v_lshrrev_b32_e32 v2, 16, v8
	v_cmp_ne_u16_sdwa s[42:43], v2, v29 src0_sel:BYTE_0 src1_sel:DWORD
	v_mov_b32_e32 v3, 0
	s_and_saveexec_b64 s[40:41], s[42:43]
	s_cbranch_execz .LBB2_3090
; %bb.3083:                             ;   in Loop: Header=BB2_3018 Depth=4
	v_cmp_ne_u16_sdwa vcc, v2, s96 src0_sel:BYTE_0 src1_sel:DWORD
	v_bfrev_b32_e32 v3, 1
	s_and_saveexec_b64 s[42:43], vcc
	s_cbranch_execz .LBB2_3089
; %bb.3084:                             ;   in Loop: Header=BB2_3018 Depth=4
	v_and_b32_e32 v3, 0x7c0000, v8
	v_bfe_u32 v4, v8, 16, 2
	v_cmp_ne_u32_e32 vcc, s44, v3
                                        ; implicit-def: $vgpr3
	s_and_saveexec_b64 s[38:39], vcc
	s_xor_b64 s[38:39], exec, s[38:39]
	s_cbranch_execz .LBB2_3086
; %bb.3085:                             ;   in Loop: Header=BB2_3018 Depth=4
	v_ffbh_u32_e32 v3, v4
	v_min_u32_e32 v15, 32, v3
	v_subrev_u32_e32 v3, 29, v15
	v_lshlrev_b64 v[2:3], v3, v[2:3]
	v_bfe_u32 v5, v8, 18, 5
	v_and_b32_e32 v2, 3, v2
	v_cmp_eq_u32_e32 vcc, 0, v5
	v_sub_u32_e32 v3, 30, v15
	v_cndmask_b32_e32 v2, v4, v2, vcc
	v_lshlrev_b32_e32 v4, 8, v8
	v_cndmask_b32_e32 v3, v5, v3, vcc
	v_and_b32_e32 v4, 0x80000000, v4
	v_lshl_add_u32 v3, v3, 23, v4
	v_lshl_or_b32 v2, v2, 21, v3
	v_add_u32_e32 v3, 0x38000000, v2
                                        ; implicit-def: $vgpr4
                                        ; implicit-def: $vgpr2
.LBB2_3086:                             ;   in Loop: Header=BB2_3018 Depth=4
	s_andn2_saveexec_b64 s[38:39], s[38:39]
; %bb.3087:                             ;   in Loop: Header=BB2_3018 Depth=4
	v_cmp_gt_i16_sdwa vcc, sext(v2), v48 src0_sel:BYTE_0 src1_sel:DWORD
	v_cndmask_b32_e32 v2, v7, v0, vcc
	v_cmp_eq_u32_e32 vcc, 0, v4
	v_cndmask_b32_e32 v3, v35, v2, vcc
; %bb.3088:                             ;   in Loop: Header=BB2_3018 Depth=4
	s_or_b64 exec, exec, s[38:39]
.LBB2_3089:                             ;   in Loop: Header=BB2_3018 Depth=4
	s_or_b64 exec, exec, s[42:43]
.LBB2_3090:                             ;   in Loop: Header=BB2_3018 Depth=4
	s_or_b64 exec, exec, s[40:41]
	v_mul_f32_e32 v2, v17, v3
	v_and_b32_e32 v3, 0x7f800000, v2
	v_mov_b32_e32 v4, v29
	v_cmp_ne_u64_e32 vcc, s[76:77], v[3:4]
	v_and_b32_e32 v28, 0x7fffff, v2
                                        ; implicit-def: $vgpr51
	s_and_saveexec_b64 s[40:41], vcc
	s_xor_b64 s[42:43], exec, s[40:41]
	s_cbranch_execz .LBB2_3104
; %bb.3091:                             ;   in Loop: Header=BB2_3018 Depth=4
	v_and_b32_e32 v3, 0x7fffffff, v2
	v_mov_b32_e32 v4, v29
	v_cmp_gt_u64_e32 vcc, s[78:79], v[3:4]
	v_and_b32_sdwa v5, v2, s96 dst_sel:DWORD dst_unused:UNUSED_PAD src0_sel:BYTE_3 src1_sel:DWORD
                                        ; implicit-def: $vgpr51
	s_and_saveexec_b64 s[40:41], vcc
	s_xor_b64 s[38:39], exec, s[40:41]
	s_cbranch_execz .LBB2_3101
; %bb.3092:                             ;   in Loop: Header=BB2_3018 Depth=4
	v_mov_b32_e32 v51, 0
	v_cmp_ne_u32_e32 vcc, 0, v2
	s_and_saveexec_b64 s[48:49], vcc
	s_cbranch_execz .LBB2_3100
; %bb.3093:                             ;   in Loop: Header=BB2_3018 Depth=4
	v_bfe_u32 v15, v2, 23, 8
	v_cmp_gt_u32_e64 s[40:41], s46, v15
	v_sub_u32_e32 v2, 0x71, v15
	v_cmp_eq_u32_e32 vcc, 0, v15
	v_cndmask_b32_e64 v2, 0, v2, s[40:41]
	v_mov_b32_e32 v4, 0x70
	v_cndmask_b32_e32 v18, v2, v4, vcc
	v_or_b32_e32 v3, 0x800000, v28
	v_add_u32_e32 v2, 21, v18
	v_cndmask_b32_e32 v28, v3, v28, vcc
	v_lshlrev_b64 v[2:3], v2, -1
	v_add_u32_e32 v4, 20, v18
	v_lshlrev_b64 v[37:38], v4, 1
	v_bfi_b32 v3, v3, 0, 0
	v_bfi_b32 v2, v2, 0, v28
	v_cmp_eq_u64_e64 s[40:41], v[2:3], v[37:38]
	v_lshrrev_b64 v[2:3], v18, v[28:29]
	v_mov_b32_e32 v4, v3
	v_mov_b32_e32 v3, v2
	s_and_saveexec_b64 s[50:51], s[40:41]
; %bb.3094:                             ;   in Loop: Header=BB2_3018 Depth=4
	v_bfe_u32 v3, v2, 21, 1
	v_add_co_u32_e64 v3, s[40:41], v2, v3
	v_add_co_u32_e64 v3, s[40:41], -1, v3
; %bb.3095:                             ;   in Loop: Header=BB2_3018 Depth=4
	s_or_b64 exec, exec, s[50:51]
	v_add_u32_e32 v4, 0xffffff81, v15
	v_cndmask_b32_e32 v4, v4, v1, vcc
	v_lshrrev_b32_e32 v15, 23, v2
	v_add3_u32 v18, v18, v4, v15
	v_add_u32_e32 v15, 14, v18
	v_and_b32_e32 v3, 0x1fffff, v3
	v_add_u32_e32 v28, v3, v2
	v_cmp_ne_u32_e32 vcc, 0, v15
                                        ; implicit-def: $vgpr2_vgpr3
                                        ; implicit-def: $vgpr4
	s_and_saveexec_b64 s[40:41], vcc
	s_xor_b64 s[40:41], exec, s[40:41]
; %bb.3096:                             ;   in Loop: Header=BB2_3018 Depth=4
	v_cmp_lt_u64_e32 vcc, s[88:89], v[28:29]
	v_add_u32_e32 v2, 15, v18
	v_cndmask_b32_e32 v4, v15, v2, vcc
	v_cndmask_b32_e64 v2, 0, 1, vcc
	v_lshrrev_b64 v[2:3], v2, v[28:29]
; %bb.3097:                             ;   in Loop: Header=BB2_3018 Depth=4
	s_andn2_saveexec_b64 s[40:41], s[40:41]
; %bb.3098:                             ;   in Loop: Header=BB2_3018 Depth=4
	v_mov_b32_e32 v2, v28
	v_bfe_u32 v4, v28, 23, 1
	v_mov_b32_e32 v3, v29
; %bb.3099:                             ;   in Loop: Header=BB2_3018 Depth=4
	s_or_b64 exec, exec, s[40:41]
	v_lshrrev_b64 v[2:3], 21, v[2:3]
	v_cmp_gt_i32_e32 vcc, 32, v4
	v_cndmask_b32_e32 v3, 0, v3, vcc
	v_cndmask_b32_e32 v2, 3, v2, vcc
	v_cmp_eq_u64_e64 s[40:41], 0, v[2:3]
	v_min_i32_e32 v3, 31, v4
	v_lshlrev_b32_e32 v3, 2, v3
	v_cmp_eq_u32_e32 vcc, 0, v4
	v_and_b32_e32 v3, 0xfc, v3
	v_and_or_b32 v2, v2, 3, v3
	s_and_b64 s[40:41], vcc, s[40:41]
	v_cndmask_b32_e64 v2, v2, 0, s[40:41]
	v_or_b32_e32 v51, v2, v5
.LBB2_3100:                             ;   in Loop: Header=BB2_3018 Depth=4
	s_or_b64 exec, exec, s[48:49]
                                        ; implicit-def: $vgpr5
.LBB2_3101:                             ;   in Loop: Header=BB2_3018 Depth=4
	s_andn2_saveexec_b64 s[40:41], s[38:39]
; %bb.3102:                             ;   in Loop: Header=BB2_3018 Depth=4
	v_or_b32_e32 v51, 0x7b, v5
; %bb.3103:                             ;   in Loop: Header=BB2_3018 Depth=4
	s_or_b64 exec, exec, s[40:41]
                                        ; implicit-def: $vgpr2
.LBB2_3104:                             ;   in Loop: Header=BB2_3018 Depth=4
	s_andn2_saveexec_b64 s[40:41], s[42:43]
	s_cbranch_execz .LBB2_3110
; %bb.3105:                             ;   in Loop: Header=BB2_3018 Depth=4
	v_cmp_ne_u64_e32 vcc, 0, v[28:29]
                                        ; implicit-def: $vgpr51
	s_and_saveexec_b64 s[42:43], vcc
	s_xor_b64 s[42:43], exec, s[42:43]
; %bb.3106:                             ;   in Loop: Header=BB2_3018 Depth=4
	v_or_b32_sdwa v51, v2, s47 dst_sel:DWORD dst_unused:UNUSED_PAD src0_sel:BYTE_3 src1_sel:DWORD
                                        ; implicit-def: $vgpr2
; %bb.3107:                             ;   in Loop: Header=BB2_3018 Depth=4
	s_andn2_saveexec_b64 s[42:43], s[42:43]
; %bb.3108:                             ;   in Loop: Header=BB2_3018 Depth=4
	v_cmp_lt_i32_e32 vcc, -1, v2
	v_cndmask_b32_e32 v51, v6, v22, vcc
; %bb.3109:                             ;   in Loop: Header=BB2_3018 Depth=4
	s_or_b64 exec, exec, s[42:43]
.LBB2_3110:                             ;   in Loop: Header=BB2_3018 Depth=4
	s_or_b64 exec, exec, s[40:41]
	v_cmp_lt_u32_e32 vcc, s57, v8
	v_mov_b32_e32 v3, 0
	s_and_saveexec_b64 s[40:41], vcc
	s_cbranch_execz .LBB2_3118
; %bb.3111:                             ;   in Loop: Header=BB2_3018 Depth=4
	v_lshrrev_b32_e32 v2, 24, v8
	v_cmp_ne_u32_e32 vcc, s96, v2
	v_bfrev_b32_e32 v3, 1
	s_and_saveexec_b64 s[42:43], vcc
	s_cbranch_execz .LBB2_3117
; %bb.3112:                             ;   in Loop: Header=BB2_3018 Depth=4
	v_and_b32_e32 v3, 0x7c000000, v8
	v_bfe_u32 v4, v8, 24, 2
	v_cmp_ne_u32_e32 vcc, s45, v3
                                        ; implicit-def: $vgpr3
	s_and_saveexec_b64 s[38:39], vcc
	s_xor_b64 s[38:39], exec, s[38:39]
	s_cbranch_execz .LBB2_3114
; %bb.3113:                             ;   in Loop: Header=BB2_3018 Depth=4
	v_ffbh_u32_e32 v3, v4
	v_min_u32_e32 v15, 32, v3
	v_subrev_u32_e32 v3, 29, v15
	v_lshlrev_b64 v[2:3], v3, v[2:3]
	v_bfe_u32 v5, v8, 26, 5
	v_sub_u32_e32 v3, 30, v15
	v_and_b32_e32 v2, 3, v2
	v_cmp_eq_u32_e32 vcc, 0, v5
	v_cndmask_b32_e32 v3, v5, v3, vcc
	v_cndmask_b32_e32 v2, v4, v2, vcc
	v_and_b32_e32 v4, 0x80000000, v8
	v_lshl_add_u32 v3, v3, 23, v4
	v_lshl_or_b32 v2, v2, 21, v3
	v_add_u32_e32 v3, 0x38000000, v2
                                        ; implicit-def: $vgpr4
.LBB2_3114:                             ;   in Loop: Header=BB2_3018 Depth=4
	s_andn2_saveexec_b64 s[38:39], s[38:39]
; %bb.3115:                             ;   in Loop: Header=BB2_3018 Depth=4
	v_cmp_lt_i32_e32 vcc, -1, v8
	v_cndmask_b32_e32 v2, v7, v0, vcc
	v_cmp_eq_u32_e32 vcc, 0, v4
	v_cndmask_b32_e32 v3, v35, v2, vcc
; %bb.3116:                             ;   in Loop: Header=BB2_3018 Depth=4
	s_or_b64 exec, exec, s[38:39]
.LBB2_3117:                             ;   in Loop: Header=BB2_3018 Depth=4
	s_or_b64 exec, exec, s[42:43]
.LBB2_3118:                             ;   in Loop: Header=BB2_3018 Depth=4
	s_or_b64 exec, exec, s[40:41]
	v_mul_f32_e32 v2, v17, v3
	v_and_b32_e32 v3, 0x7f800000, v2
	v_mov_b32_e32 v4, v29
	v_cmp_ne_u64_e32 vcc, s[76:77], v[3:4]
	v_and_b32_e32 v28, 0x7fffff, v2
                                        ; implicit-def: $vgpr57
	s_and_saveexec_b64 s[40:41], vcc
	s_xor_b64 s[42:43], exec, s[40:41]
	s_cbranch_execz .LBB2_3132
; %bb.3119:                             ;   in Loop: Header=BB2_3018 Depth=4
	v_and_b32_e32 v3, 0x7fffffff, v2
	v_mov_b32_e32 v4, v29
	v_cmp_gt_u64_e32 vcc, s[78:79], v[3:4]
	v_and_b32_sdwa v5, v2, s96 dst_sel:DWORD dst_unused:UNUSED_PAD src0_sel:BYTE_3 src1_sel:DWORD
                                        ; implicit-def: $vgpr57
	s_and_saveexec_b64 s[40:41], vcc
	s_xor_b64 s[38:39], exec, s[40:41]
	s_cbranch_execz .LBB2_3129
; %bb.3120:                             ;   in Loop: Header=BB2_3018 Depth=4
	v_mov_b32_e32 v57, 0
	v_cmp_ne_u32_e32 vcc, 0, v2
	s_and_saveexec_b64 s[48:49], vcc
	s_cbranch_execz .LBB2_3128
; %bb.3121:                             ;   in Loop: Header=BB2_3018 Depth=4
	v_bfe_u32 v15, v2, 23, 8
	v_cmp_gt_u32_e64 s[40:41], s46, v15
	v_sub_u32_e32 v2, 0x71, v15
	v_cmp_eq_u32_e32 vcc, 0, v15
	v_cndmask_b32_e64 v2, 0, v2, s[40:41]
	v_mov_b32_e32 v4, 0x70
	v_cndmask_b32_e32 v18, v2, v4, vcc
	v_or_b32_e32 v3, 0x800000, v28
	v_add_u32_e32 v2, 21, v18
	v_cndmask_b32_e32 v28, v3, v28, vcc
	v_lshlrev_b64 v[2:3], v2, -1
	v_add_u32_e32 v4, 20, v18
	v_lshlrev_b64 v[37:38], v4, 1
	v_bfi_b32 v3, v3, 0, 0
	v_bfi_b32 v2, v2, 0, v28
	v_cmp_eq_u64_e64 s[40:41], v[2:3], v[37:38]
	v_lshrrev_b64 v[2:3], v18, v[28:29]
	v_mov_b32_e32 v4, v3
	v_mov_b32_e32 v3, v2
	s_and_saveexec_b64 s[50:51], s[40:41]
; %bb.3122:                             ;   in Loop: Header=BB2_3018 Depth=4
	v_bfe_u32 v3, v2, 21, 1
	v_add_co_u32_e64 v3, s[40:41], v2, v3
	v_add_co_u32_e64 v3, s[40:41], -1, v3
; %bb.3123:                             ;   in Loop: Header=BB2_3018 Depth=4
	s_or_b64 exec, exec, s[50:51]
	v_add_u32_e32 v4, 0xffffff81, v15
	v_cndmask_b32_e32 v4, v4, v1, vcc
	v_lshrrev_b32_e32 v15, 23, v2
	v_add3_u32 v18, v18, v4, v15
	v_add_u32_e32 v15, 14, v18
	v_and_b32_e32 v3, 0x1fffff, v3
	v_add_u32_e32 v28, v3, v2
	v_cmp_ne_u32_e32 vcc, 0, v15
                                        ; implicit-def: $vgpr2_vgpr3
                                        ; implicit-def: $vgpr4
	s_and_saveexec_b64 s[40:41], vcc
	s_xor_b64 s[40:41], exec, s[40:41]
; %bb.3124:                             ;   in Loop: Header=BB2_3018 Depth=4
	v_cmp_lt_u64_e32 vcc, s[88:89], v[28:29]
	v_add_u32_e32 v2, 15, v18
	v_cndmask_b32_e32 v4, v15, v2, vcc
	v_cndmask_b32_e64 v2, 0, 1, vcc
	v_lshrrev_b64 v[2:3], v2, v[28:29]
; %bb.3125:                             ;   in Loop: Header=BB2_3018 Depth=4
	s_andn2_saveexec_b64 s[40:41], s[40:41]
; %bb.3126:                             ;   in Loop: Header=BB2_3018 Depth=4
	v_mov_b32_e32 v2, v28
	v_bfe_u32 v4, v28, 23, 1
	v_mov_b32_e32 v3, v29
; %bb.3127:                             ;   in Loop: Header=BB2_3018 Depth=4
	s_or_b64 exec, exec, s[40:41]
	v_lshrrev_b64 v[2:3], 21, v[2:3]
	v_cmp_gt_i32_e32 vcc, 32, v4
	v_cndmask_b32_e32 v3, 0, v3, vcc
	v_cndmask_b32_e32 v2, 3, v2, vcc
	v_cmp_eq_u64_e64 s[40:41], 0, v[2:3]
	v_min_i32_e32 v3, 31, v4
	v_lshlrev_b32_e32 v3, 2, v3
	v_cmp_eq_u32_e32 vcc, 0, v4
	v_and_b32_e32 v3, 0xfc, v3
	v_and_or_b32 v2, v2, 3, v3
	s_and_b64 s[40:41], vcc, s[40:41]
	v_cndmask_b32_e64 v2, v2, 0, s[40:41]
	v_or_b32_e32 v57, v2, v5
.LBB2_3128:                             ;   in Loop: Header=BB2_3018 Depth=4
	s_or_b64 exec, exec, s[48:49]
                                        ; implicit-def: $vgpr5
.LBB2_3129:                             ;   in Loop: Header=BB2_3018 Depth=4
	s_andn2_saveexec_b64 s[40:41], s[38:39]
; %bb.3130:                             ;   in Loop: Header=BB2_3018 Depth=4
	v_or_b32_e32 v57, 0x7b, v5
; %bb.3131:                             ;   in Loop: Header=BB2_3018 Depth=4
	s_or_b64 exec, exec, s[40:41]
                                        ; implicit-def: $vgpr2
.LBB2_3132:                             ;   in Loop: Header=BB2_3018 Depth=4
	s_andn2_saveexec_b64 s[40:41], s[42:43]
	s_cbranch_execz .LBB2_3138
; %bb.3133:                             ;   in Loop: Header=BB2_3018 Depth=4
	v_cmp_ne_u64_e32 vcc, 0, v[28:29]
                                        ; implicit-def: $vgpr57
	s_and_saveexec_b64 s[42:43], vcc
	s_xor_b64 s[42:43], exec, s[42:43]
; %bb.3134:                             ;   in Loop: Header=BB2_3018 Depth=4
	v_or_b32_sdwa v57, v2, s47 dst_sel:DWORD dst_unused:UNUSED_PAD src0_sel:BYTE_3 src1_sel:DWORD
                                        ; implicit-def: $vgpr2
; %bb.3135:                             ;   in Loop: Header=BB2_3018 Depth=4
	s_andn2_saveexec_b64 s[42:43], s[42:43]
; %bb.3136:                             ;   in Loop: Header=BB2_3018 Depth=4
	v_cmp_lt_i32_e32 vcc, -1, v2
	v_cndmask_b32_e32 v57, v6, v22, vcc
; %bb.3137:                             ;   in Loop: Header=BB2_3018 Depth=4
	s_or_b64 exec, exec, s[42:43]
.LBB2_3138:                             ;   in Loop: Header=BB2_3018 Depth=4
	s_or_b64 exec, exec, s[40:41]
	v_mov_b32_e32 v28, v9
	v_cmp_ne_u16_sdwa s[42:43], v9, v29 src0_sel:BYTE_0 src1_sel:DWORD
	v_mov_b32_e32 v2, 0
	s_and_saveexec_b64 s[40:41], s[42:43]
	s_cbranch_execz .LBB2_3146
; %bb.3139:                             ;   in Loop: Header=BB2_3018 Depth=4
	v_cmp_ne_u16_sdwa vcc, v9, s96 src0_sel:BYTE_0 src1_sel:DWORD
	v_bfrev_b32_e32 v2, 1
	s_and_saveexec_b64 s[42:43], vcc
	s_cbranch_execz .LBB2_3145
; %bb.3140:                             ;   in Loop: Header=BB2_3018 Depth=4
	v_and_b32_e32 v2, 0x7c, v9
	v_and_b32_e32 v3, 3, v9
	v_cmp_ne_u32_e32 vcc, s85, v2
                                        ; implicit-def: $vgpr2
	s_and_saveexec_b64 s[38:39], vcc
	s_xor_b64 s[38:39], exec, s[38:39]
	s_cbranch_execz .LBB2_3142
; %bb.3141:                             ;   in Loop: Header=BB2_3018 Depth=4
	v_ffbh_u32_e32 v4, v3
	v_min_u32_e32 v15, 32, v4
	v_subrev_u32_e32 v4, 29, v15
	v_lshlrev_b64 v[4:5], v4, v[28:29]
	v_bfe_u32 v2, v9, 2, 5
	v_and_b32_e32 v4, 3, v4
	v_cmp_eq_u32_e32 vcc, 0, v2
	v_sub_u32_e32 v5, 30, v15
	v_cndmask_b32_e32 v3, v3, v4, vcc
	v_lshlrev_b32_e32 v4, 24, v9
	v_cndmask_b32_e32 v2, v2, v5, vcc
	v_and_b32_e32 v4, 0x80000000, v4
	v_lshl_add_u32 v2, v2, 23, v4
	v_lshl_or_b32 v2, v3, 21, v2
	v_add_u32_e32 v2, 0x38000000, v2
                                        ; implicit-def: $vgpr3
.LBB2_3142:                             ;   in Loop: Header=BB2_3018 Depth=4
	s_andn2_saveexec_b64 s[38:39], s[38:39]
; %bb.3143:                             ;   in Loop: Header=BB2_3018 Depth=4
	v_cmp_gt_i16_sdwa vcc, sext(v9), v48 src0_sel:BYTE_0 src1_sel:DWORD
	v_cndmask_b32_e32 v2, v7, v0, vcc
	v_cmp_eq_u32_e32 vcc, 0, v3
	v_cndmask_b32_e32 v2, v35, v2, vcc
; %bb.3144:                             ;   in Loop: Header=BB2_3018 Depth=4
	s_or_b64 exec, exec, s[38:39]
.LBB2_3145:                             ;   in Loop: Header=BB2_3018 Depth=4
	s_or_b64 exec, exec, s[42:43]
.LBB2_3146:                             ;   in Loop: Header=BB2_3018 Depth=4
	s_or_b64 exec, exec, s[40:41]
	v_mul_f32_e32 v4, v17, v2
	v_and_b32_e32 v18, 0x7f800000, v4
	v_mov_b32_e32 v19, v29
	v_cmp_ne_u64_e32 vcc, s[76:77], v[18:19]
	v_and_b32_e32 v2, 0x7fffff, v4
	v_mov_b32_e32 v3, v29
                                        ; implicit-def: $vgpr5
	s_and_saveexec_b64 s[40:41], vcc
	s_xor_b64 s[42:43], exec, s[40:41]
	s_cbranch_execz .LBB2_3160
; %bb.3147:                             ;   in Loop: Header=BB2_3018 Depth=4
	v_and_b32_e32 v18, 0x7fffffff, v4
	v_mov_b32_e32 v19, v29
	v_cmp_gt_u64_e32 vcc, s[78:79], v[18:19]
	v_and_b32_sdwa v15, v4, s96 dst_sel:DWORD dst_unused:UNUSED_PAD src0_sel:BYTE_3 src1_sel:DWORD
                                        ; implicit-def: $vgpr5
	s_and_saveexec_b64 s[40:41], vcc
	s_xor_b64 s[38:39], exec, s[40:41]
	s_cbranch_execz .LBB2_3157
; %bb.3148:                             ;   in Loop: Header=BB2_3018 Depth=4
	v_mov_b32_e32 v5, 0
	v_cmp_ne_u32_e32 vcc, 0, v4
	s_and_saveexec_b64 s[48:49], vcc
	s_cbranch_execz .LBB2_3156
; %bb.3149:                             ;   in Loop: Header=BB2_3018 Depth=4
	v_bfe_u32 v5, v4, 23, 8
	v_cmp_gt_u32_e64 s[40:41], s46, v5
	v_sub_u32_e32 v4, 0x71, v5
	v_cmp_eq_u32_e32 vcc, 0, v5
	v_cndmask_b32_e64 v4, 0, v4, s[40:41]
	v_mov_b32_e32 v18, 0x70
	v_cndmask_b32_e32 v18, v4, v18, vcc
	v_add_u32_e32 v4, 21, v18
	v_or_b32_e32 v19, 0x800000, v2
	v_lshlrev_b64 v[37:38], v4, -1
	v_cndmask_b32_e32 v2, v19, v2, vcc
	v_add_u32_e32 v4, 20, v18
	v_bfi_b32 v37, v37, 0, v2
	v_lshlrev_b64 v[52:53], v4, 1
	v_lshrrev_b64 v[2:3], v18, v[2:3]
	v_bfi_b32 v38, v38, 0, 0
	v_cmp_eq_u64_e64 s[40:41], v[37:38], v[52:53]
	v_mov_b32_e32 v4, v3
	v_mov_b32_e32 v3, v2
	s_and_saveexec_b64 s[50:51], s[40:41]
; %bb.3150:                             ;   in Loop: Header=BB2_3018 Depth=4
	v_bfe_u32 v3, v2, 21, 1
	v_add_co_u32_e64 v3, s[40:41], v2, v3
	v_add_co_u32_e64 v3, s[40:41], -1, v3
; %bb.3151:                             ;   in Loop: Header=BB2_3018 Depth=4
	s_or_b64 exec, exec, s[50:51]
	v_add_u32_e32 v4, 0xffffff81, v5
	v_cndmask_b32_e32 v4, v4, v1, vcc
	v_lshrrev_b32_e32 v5, 23, v2
	v_add3_u32 v18, v18, v4, v5
	v_add_u32_e32 v5, 14, v18
	v_and_b32_e32 v3, 0x1fffff, v3
	v_add_u32_e32 v2, v3, v2
	v_mov_b32_e32 v3, v29
	v_cmp_ne_u32_e32 vcc, 0, v5
                                        ; implicit-def: $vgpr4
	s_and_saveexec_b64 s[40:41], vcc
	s_xor_b64 s[40:41], exec, s[40:41]
; %bb.3152:                             ;   in Loop: Header=BB2_3018 Depth=4
	v_cmp_lt_u64_e32 vcc, s[88:89], v[2:3]
	v_add_u32_e32 v4, 15, v18
	v_cndmask_b32_e32 v4, v5, v4, vcc
	v_cndmask_b32_e64 v5, 0, 1, vcc
	v_lshrrev_b64 v[2:3], v5, v[2:3]
; %bb.3153:                             ;   in Loop: Header=BB2_3018 Depth=4
	s_andn2_saveexec_b64 s[40:41], s[40:41]
; %bb.3154:                             ;   in Loop: Header=BB2_3018 Depth=4
	v_bfe_u32 v4, v2, 23, 1
; %bb.3155:                             ;   in Loop: Header=BB2_3018 Depth=4
	s_or_b64 exec, exec, s[40:41]
	v_lshrrev_b64 v[2:3], 21, v[2:3]
	v_cmp_gt_i32_e32 vcc, 32, v4
	v_cndmask_b32_e32 v3, 0, v3, vcc
	v_cndmask_b32_e32 v2, 3, v2, vcc
	v_cmp_eq_u64_e64 s[40:41], 0, v[2:3]
	v_min_i32_e32 v3, 31, v4
	v_lshlrev_b32_e32 v3, 2, v3
	v_cmp_eq_u32_e32 vcc, 0, v4
	v_and_b32_e32 v3, 0xfc, v3
	v_and_or_b32 v2, v2, 3, v3
	s_and_b64 s[40:41], vcc, s[40:41]
	v_cndmask_b32_e64 v2, v2, 0, s[40:41]
	v_or_b32_e32 v5, v2, v15
.LBB2_3156:                             ;   in Loop: Header=BB2_3018 Depth=4
	s_or_b64 exec, exec, s[48:49]
                                        ; implicit-def: $vgpr15
.LBB2_3157:                             ;   in Loop: Header=BB2_3018 Depth=4
	s_andn2_saveexec_b64 s[40:41], s[38:39]
; %bb.3158:                             ;   in Loop: Header=BB2_3018 Depth=4
	v_or_b32_e32 v5, 0x7b, v15
; %bb.3159:                             ;   in Loop: Header=BB2_3018 Depth=4
	s_or_b64 exec, exec, s[40:41]
                                        ; implicit-def: $vgpr4
                                        ; implicit-def: $vgpr2_vgpr3
.LBB2_3160:                             ;   in Loop: Header=BB2_3018 Depth=4
	s_andn2_saveexec_b64 s[40:41], s[42:43]
	s_cbranch_execz .LBB2_3166
; %bb.3161:                             ;   in Loop: Header=BB2_3018 Depth=4
	v_cmp_ne_u64_e32 vcc, 0, v[2:3]
                                        ; implicit-def: $vgpr5
	s_and_saveexec_b64 s[42:43], vcc
	s_xor_b64 s[42:43], exec, s[42:43]
; %bb.3162:                             ;   in Loop: Header=BB2_3018 Depth=4
	v_or_b32_sdwa v5, v4, s47 dst_sel:DWORD dst_unused:UNUSED_PAD src0_sel:BYTE_3 src1_sel:DWORD
                                        ; implicit-def: $vgpr4
; %bb.3163:                             ;   in Loop: Header=BB2_3018 Depth=4
	s_andn2_saveexec_b64 s[42:43], s[42:43]
; %bb.3164:                             ;   in Loop: Header=BB2_3018 Depth=4
	v_cmp_lt_i32_e32 vcc, -1, v4
	v_cndmask_b32_e32 v5, v6, v22, vcc
; %bb.3165:                             ;   in Loop: Header=BB2_3018 Depth=4
	s_or_b64 exec, exec, s[42:43]
.LBB2_3166:                             ;   in Loop: Header=BB2_3018 Depth=4
	s_or_b64 exec, exec, s[40:41]
	v_lshrrev_b16_e32 v2, 8, v28
	v_cmp_ne_u16_e32 vcc, 0, v2
	v_mov_b32_e32 v3, 0
	s_and_saveexec_b64 s[40:41], vcc
	s_cbranch_execz .LBB2_3174
; %bb.3167:                             ;   in Loop: Header=BB2_3018 Depth=4
	v_cmp_ne_u16_e32 vcc, s96, v2
	v_bfrev_b32_e32 v3, 1
	s_and_saveexec_b64 s[42:43], vcc
	s_cbranch_execz .LBB2_3173
; %bb.3168:                             ;   in Loop: Header=BB2_3018 Depth=4
	v_and_b32_e32 v3, 0x7c, v2
	v_and_b32_e32 v4, 3, v2
	v_cmp_ne_u32_e32 vcc, s85, v3
                                        ; implicit-def: $vgpr3
	s_and_saveexec_b64 s[38:39], vcc
	s_xor_b64 s[38:39], exec, s[38:39]
	s_cbranch_execz .LBB2_3170
; %bb.3169:                             ;   in Loop: Header=BB2_3018 Depth=4
	v_ffbh_u32_e32 v18, v4
	v_min_u32_e32 v18, 32, v18
	v_mov_b32_e32 v3, v29
	v_subrev_u32_e32 v19, 29, v18
	v_bfe_u32 v15, v2, 2, 5
	v_lshlrev_b64 v[2:3], v19, v[2:3]
	v_cmp_eq_u32_e32 vcc, 0, v15
	v_and_b32_e32 v2, 3, v2
	v_sub_u32_e32 v3, 30, v18
	v_cndmask_b32_e32 v2, v4, v2, vcc
	v_lshlrev_b32_e32 v4, 16, v28
	v_cndmask_b32_e32 v3, v15, v3, vcc
	v_and_b32_e32 v4, 0x80000000, v4
	v_lshl_add_u32 v3, v3, 23, v4
	v_lshl_or_b32 v2, v2, 21, v3
	v_add_u32_e32 v3, 0x38000000, v2
                                        ; implicit-def: $vgpr4
.LBB2_3170:                             ;   in Loop: Header=BB2_3018 Depth=4
	s_andn2_saveexec_b64 s[38:39], s[38:39]
; %bb.3171:                             ;   in Loop: Header=BB2_3018 Depth=4
	v_cmp_lt_i16_e32 vcc, -1, v28
	v_cndmask_b32_e32 v2, v7, v0, vcc
	v_cmp_eq_u32_e32 vcc, 0, v4
	v_cndmask_b32_e32 v3, v35, v2, vcc
; %bb.3172:                             ;   in Loop: Header=BB2_3018 Depth=4
	s_or_b64 exec, exec, s[38:39]
.LBB2_3173:                             ;   in Loop: Header=BB2_3018 Depth=4
	s_or_b64 exec, exec, s[42:43]
.LBB2_3174:                             ;   in Loop: Header=BB2_3018 Depth=4
	s_or_b64 exec, exec, s[40:41]
	v_mul_f32_e32 v2, v17, v3
	v_and_b32_e32 v3, 0x7f800000, v2
	v_mov_b32_e32 v4, v29
	v_cmp_ne_u64_e32 vcc, s[76:77], v[3:4]
	v_and_b32_e32 v28, 0x7fffff, v2
                                        ; implicit-def: $vgpr15
	s_and_saveexec_b64 s[40:41], vcc
	s_xor_b64 s[42:43], exec, s[40:41]
	s_cbranch_execz .LBB2_3188
; %bb.3175:                             ;   in Loop: Header=BB2_3018 Depth=4
	v_and_b32_e32 v3, 0x7fffffff, v2
	v_mov_b32_e32 v4, v29
	v_cmp_gt_u64_e32 vcc, s[78:79], v[3:4]
	v_and_b32_sdwa v18, v2, s96 dst_sel:DWORD dst_unused:UNUSED_PAD src0_sel:BYTE_3 src1_sel:DWORD
                                        ; implicit-def: $vgpr15
	s_and_saveexec_b64 s[40:41], vcc
	s_xor_b64 s[38:39], exec, s[40:41]
	s_cbranch_execz .LBB2_3185
; %bb.3176:                             ;   in Loop: Header=BB2_3018 Depth=4
	v_mov_b32_e32 v15, 0
	v_cmp_ne_u32_e32 vcc, 0, v2
	s_and_saveexec_b64 s[48:49], vcc
	s_cbranch_execz .LBB2_3184
; %bb.3177:                             ;   in Loop: Header=BB2_3018 Depth=4
	v_bfe_u32 v15, v2, 23, 8
	v_cmp_gt_u32_e64 s[40:41], s46, v15
	v_sub_u32_e32 v2, 0x71, v15
	v_cmp_eq_u32_e32 vcc, 0, v15
	v_cndmask_b32_e64 v2, 0, v2, s[40:41]
	v_mov_b32_e32 v4, 0x70
	v_cndmask_b32_e32 v19, v2, v4, vcc
	v_or_b32_e32 v3, 0x800000, v28
	v_add_u32_e32 v2, 21, v19
	v_cndmask_b32_e32 v28, v3, v28, vcc
	v_lshlrev_b64 v[2:3], v2, -1
	v_add_u32_e32 v4, 20, v19
	v_lshlrev_b64 v[37:38], v4, 1
	v_bfi_b32 v3, v3, 0, 0
	v_bfi_b32 v2, v2, 0, v28
	v_cmp_eq_u64_e64 s[40:41], v[2:3], v[37:38]
	v_lshrrev_b64 v[2:3], v19, v[28:29]
	v_mov_b32_e32 v4, v3
	v_mov_b32_e32 v3, v2
	s_and_saveexec_b64 s[50:51], s[40:41]
; %bb.3178:                             ;   in Loop: Header=BB2_3018 Depth=4
	v_bfe_u32 v3, v2, 21, 1
	v_add_co_u32_e64 v3, s[40:41], v2, v3
	v_add_co_u32_e64 v3, s[40:41], -1, v3
; %bb.3179:                             ;   in Loop: Header=BB2_3018 Depth=4
	s_or_b64 exec, exec, s[50:51]
	v_add_u32_e32 v4, 0xffffff81, v15
	v_cndmask_b32_e32 v4, v4, v1, vcc
	v_lshrrev_b32_e32 v15, 23, v2
	v_add3_u32 v19, v19, v4, v15
	v_add_u32_e32 v15, 14, v19
	v_and_b32_e32 v3, 0x1fffff, v3
	v_add_u32_e32 v28, v3, v2
	v_cmp_ne_u32_e32 vcc, 0, v15
                                        ; implicit-def: $vgpr2_vgpr3
                                        ; implicit-def: $vgpr4
	s_and_saveexec_b64 s[40:41], vcc
	s_xor_b64 s[40:41], exec, s[40:41]
; %bb.3180:                             ;   in Loop: Header=BB2_3018 Depth=4
	v_cmp_lt_u64_e32 vcc, s[88:89], v[28:29]
	v_add_u32_e32 v2, 15, v19
	v_cndmask_b32_e32 v4, v15, v2, vcc
	v_cndmask_b32_e64 v2, 0, 1, vcc
	v_lshrrev_b64 v[2:3], v2, v[28:29]
; %bb.3181:                             ;   in Loop: Header=BB2_3018 Depth=4
	s_andn2_saveexec_b64 s[40:41], s[40:41]
; %bb.3182:                             ;   in Loop: Header=BB2_3018 Depth=4
	v_mov_b32_e32 v2, v28
	v_bfe_u32 v4, v28, 23, 1
	v_mov_b32_e32 v3, v29
; %bb.3183:                             ;   in Loop: Header=BB2_3018 Depth=4
	s_or_b64 exec, exec, s[40:41]
	v_lshrrev_b64 v[2:3], 21, v[2:3]
	v_cmp_gt_i32_e32 vcc, 32, v4
	v_cndmask_b32_e32 v3, 0, v3, vcc
	v_cndmask_b32_e32 v2, 3, v2, vcc
	v_cmp_eq_u64_e64 s[40:41], 0, v[2:3]
	v_min_i32_e32 v3, 31, v4
	v_lshlrev_b32_e32 v3, 2, v3
	v_cmp_eq_u32_e32 vcc, 0, v4
	v_and_b32_e32 v3, 0xfc, v3
	v_and_or_b32 v2, v2, 3, v3
	s_and_b64 s[40:41], vcc, s[40:41]
	v_cndmask_b32_e64 v2, v2, 0, s[40:41]
	v_or_b32_e32 v15, v2, v18
.LBB2_3184:                             ;   in Loop: Header=BB2_3018 Depth=4
	s_or_b64 exec, exec, s[48:49]
                                        ; implicit-def: $vgpr18
.LBB2_3185:                             ;   in Loop: Header=BB2_3018 Depth=4
	s_andn2_saveexec_b64 s[40:41], s[38:39]
; %bb.3186:                             ;   in Loop: Header=BB2_3018 Depth=4
	v_or_b32_e32 v15, 0x7b, v18
; %bb.3187:                             ;   in Loop: Header=BB2_3018 Depth=4
	s_or_b64 exec, exec, s[40:41]
                                        ; implicit-def: $vgpr2
.LBB2_3188:                             ;   in Loop: Header=BB2_3018 Depth=4
	s_andn2_saveexec_b64 s[40:41], s[42:43]
	s_cbranch_execz .LBB2_3194
; %bb.3189:                             ;   in Loop: Header=BB2_3018 Depth=4
	v_cmp_ne_u64_e32 vcc, 0, v[28:29]
                                        ; implicit-def: $vgpr15
	s_and_saveexec_b64 s[42:43], vcc
	s_xor_b64 s[42:43], exec, s[42:43]
; %bb.3190:                             ;   in Loop: Header=BB2_3018 Depth=4
	v_or_b32_sdwa v15, v2, s47 dst_sel:DWORD dst_unused:UNUSED_PAD src0_sel:BYTE_3 src1_sel:DWORD
                                        ; implicit-def: $vgpr2
; %bb.3191:                             ;   in Loop: Header=BB2_3018 Depth=4
	s_andn2_saveexec_b64 s[42:43], s[42:43]
; %bb.3192:                             ;   in Loop: Header=BB2_3018 Depth=4
	v_cmp_lt_i32_e32 vcc, -1, v2
	v_cndmask_b32_e32 v15, v6, v22, vcc
; %bb.3193:                             ;   in Loop: Header=BB2_3018 Depth=4
	s_or_b64 exec, exec, s[42:43]
.LBB2_3194:                             ;   in Loop: Header=BB2_3018 Depth=4
	s_or_b64 exec, exec, s[40:41]
	v_lshrrev_b32_e32 v2, 16, v9
	v_cmp_ne_u16_sdwa s[42:43], v2, v29 src0_sel:BYTE_0 src1_sel:DWORD
	v_mov_b32_e32 v3, 0
	s_and_saveexec_b64 s[40:41], s[42:43]
	s_cbranch_execz .LBB2_3202
; %bb.3195:                             ;   in Loop: Header=BB2_3018 Depth=4
	v_cmp_ne_u16_sdwa vcc, v2, s96 src0_sel:BYTE_0 src1_sel:DWORD
	v_bfrev_b32_e32 v3, 1
	s_and_saveexec_b64 s[42:43], vcc
	s_cbranch_execz .LBB2_3201
; %bb.3196:                             ;   in Loop: Header=BB2_3018 Depth=4
	v_and_b32_e32 v3, 0x7c0000, v9
	v_bfe_u32 v4, v9, 16, 2
	v_cmp_ne_u32_e32 vcc, s44, v3
                                        ; implicit-def: $vgpr3
	s_and_saveexec_b64 s[38:39], vcc
	s_xor_b64 s[38:39], exec, s[38:39]
	s_cbranch_execz .LBB2_3198
; %bb.3197:                             ;   in Loop: Header=BB2_3018 Depth=4
	v_ffbh_u32_e32 v3, v4
	v_min_u32_e32 v19, 32, v3
	v_subrev_u32_e32 v3, 29, v19
	v_lshlrev_b64 v[2:3], v3, v[2:3]
	v_bfe_u32 v18, v9, 18, 5
	v_and_b32_e32 v2, 3, v2
	v_cmp_eq_u32_e32 vcc, 0, v18
	v_sub_u32_e32 v3, 30, v19
	v_cndmask_b32_e32 v2, v4, v2, vcc
	v_lshlrev_b32_e32 v4, 8, v9
	v_cndmask_b32_e32 v3, v18, v3, vcc
	v_and_b32_e32 v4, 0x80000000, v4
	v_lshl_add_u32 v3, v3, 23, v4
	v_lshl_or_b32 v2, v2, 21, v3
	v_add_u32_e32 v3, 0x38000000, v2
                                        ; implicit-def: $vgpr4
                                        ; implicit-def: $vgpr2
.LBB2_3198:                             ;   in Loop: Header=BB2_3018 Depth=4
	s_andn2_saveexec_b64 s[38:39], s[38:39]
; %bb.3199:                             ;   in Loop: Header=BB2_3018 Depth=4
	v_cmp_gt_i16_sdwa vcc, sext(v2), v48 src0_sel:BYTE_0 src1_sel:DWORD
	v_cndmask_b32_e32 v2, v7, v0, vcc
	v_cmp_eq_u32_e32 vcc, 0, v4
	v_cndmask_b32_e32 v3, v35, v2, vcc
; %bb.3200:                             ;   in Loop: Header=BB2_3018 Depth=4
	s_or_b64 exec, exec, s[38:39]
.LBB2_3201:                             ;   in Loop: Header=BB2_3018 Depth=4
	s_or_b64 exec, exec, s[42:43]
.LBB2_3202:                             ;   in Loop: Header=BB2_3018 Depth=4
	s_or_b64 exec, exec, s[40:41]
	v_mul_f32_e32 v2, v17, v3
	v_and_b32_e32 v3, 0x7f800000, v2
	v_mov_b32_e32 v4, v29
	v_cmp_ne_u64_e32 vcc, s[76:77], v[3:4]
	v_and_b32_e32 v28, 0x7fffff, v2
                                        ; implicit-def: $vgpr30
	s_and_saveexec_b64 s[40:41], vcc
	s_xor_b64 s[42:43], exec, s[40:41]
	s_cbranch_execz .LBB2_3216
; %bb.3203:                             ;   in Loop: Header=BB2_3018 Depth=4
	v_and_b32_e32 v3, 0x7fffffff, v2
	v_mov_b32_e32 v4, v29
	v_cmp_gt_u64_e32 vcc, s[78:79], v[3:4]
	v_and_b32_sdwa v18, v2, s96 dst_sel:DWORD dst_unused:UNUSED_PAD src0_sel:BYTE_3 src1_sel:DWORD
                                        ; implicit-def: $vgpr30
	s_and_saveexec_b64 s[40:41], vcc
	s_xor_b64 s[38:39], exec, s[40:41]
	s_cbranch_execz .LBB2_3213
; %bb.3204:                             ;   in Loop: Header=BB2_3018 Depth=4
	v_mov_b32_e32 v30, 0
	v_cmp_ne_u32_e32 vcc, 0, v2
	s_and_saveexec_b64 s[48:49], vcc
	s_cbranch_execz .LBB2_3212
; %bb.3205:                             ;   in Loop: Header=BB2_3018 Depth=4
	v_bfe_u32 v19, v2, 23, 8
	v_cmp_gt_u32_e64 s[40:41], s46, v19
	v_sub_u32_e32 v2, 0x71, v19
	v_cmp_eq_u32_e32 vcc, 0, v19
	v_cndmask_b32_e64 v2, 0, v2, s[40:41]
	v_mov_b32_e32 v4, 0x70
	v_cndmask_b32_e32 v30, v2, v4, vcc
	v_or_b32_e32 v3, 0x800000, v28
	v_add_u32_e32 v2, 21, v30
	v_cndmask_b32_e32 v28, v3, v28, vcc
	v_lshlrev_b64 v[2:3], v2, -1
	v_add_u32_e32 v4, 20, v30
	v_lshlrev_b64 v[37:38], v4, 1
	v_bfi_b32 v3, v3, 0, 0
	v_bfi_b32 v2, v2, 0, v28
	v_cmp_eq_u64_e64 s[40:41], v[2:3], v[37:38]
	v_lshrrev_b64 v[2:3], v30, v[28:29]
	v_mov_b32_e32 v4, v3
	v_mov_b32_e32 v3, v2
	s_and_saveexec_b64 s[50:51], s[40:41]
; %bb.3206:                             ;   in Loop: Header=BB2_3018 Depth=4
	v_bfe_u32 v3, v2, 21, 1
	v_add_co_u32_e64 v3, s[40:41], v2, v3
	v_add_co_u32_e64 v3, s[40:41], -1, v3
; %bb.3207:                             ;   in Loop: Header=BB2_3018 Depth=4
	s_or_b64 exec, exec, s[50:51]
	v_add_u32_e32 v4, 0xffffff81, v19
	v_cndmask_b32_e32 v4, v4, v1, vcc
	v_lshrrev_b32_e32 v19, 23, v2
	v_add3_u32 v30, v30, v4, v19
	v_add_u32_e32 v19, 14, v30
	v_and_b32_e32 v3, 0x1fffff, v3
	v_add_u32_e32 v28, v3, v2
	v_cmp_ne_u32_e32 vcc, 0, v19
                                        ; implicit-def: $vgpr2_vgpr3
                                        ; implicit-def: $vgpr4
	s_and_saveexec_b64 s[40:41], vcc
	s_xor_b64 s[40:41], exec, s[40:41]
; %bb.3208:                             ;   in Loop: Header=BB2_3018 Depth=4
	v_cmp_lt_u64_e32 vcc, s[88:89], v[28:29]
	v_add_u32_e32 v2, 15, v30
	v_cndmask_b32_e32 v4, v19, v2, vcc
	v_cndmask_b32_e64 v2, 0, 1, vcc
	v_lshrrev_b64 v[2:3], v2, v[28:29]
; %bb.3209:                             ;   in Loop: Header=BB2_3018 Depth=4
	s_andn2_saveexec_b64 s[40:41], s[40:41]
; %bb.3210:                             ;   in Loop: Header=BB2_3018 Depth=4
	v_mov_b32_e32 v2, v28
	v_bfe_u32 v4, v28, 23, 1
	v_mov_b32_e32 v3, v29
; %bb.3211:                             ;   in Loop: Header=BB2_3018 Depth=4
	s_or_b64 exec, exec, s[40:41]
	v_lshrrev_b64 v[2:3], 21, v[2:3]
	v_cmp_gt_i32_e32 vcc, 32, v4
	v_cndmask_b32_e32 v3, 0, v3, vcc
	v_cndmask_b32_e32 v2, 3, v2, vcc
	v_cmp_eq_u64_e64 s[40:41], 0, v[2:3]
	v_min_i32_e32 v3, 31, v4
	v_lshlrev_b32_e32 v3, 2, v3
	v_cmp_eq_u32_e32 vcc, 0, v4
	v_and_b32_e32 v3, 0xfc, v3
	v_and_or_b32 v2, v2, 3, v3
	s_and_b64 s[40:41], vcc, s[40:41]
	v_cndmask_b32_e64 v2, v2, 0, s[40:41]
	v_or_b32_e32 v30, v2, v18
.LBB2_3212:                             ;   in Loop: Header=BB2_3018 Depth=4
	s_or_b64 exec, exec, s[48:49]
                                        ; implicit-def: $vgpr18
.LBB2_3213:                             ;   in Loop: Header=BB2_3018 Depth=4
	s_andn2_saveexec_b64 s[40:41], s[38:39]
; %bb.3214:                             ;   in Loop: Header=BB2_3018 Depth=4
	v_or_b32_e32 v30, 0x7b, v18
; %bb.3215:                             ;   in Loop: Header=BB2_3018 Depth=4
	s_or_b64 exec, exec, s[40:41]
                                        ; implicit-def: $vgpr2
.LBB2_3216:                             ;   in Loop: Header=BB2_3018 Depth=4
	s_andn2_saveexec_b64 s[40:41], s[42:43]
	s_cbranch_execz .LBB2_3222
; %bb.3217:                             ;   in Loop: Header=BB2_3018 Depth=4
	v_cmp_ne_u64_e32 vcc, 0, v[28:29]
                                        ; implicit-def: $vgpr30
	s_and_saveexec_b64 s[42:43], vcc
	s_xor_b64 s[42:43], exec, s[42:43]
; %bb.3218:                             ;   in Loop: Header=BB2_3018 Depth=4
	v_or_b32_sdwa v30, v2, s47 dst_sel:DWORD dst_unused:UNUSED_PAD src0_sel:BYTE_3 src1_sel:DWORD
                                        ; implicit-def: $vgpr2
; %bb.3219:                             ;   in Loop: Header=BB2_3018 Depth=4
	s_andn2_saveexec_b64 s[42:43], s[42:43]
; %bb.3220:                             ;   in Loop: Header=BB2_3018 Depth=4
	v_cmp_lt_i32_e32 vcc, -1, v2
	v_cndmask_b32_e32 v30, v6, v22, vcc
; %bb.3221:                             ;   in Loop: Header=BB2_3018 Depth=4
	s_or_b64 exec, exec, s[42:43]
.LBB2_3222:                             ;   in Loop: Header=BB2_3018 Depth=4
	s_or_b64 exec, exec, s[40:41]
	v_cmp_lt_u64_e32 vcc, s[56:57], v[8:9]
	v_mov_b32_e32 v3, 0
	s_and_saveexec_b64 s[40:41], vcc
	s_cbranch_execz .LBB2_3230
; %bb.3223:                             ;   in Loop: Header=BB2_3018 Depth=4
	v_lshrrev_b32_e32 v2, 24, v9
	v_cmp_ne_u32_e32 vcc, s96, v2
	v_bfrev_b32_e32 v3, 1
	s_and_saveexec_b64 s[42:43], vcc
	s_cbranch_execz .LBB2_3229
; %bb.3224:                             ;   in Loop: Header=BB2_3018 Depth=4
	v_and_b32_e32 v3, 0x7c000000, v9
	v_bfe_u32 v4, v9, 24, 2
	v_cmp_ne_u32_e32 vcc, s45, v3
                                        ; implicit-def: $vgpr3
	s_and_saveexec_b64 s[38:39], vcc
	s_xor_b64 s[38:39], exec, s[38:39]
	s_cbranch_execz .LBB2_3226
; %bb.3225:                             ;   in Loop: Header=BB2_3018 Depth=4
	v_ffbh_u32_e32 v3, v4
	v_min_u32_e32 v19, 32, v3
	v_subrev_u32_e32 v3, 29, v19
	v_lshlrev_b64 v[2:3], v3, v[2:3]
	v_bfe_u32 v18, v9, 26, 5
	v_sub_u32_e32 v3, 30, v19
	v_and_b32_e32 v2, 3, v2
	v_cmp_eq_u32_e32 vcc, 0, v18
	v_cndmask_b32_e32 v3, v18, v3, vcc
	v_cndmask_b32_e32 v2, v4, v2, vcc
	v_and_b32_e32 v4, 0x80000000, v9
	v_lshl_add_u32 v3, v3, 23, v4
	v_lshl_or_b32 v2, v2, 21, v3
	v_add_u32_e32 v3, 0x38000000, v2
                                        ; implicit-def: $vgpr4
.LBB2_3226:                             ;   in Loop: Header=BB2_3018 Depth=4
	s_andn2_saveexec_b64 s[38:39], s[38:39]
; %bb.3227:                             ;   in Loop: Header=BB2_3018 Depth=4
	v_cmp_lt_i64_e32 vcc, -1, v[8:9]
	v_cndmask_b32_e32 v2, v7, v0, vcc
	v_cmp_eq_u32_e32 vcc, 0, v4
	v_cndmask_b32_e32 v3, v35, v2, vcc
; %bb.3228:                             ;   in Loop: Header=BB2_3018 Depth=4
	s_or_b64 exec, exec, s[38:39]
.LBB2_3229:                             ;   in Loop: Header=BB2_3018 Depth=4
	s_or_b64 exec, exec, s[42:43]
.LBB2_3230:                             ;   in Loop: Header=BB2_3018 Depth=4
	s_or_b64 exec, exec, s[40:41]
	v_mul_f32_e32 v2, v17, v3
	v_and_b32_e32 v3, 0x7f800000, v2
	v_mov_b32_e32 v4, v29
	v_cmp_ne_u64_e32 vcc, s[76:77], v[3:4]
	v_and_b32_e32 v28, 0x7fffff, v2
                                        ; implicit-def: $vgpr56
	s_and_saveexec_b64 s[40:41], vcc
	s_xor_b64 s[42:43], exec, s[40:41]
	s_cbranch_execz .LBB2_3244
; %bb.3231:                             ;   in Loop: Header=BB2_3018 Depth=4
	v_and_b32_e32 v3, 0x7fffffff, v2
	v_mov_b32_e32 v4, v29
	v_cmp_gt_u64_e32 vcc, s[78:79], v[3:4]
	v_and_b32_sdwa v8, v2, s96 dst_sel:DWORD dst_unused:UNUSED_PAD src0_sel:BYTE_3 src1_sel:DWORD
                                        ; implicit-def: $vgpr56
	s_and_saveexec_b64 s[40:41], vcc
	s_xor_b64 s[38:39], exec, s[40:41]
	s_cbranch_execz .LBB2_3241
; %bb.3232:                             ;   in Loop: Header=BB2_3018 Depth=4
	v_mov_b32_e32 v56, 0
	v_cmp_ne_u32_e32 vcc, 0, v2
	s_and_saveexec_b64 s[48:49], vcc
	s_cbranch_execz .LBB2_3240
; %bb.3233:                             ;   in Loop: Header=BB2_3018 Depth=4
	v_bfe_u32 v9, v2, 23, 8
	v_cmp_gt_u32_e64 s[40:41], s46, v9
	v_sub_u32_e32 v2, 0x71, v9
	v_cmp_eq_u32_e32 vcc, 0, v9
	v_cndmask_b32_e64 v2, 0, v2, s[40:41]
	v_mov_b32_e32 v4, 0x70
	v_cndmask_b32_e32 v18, v2, v4, vcc
	v_or_b32_e32 v3, 0x800000, v28
	v_add_u32_e32 v2, 21, v18
	v_cndmask_b32_e32 v28, v3, v28, vcc
	v_lshlrev_b64 v[2:3], v2, -1
	v_add_u32_e32 v4, 20, v18
	v_lshlrev_b64 v[37:38], v4, 1
	v_bfi_b32 v3, v3, 0, 0
	v_bfi_b32 v2, v2, 0, v28
	v_cmp_eq_u64_e64 s[40:41], v[2:3], v[37:38]
	v_lshrrev_b64 v[2:3], v18, v[28:29]
	v_mov_b32_e32 v4, v3
	v_mov_b32_e32 v3, v2
	s_and_saveexec_b64 s[50:51], s[40:41]
; %bb.3234:                             ;   in Loop: Header=BB2_3018 Depth=4
	v_bfe_u32 v3, v2, 21, 1
	v_add_co_u32_e64 v3, s[40:41], v2, v3
	v_add_co_u32_e64 v3, s[40:41], -1, v3
; %bb.3235:                             ;   in Loop: Header=BB2_3018 Depth=4
	s_or_b64 exec, exec, s[50:51]
	v_add_u32_e32 v4, 0xffffff81, v9
	v_cndmask_b32_e32 v4, v4, v1, vcc
	v_lshrrev_b32_e32 v9, 23, v2
	v_add3_u32 v18, v18, v4, v9
	v_add_u32_e32 v9, 14, v18
	v_and_b32_e32 v3, 0x1fffff, v3
	v_add_u32_e32 v28, v3, v2
	v_cmp_ne_u32_e32 vcc, 0, v9
                                        ; implicit-def: $vgpr2_vgpr3
                                        ; implicit-def: $vgpr4
	s_and_saveexec_b64 s[40:41], vcc
	s_xor_b64 s[40:41], exec, s[40:41]
; %bb.3236:                             ;   in Loop: Header=BB2_3018 Depth=4
	v_cmp_lt_u64_e32 vcc, s[88:89], v[28:29]
	v_add_u32_e32 v2, 15, v18
	v_cndmask_b32_e32 v4, v9, v2, vcc
	v_cndmask_b32_e64 v2, 0, 1, vcc
	v_lshrrev_b64 v[2:3], v2, v[28:29]
; %bb.3237:                             ;   in Loop: Header=BB2_3018 Depth=4
	s_andn2_saveexec_b64 s[40:41], s[40:41]
; %bb.3238:                             ;   in Loop: Header=BB2_3018 Depth=4
	v_mov_b32_e32 v2, v28
	v_bfe_u32 v4, v28, 23, 1
	v_mov_b32_e32 v3, v29
; %bb.3239:                             ;   in Loop: Header=BB2_3018 Depth=4
	s_or_b64 exec, exec, s[40:41]
	v_lshrrev_b64 v[2:3], 21, v[2:3]
	v_cmp_gt_i32_e32 vcc, 32, v4
	v_cndmask_b32_e32 v3, 0, v3, vcc
	v_cndmask_b32_e32 v2, 3, v2, vcc
	v_cmp_eq_u64_e64 s[40:41], 0, v[2:3]
	v_min_i32_e32 v3, 31, v4
	v_lshlrev_b32_e32 v3, 2, v3
	v_cmp_eq_u32_e32 vcc, 0, v4
	v_and_b32_e32 v3, 0xfc, v3
	v_and_or_b32 v2, v2, 3, v3
	s_and_b64 s[40:41], vcc, s[40:41]
	v_cndmask_b32_e64 v2, v2, 0, s[40:41]
	v_or_b32_e32 v56, v2, v8
.LBB2_3240:                             ;   in Loop: Header=BB2_3018 Depth=4
	s_or_b64 exec, exec, s[48:49]
                                        ; implicit-def: $vgpr8
.LBB2_3241:                             ;   in Loop: Header=BB2_3018 Depth=4
	s_andn2_saveexec_b64 s[40:41], s[38:39]
; %bb.3242:                             ;   in Loop: Header=BB2_3018 Depth=4
	v_or_b32_e32 v56, 0x7b, v8
; %bb.3243:                             ;   in Loop: Header=BB2_3018 Depth=4
	s_or_b64 exec, exec, s[40:41]
                                        ; implicit-def: $vgpr2
.LBB2_3244:                             ;   in Loop: Header=BB2_3018 Depth=4
	s_andn2_saveexec_b64 s[40:41], s[42:43]
	s_cbranch_execz .LBB2_3250
; %bb.3245:                             ;   in Loop: Header=BB2_3018 Depth=4
	v_cmp_ne_u64_e32 vcc, 0, v[28:29]
                                        ; implicit-def: $vgpr56
	s_and_saveexec_b64 s[42:43], vcc
	s_xor_b64 s[42:43], exec, s[42:43]
; %bb.3246:                             ;   in Loop: Header=BB2_3018 Depth=4
	v_or_b32_sdwa v56, v2, s47 dst_sel:DWORD dst_unused:UNUSED_PAD src0_sel:BYTE_3 src1_sel:DWORD
                                        ; implicit-def: $vgpr2
; %bb.3247:                             ;   in Loop: Header=BB2_3018 Depth=4
	s_andn2_saveexec_b64 s[42:43], s[42:43]
; %bb.3248:                             ;   in Loop: Header=BB2_3018 Depth=4
	v_cmp_lt_i32_e32 vcc, -1, v2
	v_cndmask_b32_e32 v56, v6, v22, vcc
; %bb.3249:                             ;   in Loop: Header=BB2_3018 Depth=4
	s_or_b64 exec, exec, s[42:43]
.LBB2_3250:                             ;   in Loop: Header=BB2_3018 Depth=4
	s_or_b64 exec, exec, s[40:41]
	v_cmp_ne_u16_sdwa s[42:43], v10, v29 src0_sel:BYTE_0 src1_sel:DWORD
	v_mov_b32_e32 v2, 0
	s_and_saveexec_b64 s[40:41], s[42:43]
	s_cbranch_execz .LBB2_3258
; %bb.3251:                             ;   in Loop: Header=BB2_3018 Depth=4
	v_cmp_ne_u16_sdwa vcc, sext(v10), s97 src0_sel:BYTE_0 src1_sel:DWORD
	v_bfrev_b32_e32 v2, 1
	s_and_saveexec_b64 s[42:43], vcc
	s_cbranch_execz .LBB2_3257
; %bb.3252:                             ;   in Loop: Header=BB2_3018 Depth=4
	v_and_b32_e32 v2, 0x7c, v10
	v_and_b32_e32 v3, 3, v10
	v_cmp_ne_u32_e32 vcc, s85, v2
                                        ; implicit-def: $vgpr2
	s_and_saveexec_b64 s[38:39], vcc
	s_xor_b64 s[38:39], exec, s[38:39]
	s_cbranch_execz .LBB2_3254
; %bb.3253:                             ;   in Loop: Header=BB2_3018 Depth=4
	v_ffbh_u32_e32 v4, v3
	v_min_u32_e32 v4, 32, v4
	v_bfe_u32 v2, v10, 2, 5
	v_subrev_u32_e32 v8, 29, v4
	v_lshlrev_b64 v[8:9], v8, v[10:11]
	v_sub_u32_e32 v4, 30, v4
	v_cmp_eq_u32_e32 vcc, 0, v2
	v_cndmask_b32_e32 v2, v2, v4, vcc
	v_lshlrev_b32_e32 v4, 24, v10
	v_and_b32_e32 v8, 3, v8
	v_and_b32_e32 v4, 0x80000000, v4
	v_cndmask_b32_e32 v3, v3, v8, vcc
	v_lshl_add_u32 v2, v2, 23, v4
	v_lshl_or_b32 v2, v3, 21, v2
	v_add_u32_e32 v2, 0x38000000, v2
                                        ; implicit-def: $vgpr3
.LBB2_3254:                             ;   in Loop: Header=BB2_3018 Depth=4
	s_andn2_saveexec_b64 s[38:39], s[38:39]
; %bb.3255:                             ;   in Loop: Header=BB2_3018 Depth=4
	v_cmp_gt_i16_sdwa vcc, sext(v10), v48 src0_sel:BYTE_0 src1_sel:DWORD
	v_cndmask_b32_e32 v2, v7, v0, vcc
	v_cmp_eq_u32_e32 vcc, 0, v3
	v_cndmask_b32_e32 v2, v35, v2, vcc
; %bb.3256:                             ;   in Loop: Header=BB2_3018 Depth=4
	s_or_b64 exec, exec, s[38:39]
.LBB2_3257:                             ;   in Loop: Header=BB2_3018 Depth=4
	s_or_b64 exec, exec, s[42:43]
.LBB2_3258:                             ;   in Loop: Header=BB2_3018 Depth=4
	s_or_b64 exec, exec, s[40:41]
	v_mul_f32_e32 v2, v17, v2
	v_and_b32_e32 v3, 0x7f800000, v2
	v_mov_b32_e32 v4, v29
	v_cmp_ne_u64_e32 vcc, s[76:77], v[3:4]
	v_and_b32_e32 v28, 0x7fffff, v2
                                        ; implicit-def: $vgpr52
	s_and_saveexec_b64 s[40:41], vcc
	s_xor_b64 s[42:43], exec, s[40:41]
	s_cbranch_execz .LBB2_3272
; %bb.3259:                             ;   in Loop: Header=BB2_3018 Depth=4
	v_and_b32_e32 v3, 0x7fffffff, v2
	v_mov_b32_e32 v4, v29
	v_cmp_gt_u64_e32 vcc, s[78:79], v[3:4]
	v_and_b32_sdwa v8, v2, s96 dst_sel:DWORD dst_unused:UNUSED_PAD src0_sel:BYTE_3 src1_sel:DWORD
                                        ; implicit-def: $vgpr52
	s_and_saveexec_b64 s[40:41], vcc
	s_xor_b64 s[38:39], exec, s[40:41]
	s_cbranch_execz .LBB2_3269
; %bb.3260:                             ;   in Loop: Header=BB2_3018 Depth=4
	v_mov_b32_e32 v52, 0
	v_cmp_ne_u32_e32 vcc, 0, v2
	s_and_saveexec_b64 s[48:49], vcc
	s_cbranch_execz .LBB2_3268
; %bb.3261:                             ;   in Loop: Header=BB2_3018 Depth=4
	v_bfe_u32 v9, v2, 23, 8
	v_cmp_gt_u32_e64 s[40:41], s46, v9
	v_sub_u32_e32 v2, 0x71, v9
	v_cmp_eq_u32_e32 vcc, 0, v9
	v_cndmask_b32_e64 v2, 0, v2, s[40:41]
	v_mov_b32_e32 v4, 0x70
	v_cndmask_b32_e32 v18, v2, v4, vcc
	v_or_b32_e32 v3, 0x800000, v28
	v_add_u32_e32 v2, 21, v18
	v_cndmask_b32_e32 v28, v3, v28, vcc
	v_lshlrev_b64 v[2:3], v2, -1
	v_add_u32_e32 v4, 20, v18
	v_lshlrev_b64 v[37:38], v4, 1
	v_bfi_b32 v3, v3, 0, 0
	v_bfi_b32 v2, v2, 0, v28
	v_cmp_eq_u64_e64 s[40:41], v[2:3], v[37:38]
	v_lshrrev_b64 v[2:3], v18, v[28:29]
	v_mov_b32_e32 v4, v3
	v_mov_b32_e32 v3, v2
	s_and_saveexec_b64 s[50:51], s[40:41]
; %bb.3262:                             ;   in Loop: Header=BB2_3018 Depth=4
	v_bfe_u32 v3, v2, 21, 1
	v_add_co_u32_e64 v3, s[40:41], v2, v3
	v_add_co_u32_e64 v3, s[40:41], -1, v3
; %bb.3263:                             ;   in Loop: Header=BB2_3018 Depth=4
	s_or_b64 exec, exec, s[50:51]
	v_add_u32_e32 v4, 0xffffff81, v9
	v_cndmask_b32_e32 v4, v4, v1, vcc
	v_lshrrev_b32_e32 v9, 23, v2
	v_add3_u32 v18, v18, v4, v9
	v_add_u32_e32 v9, 14, v18
	v_and_b32_e32 v3, 0x1fffff, v3
	v_add_u32_e32 v28, v3, v2
	v_cmp_ne_u32_e32 vcc, 0, v9
                                        ; implicit-def: $vgpr2_vgpr3
                                        ; implicit-def: $vgpr4
	s_and_saveexec_b64 s[40:41], vcc
	s_xor_b64 s[40:41], exec, s[40:41]
; %bb.3264:                             ;   in Loop: Header=BB2_3018 Depth=4
	v_cmp_lt_u64_e32 vcc, s[88:89], v[28:29]
	v_add_u32_e32 v2, 15, v18
	v_cndmask_b32_e32 v4, v9, v2, vcc
	v_cndmask_b32_e64 v2, 0, 1, vcc
	v_lshrrev_b64 v[2:3], v2, v[28:29]
; %bb.3265:                             ;   in Loop: Header=BB2_3018 Depth=4
	s_andn2_saveexec_b64 s[40:41], s[40:41]
; %bb.3266:                             ;   in Loop: Header=BB2_3018 Depth=4
	v_mov_b32_e32 v2, v28
	v_bfe_u32 v4, v28, 23, 1
	v_mov_b32_e32 v3, v29
; %bb.3267:                             ;   in Loop: Header=BB2_3018 Depth=4
	s_or_b64 exec, exec, s[40:41]
	v_lshrrev_b64 v[2:3], 21, v[2:3]
	v_cmp_gt_i32_e32 vcc, 32, v4
	v_cndmask_b32_e32 v3, 0, v3, vcc
	v_cndmask_b32_e32 v2, 3, v2, vcc
	v_cmp_eq_u64_e64 s[40:41], 0, v[2:3]
	v_min_i32_e32 v3, 31, v4
	v_lshlrev_b32_e32 v3, 2, v3
	v_cmp_eq_u32_e32 vcc, 0, v4
	v_and_b32_e32 v3, 0xfc, v3
	v_and_or_b32 v2, v2, 3, v3
	s_and_b64 s[40:41], vcc, s[40:41]
	v_cndmask_b32_e64 v2, v2, 0, s[40:41]
	v_or_b32_e32 v52, v2, v8
.LBB2_3268:                             ;   in Loop: Header=BB2_3018 Depth=4
	s_or_b64 exec, exec, s[48:49]
                                        ; implicit-def: $vgpr8
.LBB2_3269:                             ;   in Loop: Header=BB2_3018 Depth=4
	s_andn2_saveexec_b64 s[40:41], s[38:39]
; %bb.3270:                             ;   in Loop: Header=BB2_3018 Depth=4
	v_or_b32_e32 v52, 0x7b, v8
; %bb.3271:                             ;   in Loop: Header=BB2_3018 Depth=4
	s_or_b64 exec, exec, s[40:41]
                                        ; implicit-def: $vgpr2
.LBB2_3272:                             ;   in Loop: Header=BB2_3018 Depth=4
	s_andn2_saveexec_b64 s[40:41], s[42:43]
	s_cbranch_execz .LBB2_3278
; %bb.3273:                             ;   in Loop: Header=BB2_3018 Depth=4
	v_cmp_ne_u64_e32 vcc, 0, v[28:29]
                                        ; implicit-def: $vgpr52
	s_and_saveexec_b64 s[42:43], vcc
	s_xor_b64 s[42:43], exec, s[42:43]
; %bb.3274:                             ;   in Loop: Header=BB2_3018 Depth=4
	v_or_b32_sdwa v52, v2, s47 dst_sel:DWORD dst_unused:UNUSED_PAD src0_sel:BYTE_3 src1_sel:DWORD
                                        ; implicit-def: $vgpr2
; %bb.3275:                             ;   in Loop: Header=BB2_3018 Depth=4
	s_andn2_saveexec_b64 s[42:43], s[42:43]
; %bb.3276:                             ;   in Loop: Header=BB2_3018 Depth=4
	v_cmp_lt_i32_e32 vcc, -1, v2
	v_cndmask_b32_e32 v52, v6, v22, vcc
; %bb.3277:                             ;   in Loop: Header=BB2_3018 Depth=4
	s_or_b64 exec, exec, s[42:43]
.LBB2_3278:                             ;   in Loop: Header=BB2_3018 Depth=4
	s_or_b64 exec, exec, s[40:41]
	v_lshrrev_b16_e32 v28, 8, v10
	v_cmp_ne_u16_e32 vcc, 0, v28
	v_mov_b32_e32 v2, 0
	s_and_saveexec_b64 s[40:41], vcc
	s_cbranch_execz .LBB2_3286
; %bb.3279:                             ;   in Loop: Header=BB2_3018 Depth=4
	v_cmp_ne_u16_e32 vcc, s96, v28
	v_bfrev_b32_e32 v2, 1
	s_and_saveexec_b64 s[42:43], vcc
	s_cbranch_execz .LBB2_3285
; %bb.3280:                             ;   in Loop: Header=BB2_3018 Depth=4
	v_and_b32_e32 v2, 0x7c, v28
	v_and_b32_e32 v3, 3, v28
	v_cmp_ne_u32_e32 vcc, s85, v2
                                        ; implicit-def: $vgpr2
	s_and_saveexec_b64 s[38:39], vcc
	s_xor_b64 s[38:39], exec, s[38:39]
	s_cbranch_execz .LBB2_3282
; %bb.3281:                             ;   in Loop: Header=BB2_3018 Depth=4
	v_ffbh_u32_e32 v4, v3
	v_min_u32_e32 v4, 32, v4
	v_bfe_u32 v2, v28, 2, 5
	v_subrev_u32_e32 v8, 29, v4
	v_lshlrev_b64 v[8:9], v8, v[28:29]
	v_sub_u32_e32 v4, 30, v4
	v_cmp_eq_u32_e32 vcc, 0, v2
	v_cndmask_b32_e32 v2, v2, v4, vcc
	v_lshlrev_b32_e32 v4, 16, v10
	v_and_b32_e32 v8, 3, v8
	v_and_b32_e32 v4, 0x80000000, v4
	v_cndmask_b32_e32 v3, v3, v8, vcc
	v_lshl_add_u32 v2, v2, 23, v4
	v_lshl_or_b32 v2, v3, 21, v2
	v_add_u32_e32 v2, 0x38000000, v2
                                        ; implicit-def: $vgpr3
.LBB2_3282:                             ;   in Loop: Header=BB2_3018 Depth=4
	s_andn2_saveexec_b64 s[38:39], s[38:39]
; %bb.3283:                             ;   in Loop: Header=BB2_3018 Depth=4
	v_cmp_lt_i16_e32 vcc, -1, v10
	v_cndmask_b32_e32 v2, v7, v0, vcc
	v_cmp_eq_u32_e32 vcc, 0, v3
	v_cndmask_b32_e32 v2, v35, v2, vcc
; %bb.3284:                             ;   in Loop: Header=BB2_3018 Depth=4
	s_or_b64 exec, exec, s[38:39]
.LBB2_3285:                             ;   in Loop: Header=BB2_3018 Depth=4
	s_or_b64 exec, exec, s[42:43]
.LBB2_3286:                             ;   in Loop: Header=BB2_3018 Depth=4
	s_or_b64 exec, exec, s[40:41]
	v_mul_f32_e32 v2, v17, v2
	v_and_b32_e32 v3, 0x7f800000, v2
	v_mov_b32_e32 v4, v29
	v_cmp_ne_u64_e32 vcc, s[76:77], v[3:4]
	v_and_b32_e32 v28, 0x7fffff, v2
                                        ; implicit-def: $vgpr59
	s_and_saveexec_b64 s[40:41], vcc
	s_xor_b64 s[42:43], exec, s[40:41]
	s_cbranch_execz .LBB2_3300
; %bb.3287:                             ;   in Loop: Header=BB2_3018 Depth=4
	v_and_b32_e32 v3, 0x7fffffff, v2
	v_mov_b32_e32 v4, v29
	v_cmp_gt_u64_e32 vcc, s[78:79], v[3:4]
	v_and_b32_sdwa v8, v2, s96 dst_sel:DWORD dst_unused:UNUSED_PAD src0_sel:BYTE_3 src1_sel:DWORD
                                        ; implicit-def: $vgpr59
	s_and_saveexec_b64 s[40:41], vcc
	s_xor_b64 s[38:39], exec, s[40:41]
	s_cbranch_execz .LBB2_3297
; %bb.3288:                             ;   in Loop: Header=BB2_3018 Depth=4
	v_mov_b32_e32 v59, 0
	v_cmp_ne_u32_e32 vcc, 0, v2
	s_and_saveexec_b64 s[48:49], vcc
	s_cbranch_execz .LBB2_3296
; %bb.3289:                             ;   in Loop: Header=BB2_3018 Depth=4
	v_bfe_u32 v9, v2, 23, 8
	v_cmp_gt_u32_e64 s[40:41], s46, v9
	v_sub_u32_e32 v2, 0x71, v9
	v_cmp_eq_u32_e32 vcc, 0, v9
	v_cndmask_b32_e64 v2, 0, v2, s[40:41]
	v_mov_b32_e32 v4, 0x70
	v_cndmask_b32_e32 v18, v2, v4, vcc
	v_or_b32_e32 v3, 0x800000, v28
	v_add_u32_e32 v2, 21, v18
	v_cndmask_b32_e32 v28, v3, v28, vcc
	v_lshlrev_b64 v[2:3], v2, -1
	v_add_u32_e32 v4, 20, v18
	v_lshlrev_b64 v[37:38], v4, 1
	v_bfi_b32 v3, v3, 0, 0
	v_bfi_b32 v2, v2, 0, v28
	v_cmp_eq_u64_e64 s[40:41], v[2:3], v[37:38]
	v_lshrrev_b64 v[2:3], v18, v[28:29]
	v_mov_b32_e32 v4, v3
	v_mov_b32_e32 v3, v2
	s_and_saveexec_b64 s[50:51], s[40:41]
; %bb.3290:                             ;   in Loop: Header=BB2_3018 Depth=4
	v_bfe_u32 v3, v2, 21, 1
	v_add_co_u32_e64 v3, s[40:41], v2, v3
	v_add_co_u32_e64 v3, s[40:41], -1, v3
; %bb.3291:                             ;   in Loop: Header=BB2_3018 Depth=4
	s_or_b64 exec, exec, s[50:51]
	v_add_u32_e32 v4, 0xffffff81, v9
	v_cndmask_b32_e32 v4, v4, v1, vcc
	v_lshrrev_b32_e32 v9, 23, v2
	v_add3_u32 v18, v18, v4, v9
	v_add_u32_e32 v9, 14, v18
	v_and_b32_e32 v3, 0x1fffff, v3
	v_add_u32_e32 v28, v3, v2
	v_cmp_ne_u32_e32 vcc, 0, v9
                                        ; implicit-def: $vgpr2_vgpr3
                                        ; implicit-def: $vgpr4
	s_and_saveexec_b64 s[40:41], vcc
	s_xor_b64 s[40:41], exec, s[40:41]
; %bb.3292:                             ;   in Loop: Header=BB2_3018 Depth=4
	v_cmp_lt_u64_e32 vcc, s[88:89], v[28:29]
	v_add_u32_e32 v2, 15, v18
	v_cndmask_b32_e32 v4, v9, v2, vcc
	v_cndmask_b32_e64 v2, 0, 1, vcc
	v_lshrrev_b64 v[2:3], v2, v[28:29]
; %bb.3293:                             ;   in Loop: Header=BB2_3018 Depth=4
	s_andn2_saveexec_b64 s[40:41], s[40:41]
; %bb.3294:                             ;   in Loop: Header=BB2_3018 Depth=4
	v_mov_b32_e32 v2, v28
	v_bfe_u32 v4, v28, 23, 1
	v_mov_b32_e32 v3, v29
; %bb.3295:                             ;   in Loop: Header=BB2_3018 Depth=4
	s_or_b64 exec, exec, s[40:41]
	v_lshrrev_b64 v[2:3], 21, v[2:3]
	v_cmp_gt_i32_e32 vcc, 32, v4
	v_cndmask_b32_e32 v3, 0, v3, vcc
	v_cndmask_b32_e32 v2, 3, v2, vcc
	v_cmp_eq_u64_e64 s[40:41], 0, v[2:3]
	v_min_i32_e32 v3, 31, v4
	v_lshlrev_b32_e32 v3, 2, v3
	v_cmp_eq_u32_e32 vcc, 0, v4
	v_and_b32_e32 v3, 0xfc, v3
	v_and_or_b32 v2, v2, 3, v3
	s_and_b64 s[40:41], vcc, s[40:41]
	v_cndmask_b32_e64 v2, v2, 0, s[40:41]
	v_or_b32_e32 v59, v2, v8
.LBB2_3296:                             ;   in Loop: Header=BB2_3018 Depth=4
	s_or_b64 exec, exec, s[48:49]
                                        ; implicit-def: $vgpr8
.LBB2_3297:                             ;   in Loop: Header=BB2_3018 Depth=4
	s_andn2_saveexec_b64 s[40:41], s[38:39]
; %bb.3298:                             ;   in Loop: Header=BB2_3018 Depth=4
	v_or_b32_e32 v59, 0x7b, v8
; %bb.3299:                             ;   in Loop: Header=BB2_3018 Depth=4
	s_or_b64 exec, exec, s[40:41]
                                        ; implicit-def: $vgpr2
.LBB2_3300:                             ;   in Loop: Header=BB2_3018 Depth=4
	s_andn2_saveexec_b64 s[40:41], s[42:43]
	s_cbranch_execz .LBB2_3306
; %bb.3301:                             ;   in Loop: Header=BB2_3018 Depth=4
	v_cmp_ne_u64_e32 vcc, 0, v[28:29]
                                        ; implicit-def: $vgpr59
	s_and_saveexec_b64 s[42:43], vcc
	s_xor_b64 s[42:43], exec, s[42:43]
; %bb.3302:                             ;   in Loop: Header=BB2_3018 Depth=4
	v_or_b32_sdwa v59, v2, s47 dst_sel:DWORD dst_unused:UNUSED_PAD src0_sel:BYTE_3 src1_sel:DWORD
                                        ; implicit-def: $vgpr2
; %bb.3303:                             ;   in Loop: Header=BB2_3018 Depth=4
	s_andn2_saveexec_b64 s[42:43], s[42:43]
; %bb.3304:                             ;   in Loop: Header=BB2_3018 Depth=4
	v_cmp_lt_i32_e32 vcc, -1, v2
	v_cndmask_b32_e32 v59, v6, v22, vcc
; %bb.3305:                             ;   in Loop: Header=BB2_3018 Depth=4
	s_or_b64 exec, exec, s[42:43]
.LBB2_3306:                             ;   in Loop: Header=BB2_3018 Depth=4
	s_or_b64 exec, exec, s[40:41]
	v_lshrrev_b32_e32 v2, 16, v10
	v_cmp_ne_u16_sdwa s[42:43], v2, v29 src0_sel:BYTE_0 src1_sel:DWORD
	v_mov_b32_e32 v3, 0
	s_and_saveexec_b64 s[40:41], s[42:43]
	s_cbranch_execz .LBB2_3314
; %bb.3307:                             ;   in Loop: Header=BB2_3018 Depth=4
	v_cmp_ne_u16_sdwa vcc, v2, s96 src0_sel:BYTE_0 src1_sel:DWORD
	v_bfrev_b32_e32 v3, 1
	s_and_saveexec_b64 s[42:43], vcc
	s_cbranch_execz .LBB2_3313
; %bb.3308:                             ;   in Loop: Header=BB2_3018 Depth=4
	v_and_b32_e32 v3, 0x7c0000, v10
	v_bfe_u32 v4, v10, 16, 2
	v_cmp_ne_u32_e32 vcc, s44, v3
                                        ; implicit-def: $vgpr3
	s_and_saveexec_b64 s[38:39], vcc
	s_xor_b64 s[38:39], exec, s[38:39]
	s_cbranch_execz .LBB2_3310
; %bb.3309:                             ;   in Loop: Header=BB2_3018 Depth=4
	v_ffbh_u32_e32 v3, v4
	v_min_u32_e32 v9, 32, v3
	v_subrev_u32_e32 v3, 29, v9
	v_lshlrev_b64 v[2:3], v3, v[2:3]
	v_bfe_u32 v8, v10, 18, 5
	v_and_b32_e32 v2, 3, v2
	v_cmp_eq_u32_e32 vcc, 0, v8
	v_sub_u32_e32 v3, 30, v9
	v_cndmask_b32_e32 v2, v4, v2, vcc
	v_lshlrev_b32_e32 v4, 8, v10
	v_cndmask_b32_e32 v3, v8, v3, vcc
	v_and_b32_e32 v4, 0x80000000, v4
	v_lshl_add_u32 v3, v3, 23, v4
	v_lshl_or_b32 v2, v2, 21, v3
	v_add_u32_e32 v3, 0x38000000, v2
                                        ; implicit-def: $vgpr4
                                        ; implicit-def: $vgpr2
.LBB2_3310:                             ;   in Loop: Header=BB2_3018 Depth=4
	s_andn2_saveexec_b64 s[38:39], s[38:39]
; %bb.3311:                             ;   in Loop: Header=BB2_3018 Depth=4
	v_cmp_gt_i16_sdwa vcc, sext(v2), v48 src0_sel:BYTE_0 src1_sel:DWORD
	v_cndmask_b32_e32 v2, v7, v0, vcc
	v_cmp_eq_u32_e32 vcc, 0, v4
	v_cndmask_b32_e32 v3, v35, v2, vcc
; %bb.3312:                             ;   in Loop: Header=BB2_3018 Depth=4
	s_or_b64 exec, exec, s[38:39]
.LBB2_3313:                             ;   in Loop: Header=BB2_3018 Depth=4
	s_or_b64 exec, exec, s[42:43]
.LBB2_3314:                             ;   in Loop: Header=BB2_3018 Depth=4
	s_or_b64 exec, exec, s[40:41]
	v_mul_f32_e32 v2, v17, v3
	v_and_b32_e32 v3, 0x7f800000, v2
	v_mov_b32_e32 v4, v29
	v_cmp_ne_u64_e32 vcc, s[76:77], v[3:4]
	v_and_b32_e32 v28, 0x7fffff, v2
                                        ; implicit-def: $vgpr18
	s_and_saveexec_b64 s[40:41], vcc
	s_xor_b64 s[42:43], exec, s[40:41]
	s_cbranch_execz .LBB2_3328
; %bb.3315:                             ;   in Loop: Header=BB2_3018 Depth=4
	v_and_b32_e32 v3, 0x7fffffff, v2
	v_mov_b32_e32 v4, v29
	v_cmp_gt_u64_e32 vcc, s[78:79], v[3:4]
	v_and_b32_sdwa v8, v2, s96 dst_sel:DWORD dst_unused:UNUSED_PAD src0_sel:BYTE_3 src1_sel:DWORD
                                        ; implicit-def: $vgpr18
	s_and_saveexec_b64 s[40:41], vcc
	s_xor_b64 s[38:39], exec, s[40:41]
	s_cbranch_execz .LBB2_3325
; %bb.3316:                             ;   in Loop: Header=BB2_3018 Depth=4
	v_mov_b32_e32 v18, 0
	v_cmp_ne_u32_e32 vcc, 0, v2
	s_and_saveexec_b64 s[48:49], vcc
	s_cbranch_execz .LBB2_3324
; %bb.3317:                             ;   in Loop: Header=BB2_3018 Depth=4
	v_bfe_u32 v9, v2, 23, 8
	v_cmp_gt_u32_e64 s[40:41], s46, v9
	v_sub_u32_e32 v2, 0x71, v9
	v_cmp_eq_u32_e32 vcc, 0, v9
	v_cndmask_b32_e64 v2, 0, v2, s[40:41]
	v_mov_b32_e32 v4, 0x70
	v_cndmask_b32_e32 v18, v2, v4, vcc
	v_or_b32_e32 v3, 0x800000, v28
	v_add_u32_e32 v2, 21, v18
	v_cndmask_b32_e32 v28, v3, v28, vcc
	v_lshlrev_b64 v[2:3], v2, -1
	v_add_u32_e32 v4, 20, v18
	v_lshlrev_b64 v[37:38], v4, 1
	v_bfi_b32 v3, v3, 0, 0
	v_bfi_b32 v2, v2, 0, v28
	v_cmp_eq_u64_e64 s[40:41], v[2:3], v[37:38]
	v_lshrrev_b64 v[2:3], v18, v[28:29]
	v_mov_b32_e32 v4, v3
	v_mov_b32_e32 v3, v2
	s_and_saveexec_b64 s[50:51], s[40:41]
; %bb.3318:                             ;   in Loop: Header=BB2_3018 Depth=4
	v_bfe_u32 v3, v2, 21, 1
	v_add_co_u32_e64 v3, s[40:41], v2, v3
	v_add_co_u32_e64 v3, s[40:41], -1, v3
; %bb.3319:                             ;   in Loop: Header=BB2_3018 Depth=4
	s_or_b64 exec, exec, s[50:51]
	v_add_u32_e32 v4, 0xffffff81, v9
	v_cndmask_b32_e32 v4, v4, v1, vcc
	v_lshrrev_b32_e32 v9, 23, v2
	v_add3_u32 v18, v18, v4, v9
	v_add_u32_e32 v9, 14, v18
	v_and_b32_e32 v3, 0x1fffff, v3
	v_add_u32_e32 v28, v3, v2
	v_cmp_ne_u32_e32 vcc, 0, v9
                                        ; implicit-def: $vgpr2_vgpr3
                                        ; implicit-def: $vgpr4
	s_and_saveexec_b64 s[40:41], vcc
	s_xor_b64 s[40:41], exec, s[40:41]
; %bb.3320:                             ;   in Loop: Header=BB2_3018 Depth=4
	v_cmp_lt_u64_e32 vcc, s[88:89], v[28:29]
	v_add_u32_e32 v2, 15, v18
	v_cndmask_b32_e32 v4, v9, v2, vcc
	v_cndmask_b32_e64 v2, 0, 1, vcc
	v_lshrrev_b64 v[2:3], v2, v[28:29]
; %bb.3321:                             ;   in Loop: Header=BB2_3018 Depth=4
	s_andn2_saveexec_b64 s[40:41], s[40:41]
; %bb.3322:                             ;   in Loop: Header=BB2_3018 Depth=4
	v_mov_b32_e32 v2, v28
	v_bfe_u32 v4, v28, 23, 1
	v_mov_b32_e32 v3, v29
; %bb.3323:                             ;   in Loop: Header=BB2_3018 Depth=4
	s_or_b64 exec, exec, s[40:41]
	v_lshrrev_b64 v[2:3], 21, v[2:3]
	v_cmp_gt_i32_e32 vcc, 32, v4
	v_cndmask_b32_e32 v3, 0, v3, vcc
	v_cndmask_b32_e32 v2, 3, v2, vcc
	v_cmp_eq_u64_e64 s[40:41], 0, v[2:3]
	v_min_i32_e32 v3, 31, v4
	v_lshlrev_b32_e32 v3, 2, v3
	v_cmp_eq_u32_e32 vcc, 0, v4
	v_and_b32_e32 v3, 0xfc, v3
	v_and_or_b32 v2, v2, 3, v3
	s_and_b64 s[40:41], vcc, s[40:41]
	v_cndmask_b32_e64 v2, v2, 0, s[40:41]
	v_or_b32_e32 v18, v2, v8
.LBB2_3324:                             ;   in Loop: Header=BB2_3018 Depth=4
	s_or_b64 exec, exec, s[48:49]
                                        ; implicit-def: $vgpr8
.LBB2_3325:                             ;   in Loop: Header=BB2_3018 Depth=4
	s_andn2_saveexec_b64 s[40:41], s[38:39]
; %bb.3326:                             ;   in Loop: Header=BB2_3018 Depth=4
	v_or_b32_e32 v18, 0x7b, v8
; %bb.3327:                             ;   in Loop: Header=BB2_3018 Depth=4
	s_or_b64 exec, exec, s[40:41]
                                        ; implicit-def: $vgpr2
.LBB2_3328:                             ;   in Loop: Header=BB2_3018 Depth=4
	s_andn2_saveexec_b64 s[40:41], s[42:43]
	s_cbranch_execz .LBB2_3334
; %bb.3329:                             ;   in Loop: Header=BB2_3018 Depth=4
	v_cmp_ne_u64_e32 vcc, 0, v[28:29]
                                        ; implicit-def: $vgpr18
	s_and_saveexec_b64 s[42:43], vcc
	s_xor_b64 s[42:43], exec, s[42:43]
; %bb.3330:                             ;   in Loop: Header=BB2_3018 Depth=4
	v_or_b32_sdwa v18, v2, s47 dst_sel:DWORD dst_unused:UNUSED_PAD src0_sel:BYTE_3 src1_sel:DWORD
                                        ; implicit-def: $vgpr2
; %bb.3331:                             ;   in Loop: Header=BB2_3018 Depth=4
	s_andn2_saveexec_b64 s[42:43], s[42:43]
; %bb.3332:                             ;   in Loop: Header=BB2_3018 Depth=4
	v_cmp_lt_i32_e32 vcc, -1, v2
	v_cndmask_b32_e32 v18, v6, v22, vcc
; %bb.3333:                             ;   in Loop: Header=BB2_3018 Depth=4
	s_or_b64 exec, exec, s[42:43]
.LBB2_3334:                             ;   in Loop: Header=BB2_3018 Depth=4
	s_or_b64 exec, exec, s[40:41]
	v_cmp_lt_u32_e32 vcc, s57, v10
	v_mov_b32_e32 v3, 0
	s_and_saveexec_b64 s[40:41], vcc
	s_cbranch_execz .LBB2_3342
; %bb.3335:                             ;   in Loop: Header=BB2_3018 Depth=4
	v_lshrrev_b32_e32 v2, 24, v10
	v_cmp_ne_u32_e32 vcc, s96, v2
	v_bfrev_b32_e32 v3, 1
	s_and_saveexec_b64 s[42:43], vcc
	s_cbranch_execz .LBB2_3341
; %bb.3336:                             ;   in Loop: Header=BB2_3018 Depth=4
	v_and_b32_e32 v3, 0x7c000000, v10
	v_bfe_u32 v4, v10, 24, 2
	v_cmp_ne_u32_e32 vcc, s45, v3
                                        ; implicit-def: $vgpr3
	s_and_saveexec_b64 s[38:39], vcc
	s_xor_b64 s[38:39], exec, s[38:39]
	s_cbranch_execz .LBB2_3338
; %bb.3337:                             ;   in Loop: Header=BB2_3018 Depth=4
	v_ffbh_u32_e32 v3, v4
	v_min_u32_e32 v9, 32, v3
	v_subrev_u32_e32 v3, 29, v9
	v_lshlrev_b64 v[2:3], v3, v[2:3]
	v_bfe_u32 v8, v10, 26, 5
	v_sub_u32_e32 v3, 30, v9
	v_and_b32_e32 v2, 3, v2
	v_cmp_eq_u32_e32 vcc, 0, v8
	v_cndmask_b32_e32 v3, v8, v3, vcc
	v_cndmask_b32_e32 v2, v4, v2, vcc
	v_and_b32_e32 v4, 0x80000000, v10
	v_lshl_add_u32 v3, v3, 23, v4
	v_lshl_or_b32 v2, v2, 21, v3
	v_add_u32_e32 v3, 0x38000000, v2
                                        ; implicit-def: $vgpr4
.LBB2_3338:                             ;   in Loop: Header=BB2_3018 Depth=4
	s_andn2_saveexec_b64 s[38:39], s[38:39]
; %bb.3339:                             ;   in Loop: Header=BB2_3018 Depth=4
	v_cmp_lt_i32_e32 vcc, -1, v10
	v_cndmask_b32_e32 v2, v7, v0, vcc
	v_cmp_eq_u32_e32 vcc, 0, v4
	v_cndmask_b32_e32 v3, v35, v2, vcc
; %bb.3340:                             ;   in Loop: Header=BB2_3018 Depth=4
	s_or_b64 exec, exec, s[38:39]
.LBB2_3341:                             ;   in Loop: Header=BB2_3018 Depth=4
	s_or_b64 exec, exec, s[42:43]
.LBB2_3342:                             ;   in Loop: Header=BB2_3018 Depth=4
	s_or_b64 exec, exec, s[40:41]
	v_mul_f32_e32 v2, v17, v3
	v_and_b32_e32 v3, 0x7f800000, v2
	v_mov_b32_e32 v4, v29
	v_cmp_ne_u64_e32 vcc, s[76:77], v[3:4]
	v_and_b32_e32 v28, 0x7fffff, v2
                                        ; implicit-def: $vgpr19
	s_and_saveexec_b64 s[40:41], vcc
	s_xor_b64 s[42:43], exec, s[40:41]
	s_cbranch_execz .LBB2_3356
; %bb.3343:                             ;   in Loop: Header=BB2_3018 Depth=4
	v_and_b32_e32 v3, 0x7fffffff, v2
	v_mov_b32_e32 v4, v29
	v_cmp_gt_u64_e32 vcc, s[78:79], v[3:4]
	v_and_b32_sdwa v8, v2, s96 dst_sel:DWORD dst_unused:UNUSED_PAD src0_sel:BYTE_3 src1_sel:DWORD
                                        ; implicit-def: $vgpr19
	s_and_saveexec_b64 s[40:41], vcc
	s_xor_b64 s[38:39], exec, s[40:41]
	s_cbranch_execz .LBB2_3353
; %bb.3344:                             ;   in Loop: Header=BB2_3018 Depth=4
	v_mov_b32_e32 v19, 0
	v_cmp_ne_u32_e32 vcc, 0, v2
	s_and_saveexec_b64 s[48:49], vcc
	s_cbranch_execz .LBB2_3352
; %bb.3345:                             ;   in Loop: Header=BB2_3018 Depth=4
	v_bfe_u32 v9, v2, 23, 8
	v_cmp_gt_u32_e64 s[40:41], s46, v9
	v_sub_u32_e32 v2, 0x71, v9
	v_cmp_eq_u32_e32 vcc, 0, v9
	v_cndmask_b32_e64 v2, 0, v2, s[40:41]
	v_mov_b32_e32 v4, 0x70
	v_cndmask_b32_e32 v19, v2, v4, vcc
	v_or_b32_e32 v3, 0x800000, v28
	v_add_u32_e32 v2, 21, v19
	v_cndmask_b32_e32 v28, v3, v28, vcc
	v_lshlrev_b64 v[2:3], v2, -1
	v_add_u32_e32 v4, 20, v19
	v_lshlrev_b64 v[37:38], v4, 1
	v_bfi_b32 v3, v3, 0, 0
	v_bfi_b32 v2, v2, 0, v28
	v_cmp_eq_u64_e64 s[40:41], v[2:3], v[37:38]
	v_lshrrev_b64 v[2:3], v19, v[28:29]
	v_mov_b32_e32 v4, v3
	v_mov_b32_e32 v3, v2
	s_and_saveexec_b64 s[50:51], s[40:41]
; %bb.3346:                             ;   in Loop: Header=BB2_3018 Depth=4
	v_bfe_u32 v3, v2, 21, 1
	v_add_co_u32_e64 v3, s[40:41], v2, v3
	v_add_co_u32_e64 v3, s[40:41], -1, v3
; %bb.3347:                             ;   in Loop: Header=BB2_3018 Depth=4
	s_or_b64 exec, exec, s[50:51]
	v_add_u32_e32 v4, 0xffffff81, v9
	v_cndmask_b32_e32 v4, v4, v1, vcc
	v_lshrrev_b32_e32 v9, 23, v2
	v_add3_u32 v19, v19, v4, v9
	v_add_u32_e32 v9, 14, v19
	v_and_b32_e32 v3, 0x1fffff, v3
	v_add_u32_e32 v28, v3, v2
	v_cmp_ne_u32_e32 vcc, 0, v9
                                        ; implicit-def: $vgpr2_vgpr3
                                        ; implicit-def: $vgpr4
	s_and_saveexec_b64 s[40:41], vcc
	s_xor_b64 s[40:41], exec, s[40:41]
; %bb.3348:                             ;   in Loop: Header=BB2_3018 Depth=4
	v_cmp_lt_u64_e32 vcc, s[88:89], v[28:29]
	v_add_u32_e32 v2, 15, v19
	v_cndmask_b32_e32 v4, v9, v2, vcc
	v_cndmask_b32_e64 v2, 0, 1, vcc
	v_lshrrev_b64 v[2:3], v2, v[28:29]
; %bb.3349:                             ;   in Loop: Header=BB2_3018 Depth=4
	s_andn2_saveexec_b64 s[40:41], s[40:41]
; %bb.3350:                             ;   in Loop: Header=BB2_3018 Depth=4
	v_mov_b32_e32 v2, v28
	v_bfe_u32 v4, v28, 23, 1
	v_mov_b32_e32 v3, v29
; %bb.3351:                             ;   in Loop: Header=BB2_3018 Depth=4
	s_or_b64 exec, exec, s[40:41]
	v_lshrrev_b64 v[2:3], 21, v[2:3]
	v_cmp_gt_i32_e32 vcc, 32, v4
	v_cndmask_b32_e32 v3, 0, v3, vcc
	v_cndmask_b32_e32 v2, 3, v2, vcc
	v_cmp_eq_u64_e64 s[40:41], 0, v[2:3]
	v_min_i32_e32 v3, 31, v4
	v_lshlrev_b32_e32 v3, 2, v3
	v_cmp_eq_u32_e32 vcc, 0, v4
	v_and_b32_e32 v3, 0xfc, v3
	v_and_or_b32 v2, v2, 3, v3
	s_and_b64 s[40:41], vcc, s[40:41]
	v_cndmask_b32_e64 v2, v2, 0, s[40:41]
	v_or_b32_e32 v19, v2, v8
.LBB2_3352:                             ;   in Loop: Header=BB2_3018 Depth=4
	s_or_b64 exec, exec, s[48:49]
                                        ; implicit-def: $vgpr8
.LBB2_3353:                             ;   in Loop: Header=BB2_3018 Depth=4
	s_andn2_saveexec_b64 s[40:41], s[38:39]
; %bb.3354:                             ;   in Loop: Header=BB2_3018 Depth=4
	v_or_b32_e32 v19, 0x7b, v8
; %bb.3355:                             ;   in Loop: Header=BB2_3018 Depth=4
	s_or_b64 exec, exec, s[40:41]
                                        ; implicit-def: $vgpr2
.LBB2_3356:                             ;   in Loop: Header=BB2_3018 Depth=4
	s_andn2_saveexec_b64 s[40:41], s[42:43]
	s_cbranch_execz .LBB2_3362
; %bb.3357:                             ;   in Loop: Header=BB2_3018 Depth=4
	v_cmp_ne_u64_e32 vcc, 0, v[28:29]
                                        ; implicit-def: $vgpr19
	s_and_saveexec_b64 s[42:43], vcc
	s_xor_b64 s[42:43], exec, s[42:43]
; %bb.3358:                             ;   in Loop: Header=BB2_3018 Depth=4
	v_or_b32_sdwa v19, v2, s47 dst_sel:DWORD dst_unused:UNUSED_PAD src0_sel:BYTE_3 src1_sel:DWORD
                                        ; implicit-def: $vgpr2
; %bb.3359:                             ;   in Loop: Header=BB2_3018 Depth=4
	s_andn2_saveexec_b64 s[42:43], s[42:43]
; %bb.3360:                             ;   in Loop: Header=BB2_3018 Depth=4
	v_cmp_lt_i32_e32 vcc, -1, v2
	v_cndmask_b32_e32 v19, v6, v22, vcc
; %bb.3361:                             ;   in Loop: Header=BB2_3018 Depth=4
	s_or_b64 exec, exec, s[42:43]
.LBB2_3362:                             ;   in Loop: Header=BB2_3018 Depth=4
	s_or_b64 exec, exec, s[40:41]
	v_mov_b32_e32 v28, v11
	v_cmp_ne_u16_sdwa s[42:43], v11, v29 src0_sel:BYTE_0 src1_sel:DWORD
	v_mov_b32_e32 v2, 0
	s_and_saveexec_b64 s[40:41], s[42:43]
	s_cbranch_execz .LBB2_3370
; %bb.3363:                             ;   in Loop: Header=BB2_3018 Depth=4
	v_cmp_ne_u16_sdwa vcc, v11, s96 src0_sel:BYTE_0 src1_sel:DWORD
	v_bfrev_b32_e32 v2, 1
	s_and_saveexec_b64 s[42:43], vcc
	s_cbranch_execz .LBB2_3369
; %bb.3364:                             ;   in Loop: Header=BB2_3018 Depth=4
	v_and_b32_e32 v2, 0x7c, v11
	v_and_b32_e32 v3, 3, v11
	v_cmp_ne_u32_e32 vcc, s85, v2
                                        ; implicit-def: $vgpr2
	s_and_saveexec_b64 s[38:39], vcc
	s_xor_b64 s[38:39], exec, s[38:39]
	s_cbranch_execz .LBB2_3366
; %bb.3365:                             ;   in Loop: Header=BB2_3018 Depth=4
	v_ffbh_u32_e32 v4, v3
	v_min_u32_e32 v4, 32, v4
	v_bfe_u32 v2, v11, 2, 5
	v_subrev_u32_e32 v8, 29, v4
	v_lshlrev_b64 v[8:9], v8, v[28:29]
	v_sub_u32_e32 v4, 30, v4
	v_cmp_eq_u32_e32 vcc, 0, v2
	v_cndmask_b32_e32 v2, v2, v4, vcc
	v_lshlrev_b32_e32 v4, 24, v11
	v_and_b32_e32 v8, 3, v8
	v_and_b32_e32 v4, 0x80000000, v4
	v_cndmask_b32_e32 v3, v3, v8, vcc
	v_lshl_add_u32 v2, v2, 23, v4
	v_lshl_or_b32 v2, v3, 21, v2
	v_add_u32_e32 v2, 0x38000000, v2
                                        ; implicit-def: $vgpr3
.LBB2_3366:                             ;   in Loop: Header=BB2_3018 Depth=4
	s_andn2_saveexec_b64 s[38:39], s[38:39]
; %bb.3367:                             ;   in Loop: Header=BB2_3018 Depth=4
	v_cmp_gt_i16_sdwa vcc, sext(v11), v48 src0_sel:BYTE_0 src1_sel:DWORD
	v_cndmask_b32_e32 v2, v7, v0, vcc
	v_cmp_eq_u32_e32 vcc, 0, v3
	v_cndmask_b32_e32 v2, v35, v2, vcc
; %bb.3368:                             ;   in Loop: Header=BB2_3018 Depth=4
	s_or_b64 exec, exec, s[38:39]
.LBB2_3369:                             ;   in Loop: Header=BB2_3018 Depth=4
	s_or_b64 exec, exec, s[42:43]
.LBB2_3370:                             ;   in Loop: Header=BB2_3018 Depth=4
	s_or_b64 exec, exec, s[40:41]
	v_mul_f32_e32 v4, v17, v2
	v_and_b32_e32 v8, 0x7f800000, v4
	v_mov_b32_e32 v9, v29
	v_cmp_ne_u64_e32 vcc, s[76:77], v[8:9]
	v_and_b32_e32 v2, 0x7fffff, v4
	v_mov_b32_e32 v3, v29
                                        ; implicit-def: $vgpr37
	s_and_saveexec_b64 s[40:41], vcc
	s_xor_b64 s[42:43], exec, s[40:41]
	s_cbranch_execz .LBB2_3384
; %bb.3371:                             ;   in Loop: Header=BB2_3018 Depth=4
	v_and_b32_e32 v8, 0x7fffffff, v4
	v_mov_b32_e32 v9, v29
	v_cmp_gt_u64_e32 vcc, s[78:79], v[8:9]
	v_and_b32_sdwa v8, v4, s96 dst_sel:DWORD dst_unused:UNUSED_PAD src0_sel:BYTE_3 src1_sel:DWORD
                                        ; implicit-def: $vgpr37
	s_and_saveexec_b64 s[40:41], vcc
	s_xor_b64 s[38:39], exec, s[40:41]
	s_cbranch_execz .LBB2_3381
; %bb.3372:                             ;   in Loop: Header=BB2_3018 Depth=4
	v_mov_b32_e32 v37, 0
	v_cmp_ne_u32_e32 vcc, 0, v4
	s_and_saveexec_b64 s[48:49], vcc
	s_cbranch_execz .LBB2_3380
; %bb.3373:                             ;   in Loop: Header=BB2_3018 Depth=4
	v_bfe_u32 v9, v4, 23, 8
	v_cmp_gt_u32_e64 s[40:41], s46, v9
	v_sub_u32_e32 v4, 0x71, v9
	v_cmp_eq_u32_e32 vcc, 0, v9
	v_cndmask_b32_e64 v4, 0, v4, s[40:41]
	v_mov_b32_e32 v37, 0x70
	v_cndmask_b32_e32 v37, v4, v37, vcc
	v_or_b32_e32 v38, 0x800000, v2
	v_add_u32_e32 v4, 21, v37
	v_cndmask_b32_e32 v2, v38, v2, vcc
	v_lshlrev_b64 v[38:39], v4, -1
	v_add_u32_e32 v4, 20, v37
	v_bfi_b32 v38, v38, 0, v2
	v_lshlrev_b64 v[40:41], v4, 1
	v_lshrrev_b64 v[2:3], v37, v[2:3]
	v_bfi_b32 v39, v39, 0, 0
	v_cmp_eq_u64_e64 s[40:41], v[38:39], v[40:41]
	v_mov_b32_e32 v4, v3
	v_mov_b32_e32 v3, v2
	s_and_saveexec_b64 s[50:51], s[40:41]
; %bb.3374:                             ;   in Loop: Header=BB2_3018 Depth=4
	v_bfe_u32 v3, v2, 21, 1
	v_add_co_u32_e64 v3, s[40:41], v2, v3
	v_add_co_u32_e64 v3, s[40:41], -1, v3
; %bb.3375:                             ;   in Loop: Header=BB2_3018 Depth=4
	s_or_b64 exec, exec, s[50:51]
	v_add_u32_e32 v4, 0xffffff81, v9
	v_cndmask_b32_e32 v4, v4, v1, vcc
	v_lshrrev_b32_e32 v9, 23, v2
	v_add3_u32 v37, v37, v4, v9
	v_add_u32_e32 v9, 14, v37
	v_and_b32_e32 v3, 0x1fffff, v3
	v_add_u32_e32 v2, v3, v2
	v_mov_b32_e32 v3, v29
	v_cmp_ne_u32_e32 vcc, 0, v9
                                        ; implicit-def: $vgpr4
	s_and_saveexec_b64 s[40:41], vcc
	s_xor_b64 s[40:41], exec, s[40:41]
; %bb.3376:                             ;   in Loop: Header=BB2_3018 Depth=4
	v_cmp_lt_u64_e32 vcc, s[88:89], v[2:3]
	v_add_u32_e32 v4, 15, v37
	v_cndmask_b32_e32 v4, v9, v4, vcc
	v_cndmask_b32_e64 v9, 0, 1, vcc
	v_lshrrev_b64 v[2:3], v9, v[2:3]
; %bb.3377:                             ;   in Loop: Header=BB2_3018 Depth=4
	s_andn2_saveexec_b64 s[40:41], s[40:41]
; %bb.3378:                             ;   in Loop: Header=BB2_3018 Depth=4
	v_bfe_u32 v4, v2, 23, 1
; %bb.3379:                             ;   in Loop: Header=BB2_3018 Depth=4
	s_or_b64 exec, exec, s[40:41]
	v_lshrrev_b64 v[2:3], 21, v[2:3]
	v_cmp_gt_i32_e32 vcc, 32, v4
	v_cndmask_b32_e32 v3, 0, v3, vcc
	v_cndmask_b32_e32 v2, 3, v2, vcc
	v_cmp_eq_u64_e64 s[40:41], 0, v[2:3]
	v_min_i32_e32 v3, 31, v4
	v_lshlrev_b32_e32 v3, 2, v3
	v_cmp_eq_u32_e32 vcc, 0, v4
	v_and_b32_e32 v3, 0xfc, v3
	v_and_or_b32 v2, v2, 3, v3
	s_and_b64 s[40:41], vcc, s[40:41]
	v_cndmask_b32_e64 v2, v2, 0, s[40:41]
	v_or_b32_e32 v37, v2, v8
.LBB2_3380:                             ;   in Loop: Header=BB2_3018 Depth=4
	s_or_b64 exec, exec, s[48:49]
                                        ; implicit-def: $vgpr8
.LBB2_3381:                             ;   in Loop: Header=BB2_3018 Depth=4
	s_andn2_saveexec_b64 s[40:41], s[38:39]
; %bb.3382:                             ;   in Loop: Header=BB2_3018 Depth=4
	v_or_b32_e32 v37, 0x7b, v8
; %bb.3383:                             ;   in Loop: Header=BB2_3018 Depth=4
	s_or_b64 exec, exec, s[40:41]
                                        ; implicit-def: $vgpr4
                                        ; implicit-def: $vgpr2_vgpr3
.LBB2_3384:                             ;   in Loop: Header=BB2_3018 Depth=4
	s_andn2_saveexec_b64 s[40:41], s[42:43]
	s_cbranch_execz .LBB2_3390
; %bb.3385:                             ;   in Loop: Header=BB2_3018 Depth=4
	v_cmp_ne_u64_e32 vcc, 0, v[2:3]
                                        ; implicit-def: $vgpr37
	s_and_saveexec_b64 s[42:43], vcc
	s_xor_b64 s[42:43], exec, s[42:43]
; %bb.3386:                             ;   in Loop: Header=BB2_3018 Depth=4
	v_or_b32_sdwa v37, v4, s47 dst_sel:DWORD dst_unused:UNUSED_PAD src0_sel:BYTE_3 src1_sel:DWORD
                                        ; implicit-def: $vgpr4
; %bb.3387:                             ;   in Loop: Header=BB2_3018 Depth=4
	s_andn2_saveexec_b64 s[42:43], s[42:43]
; %bb.3388:                             ;   in Loop: Header=BB2_3018 Depth=4
	v_cmp_lt_i32_e32 vcc, -1, v4
	v_cndmask_b32_e32 v37, v6, v22, vcc
; %bb.3389:                             ;   in Loop: Header=BB2_3018 Depth=4
	s_or_b64 exec, exec, s[42:43]
.LBB2_3390:                             ;   in Loop: Header=BB2_3018 Depth=4
	s_or_b64 exec, exec, s[40:41]
	v_lshrrev_b16_e32 v2, 8, v28
	v_cmp_ne_u16_e32 vcc, 0, v2
	v_mov_b32_e32 v3, 0
	s_and_saveexec_b64 s[40:41], vcc
	s_cbranch_execz .LBB2_3398
; %bb.3391:                             ;   in Loop: Header=BB2_3018 Depth=4
	v_cmp_ne_u16_e32 vcc, s96, v2
	v_bfrev_b32_e32 v3, 1
	s_and_saveexec_b64 s[42:43], vcc
	s_cbranch_execz .LBB2_3397
; %bb.3392:                             ;   in Loop: Header=BB2_3018 Depth=4
	v_and_b32_e32 v3, 0x7c, v2
	v_and_b32_e32 v4, 3, v2
	v_cmp_ne_u32_e32 vcc, s85, v3
                                        ; implicit-def: $vgpr3
	s_and_saveexec_b64 s[38:39], vcc
	s_xor_b64 s[38:39], exec, s[38:39]
	s_cbranch_execz .LBB2_3394
; %bb.3393:                             ;   in Loop: Header=BB2_3018 Depth=4
	v_ffbh_u32_e32 v9, v4
	v_min_u32_e32 v9, 32, v9
	v_mov_b32_e32 v3, v29
	v_subrev_u32_e32 v38, 29, v9
	v_bfe_u32 v8, v2, 2, 5
	v_lshlrev_b64 v[2:3], v38, v[2:3]
	v_cmp_eq_u32_e32 vcc, 0, v8
	v_and_b32_e32 v2, 3, v2
	v_sub_u32_e32 v3, 30, v9
	v_cndmask_b32_e32 v2, v4, v2, vcc
	v_lshlrev_b32_e32 v4, 16, v28
	v_cndmask_b32_e32 v3, v8, v3, vcc
	v_and_b32_e32 v4, 0x80000000, v4
	v_lshl_add_u32 v3, v3, 23, v4
	v_lshl_or_b32 v2, v2, 21, v3
	v_add_u32_e32 v3, 0x38000000, v2
                                        ; implicit-def: $vgpr4
.LBB2_3394:                             ;   in Loop: Header=BB2_3018 Depth=4
	s_andn2_saveexec_b64 s[38:39], s[38:39]
; %bb.3395:                             ;   in Loop: Header=BB2_3018 Depth=4
	v_cmp_lt_i16_e32 vcc, -1, v28
	v_cndmask_b32_e32 v2, v7, v0, vcc
	v_cmp_eq_u32_e32 vcc, 0, v4
	v_cndmask_b32_e32 v3, v35, v2, vcc
; %bb.3396:                             ;   in Loop: Header=BB2_3018 Depth=4
	s_or_b64 exec, exec, s[38:39]
.LBB2_3397:                             ;   in Loop: Header=BB2_3018 Depth=4
	s_or_b64 exec, exec, s[42:43]
.LBB2_3398:                             ;   in Loop: Header=BB2_3018 Depth=4
	s_or_b64 exec, exec, s[40:41]
	v_mul_f32_e32 v2, v17, v3
	v_and_b32_e32 v3, 0x7f800000, v2
	v_mov_b32_e32 v4, v29
	v_cmp_ne_u64_e32 vcc, s[76:77], v[3:4]
	v_and_b32_e32 v28, 0x7fffff, v2
                                        ; implicit-def: $vgpr53
	s_and_saveexec_b64 s[40:41], vcc
	s_xor_b64 s[42:43], exec, s[40:41]
	s_cbranch_execz .LBB2_3412
; %bb.3399:                             ;   in Loop: Header=BB2_3018 Depth=4
	v_and_b32_e32 v3, 0x7fffffff, v2
	v_mov_b32_e32 v4, v29
	v_cmp_gt_u64_e32 vcc, s[78:79], v[3:4]
	v_and_b32_sdwa v8, v2, s96 dst_sel:DWORD dst_unused:UNUSED_PAD src0_sel:BYTE_3 src1_sel:DWORD
                                        ; implicit-def: $vgpr53
	s_and_saveexec_b64 s[40:41], vcc
	s_xor_b64 s[38:39], exec, s[40:41]
	s_cbranch_execz .LBB2_3409
; %bb.3400:                             ;   in Loop: Header=BB2_3018 Depth=4
	v_mov_b32_e32 v53, 0
	v_cmp_ne_u32_e32 vcc, 0, v2
	s_and_saveexec_b64 s[48:49], vcc
	s_cbranch_execz .LBB2_3408
; %bb.3401:                             ;   in Loop: Header=BB2_3018 Depth=4
	v_bfe_u32 v9, v2, 23, 8
	v_cmp_gt_u32_e64 s[40:41], s46, v9
	v_sub_u32_e32 v2, 0x71, v9
	v_cmp_eq_u32_e32 vcc, 0, v9
	v_cndmask_b32_e64 v2, 0, v2, s[40:41]
	v_mov_b32_e32 v4, 0x70
	v_cndmask_b32_e32 v49, v2, v4, vcc
	v_or_b32_e32 v3, 0x800000, v28
	v_add_u32_e32 v2, 21, v49
	v_cndmask_b32_e32 v28, v3, v28, vcc
	v_lshlrev_b64 v[2:3], v2, -1
	v_add_u32_e32 v4, 20, v49
	v_lshlrev_b64 v[38:39], v4, 1
	v_bfi_b32 v3, v3, 0, 0
	v_bfi_b32 v2, v2, 0, v28
	v_cmp_eq_u64_e64 s[40:41], v[2:3], v[38:39]
	v_lshrrev_b64 v[2:3], v49, v[28:29]
	v_mov_b32_e32 v4, v3
	v_mov_b32_e32 v3, v2
	s_and_saveexec_b64 s[50:51], s[40:41]
; %bb.3402:                             ;   in Loop: Header=BB2_3018 Depth=4
	v_bfe_u32 v3, v2, 21, 1
	v_add_co_u32_e64 v3, s[40:41], v2, v3
	v_add_co_u32_e64 v3, s[40:41], -1, v3
; %bb.3403:                             ;   in Loop: Header=BB2_3018 Depth=4
	s_or_b64 exec, exec, s[50:51]
	v_add_u32_e32 v4, 0xffffff81, v9
	v_cndmask_b32_e32 v4, v4, v1, vcc
	v_lshrrev_b32_e32 v9, 23, v2
	v_add3_u32 v49, v49, v4, v9
	v_add_u32_e32 v9, 14, v49
	v_and_b32_e32 v3, 0x1fffff, v3
	v_add_u32_e32 v28, v3, v2
	v_cmp_ne_u32_e32 vcc, 0, v9
                                        ; implicit-def: $vgpr2_vgpr3
                                        ; implicit-def: $vgpr4
	s_and_saveexec_b64 s[40:41], vcc
	s_xor_b64 s[40:41], exec, s[40:41]
; %bb.3404:                             ;   in Loop: Header=BB2_3018 Depth=4
	v_cmp_lt_u64_e32 vcc, s[88:89], v[28:29]
	v_add_u32_e32 v2, 15, v49
	v_cndmask_b32_e32 v4, v9, v2, vcc
	v_cndmask_b32_e64 v2, 0, 1, vcc
	v_lshrrev_b64 v[2:3], v2, v[28:29]
; %bb.3405:                             ;   in Loop: Header=BB2_3018 Depth=4
	s_andn2_saveexec_b64 s[40:41], s[40:41]
; %bb.3406:                             ;   in Loop: Header=BB2_3018 Depth=4
	v_mov_b32_e32 v2, v28
	v_bfe_u32 v4, v28, 23, 1
	v_mov_b32_e32 v3, v29
; %bb.3407:                             ;   in Loop: Header=BB2_3018 Depth=4
	s_or_b64 exec, exec, s[40:41]
	v_lshrrev_b64 v[2:3], 21, v[2:3]
	v_cmp_gt_i32_e32 vcc, 32, v4
	v_cndmask_b32_e32 v3, 0, v3, vcc
	v_cndmask_b32_e32 v2, 3, v2, vcc
	v_cmp_eq_u64_e64 s[40:41], 0, v[2:3]
	v_min_i32_e32 v3, 31, v4
	v_lshlrev_b32_e32 v3, 2, v3
	v_cmp_eq_u32_e32 vcc, 0, v4
	v_and_b32_e32 v3, 0xfc, v3
	v_and_or_b32 v2, v2, 3, v3
	s_and_b64 s[40:41], vcc, s[40:41]
	v_cndmask_b32_e64 v2, v2, 0, s[40:41]
	v_or_b32_e32 v53, v2, v8
.LBB2_3408:                             ;   in Loop: Header=BB2_3018 Depth=4
	s_or_b64 exec, exec, s[48:49]
                                        ; implicit-def: $vgpr8
.LBB2_3409:                             ;   in Loop: Header=BB2_3018 Depth=4
	s_andn2_saveexec_b64 s[40:41], s[38:39]
; %bb.3410:                             ;   in Loop: Header=BB2_3018 Depth=4
	v_or_b32_e32 v53, 0x7b, v8
; %bb.3411:                             ;   in Loop: Header=BB2_3018 Depth=4
	s_or_b64 exec, exec, s[40:41]
                                        ; implicit-def: $vgpr2
.LBB2_3412:                             ;   in Loop: Header=BB2_3018 Depth=4
	s_andn2_saveexec_b64 s[40:41], s[42:43]
	s_cbranch_execz .LBB2_3418
; %bb.3413:                             ;   in Loop: Header=BB2_3018 Depth=4
	v_cmp_ne_u64_e32 vcc, 0, v[28:29]
                                        ; implicit-def: $vgpr53
	s_and_saveexec_b64 s[42:43], vcc
	s_xor_b64 s[42:43], exec, s[42:43]
; %bb.3414:                             ;   in Loop: Header=BB2_3018 Depth=4
	v_or_b32_sdwa v53, v2, s47 dst_sel:DWORD dst_unused:UNUSED_PAD src0_sel:BYTE_3 src1_sel:DWORD
                                        ; implicit-def: $vgpr2
; %bb.3415:                             ;   in Loop: Header=BB2_3018 Depth=4
	s_andn2_saveexec_b64 s[42:43], s[42:43]
; %bb.3416:                             ;   in Loop: Header=BB2_3018 Depth=4
	v_cmp_lt_i32_e32 vcc, -1, v2
	v_cndmask_b32_e32 v53, v6, v22, vcc
; %bb.3417:                             ;   in Loop: Header=BB2_3018 Depth=4
	s_or_b64 exec, exec, s[42:43]
.LBB2_3418:                             ;   in Loop: Header=BB2_3018 Depth=4
	s_or_b64 exec, exec, s[40:41]
	v_lshrrev_b32_e32 v2, 16, v11
	v_cmp_ne_u16_sdwa s[42:43], v2, v29 src0_sel:BYTE_0 src1_sel:DWORD
	v_mov_b32_e32 v3, 0
	s_and_saveexec_b64 s[40:41], s[42:43]
	s_cbranch_execz .LBB2_3426
; %bb.3419:                             ;   in Loop: Header=BB2_3018 Depth=4
	v_cmp_ne_u16_sdwa vcc, v2, s96 src0_sel:BYTE_0 src1_sel:DWORD
	v_bfrev_b32_e32 v3, 1
	s_and_saveexec_b64 s[42:43], vcc
	s_cbranch_execz .LBB2_3425
; %bb.3420:                             ;   in Loop: Header=BB2_3018 Depth=4
	v_and_b32_e32 v3, 0x7c0000, v11
	v_bfe_u32 v4, v11, 16, 2
	v_cmp_ne_u32_e32 vcc, s44, v3
                                        ; implicit-def: $vgpr3
	s_and_saveexec_b64 s[38:39], vcc
	s_xor_b64 s[38:39], exec, s[38:39]
	s_cbranch_execz .LBB2_3422
; %bb.3421:                             ;   in Loop: Header=BB2_3018 Depth=4
	v_ffbh_u32_e32 v3, v4
	v_min_u32_e32 v9, 32, v3
	v_subrev_u32_e32 v3, 29, v9
	v_lshlrev_b64 v[2:3], v3, v[2:3]
	v_bfe_u32 v8, v11, 18, 5
	v_and_b32_e32 v2, 3, v2
	v_cmp_eq_u32_e32 vcc, 0, v8
	v_sub_u32_e32 v3, 30, v9
	v_cndmask_b32_e32 v2, v4, v2, vcc
	v_lshlrev_b32_e32 v4, 8, v11
	v_cndmask_b32_e32 v3, v8, v3, vcc
	v_and_b32_e32 v4, 0x80000000, v4
	v_lshl_add_u32 v3, v3, 23, v4
	v_lshl_or_b32 v2, v2, 21, v3
	v_add_u32_e32 v3, 0x38000000, v2
                                        ; implicit-def: $vgpr4
                                        ; implicit-def: $vgpr2
.LBB2_3422:                             ;   in Loop: Header=BB2_3018 Depth=4
	s_andn2_saveexec_b64 s[38:39], s[38:39]
; %bb.3423:                             ;   in Loop: Header=BB2_3018 Depth=4
	v_cmp_gt_i16_sdwa vcc, sext(v2), v48 src0_sel:BYTE_0 src1_sel:DWORD
	v_cndmask_b32_e32 v2, v7, v0, vcc
	v_cmp_eq_u32_e32 vcc, 0, v4
	v_cndmask_b32_e32 v3, v35, v2, vcc
; %bb.3424:                             ;   in Loop: Header=BB2_3018 Depth=4
	s_or_b64 exec, exec, s[38:39]
.LBB2_3425:                             ;   in Loop: Header=BB2_3018 Depth=4
	s_or_b64 exec, exec, s[42:43]
.LBB2_3426:                             ;   in Loop: Header=BB2_3018 Depth=4
	s_or_b64 exec, exec, s[40:41]
	v_mul_f32_e32 v2, v17, v3
	v_and_b32_e32 v3, 0x7f800000, v2
	v_mov_b32_e32 v4, v29
	v_cmp_ne_u64_e32 vcc, s[76:77], v[3:4]
	v_and_b32_e32 v28, 0x7fffff, v2
                                        ; implicit-def: $vgpr58
	s_and_saveexec_b64 s[40:41], vcc
	s_xor_b64 s[42:43], exec, s[40:41]
	s_cbranch_execz .LBB2_3440
; %bb.3427:                             ;   in Loop: Header=BB2_3018 Depth=4
	v_and_b32_e32 v3, 0x7fffffff, v2
	v_mov_b32_e32 v4, v29
	v_cmp_gt_u64_e32 vcc, s[78:79], v[3:4]
	v_and_b32_sdwa v8, v2, s96 dst_sel:DWORD dst_unused:UNUSED_PAD src0_sel:BYTE_3 src1_sel:DWORD
                                        ; implicit-def: $vgpr58
	s_and_saveexec_b64 s[40:41], vcc
	s_xor_b64 s[38:39], exec, s[40:41]
	s_cbranch_execz .LBB2_3437
; %bb.3428:                             ;   in Loop: Header=BB2_3018 Depth=4
	v_mov_b32_e32 v58, 0
	v_cmp_ne_u32_e32 vcc, 0, v2
	s_and_saveexec_b64 s[48:49], vcc
	s_cbranch_execz .LBB2_3436
; %bb.3429:                             ;   in Loop: Header=BB2_3018 Depth=4
	v_bfe_u32 v9, v2, 23, 8
	v_cmp_gt_u32_e64 s[40:41], s46, v9
	v_sub_u32_e32 v2, 0x71, v9
	v_cmp_eq_u32_e32 vcc, 0, v9
	v_cndmask_b32_e64 v2, 0, v2, s[40:41]
	v_mov_b32_e32 v4, 0x70
	v_cndmask_b32_e32 v49, v2, v4, vcc
	v_or_b32_e32 v3, 0x800000, v28
	v_add_u32_e32 v2, 21, v49
	v_cndmask_b32_e32 v28, v3, v28, vcc
	v_lshlrev_b64 v[2:3], v2, -1
	v_add_u32_e32 v4, 20, v49
	v_lshlrev_b64 v[38:39], v4, 1
	v_bfi_b32 v3, v3, 0, 0
	v_bfi_b32 v2, v2, 0, v28
	v_cmp_eq_u64_e64 s[40:41], v[2:3], v[38:39]
	v_lshrrev_b64 v[2:3], v49, v[28:29]
	v_mov_b32_e32 v4, v3
	v_mov_b32_e32 v3, v2
	s_and_saveexec_b64 s[50:51], s[40:41]
; %bb.3430:                             ;   in Loop: Header=BB2_3018 Depth=4
	v_bfe_u32 v3, v2, 21, 1
	v_add_co_u32_e64 v3, s[40:41], v2, v3
	v_add_co_u32_e64 v3, s[40:41], -1, v3
; %bb.3431:                             ;   in Loop: Header=BB2_3018 Depth=4
	s_or_b64 exec, exec, s[50:51]
	v_add_u32_e32 v4, 0xffffff81, v9
	v_cndmask_b32_e32 v4, v4, v1, vcc
	v_lshrrev_b32_e32 v9, 23, v2
	v_add3_u32 v49, v49, v4, v9
	v_add_u32_e32 v9, 14, v49
	v_and_b32_e32 v3, 0x1fffff, v3
	v_add_u32_e32 v28, v3, v2
	v_cmp_ne_u32_e32 vcc, 0, v9
                                        ; implicit-def: $vgpr2_vgpr3
                                        ; implicit-def: $vgpr4
	s_and_saveexec_b64 s[40:41], vcc
	s_xor_b64 s[40:41], exec, s[40:41]
; %bb.3432:                             ;   in Loop: Header=BB2_3018 Depth=4
	v_cmp_lt_u64_e32 vcc, s[88:89], v[28:29]
	v_add_u32_e32 v2, 15, v49
	v_cndmask_b32_e32 v4, v9, v2, vcc
	v_cndmask_b32_e64 v2, 0, 1, vcc
	v_lshrrev_b64 v[2:3], v2, v[28:29]
; %bb.3433:                             ;   in Loop: Header=BB2_3018 Depth=4
	s_andn2_saveexec_b64 s[40:41], s[40:41]
; %bb.3434:                             ;   in Loop: Header=BB2_3018 Depth=4
	v_mov_b32_e32 v2, v28
	v_bfe_u32 v4, v28, 23, 1
	v_mov_b32_e32 v3, v29
; %bb.3435:                             ;   in Loop: Header=BB2_3018 Depth=4
	s_or_b64 exec, exec, s[40:41]
	v_lshrrev_b64 v[2:3], 21, v[2:3]
	v_cmp_gt_i32_e32 vcc, 32, v4
	v_cndmask_b32_e32 v3, 0, v3, vcc
	v_cndmask_b32_e32 v2, 3, v2, vcc
	v_cmp_eq_u64_e64 s[40:41], 0, v[2:3]
	v_min_i32_e32 v3, 31, v4
	v_lshlrev_b32_e32 v3, 2, v3
	v_cmp_eq_u32_e32 vcc, 0, v4
	v_and_b32_e32 v3, 0xfc, v3
	v_and_or_b32 v2, v2, 3, v3
	s_and_b64 s[40:41], vcc, s[40:41]
	v_cndmask_b32_e64 v2, v2, 0, s[40:41]
	v_or_b32_e32 v58, v2, v8
.LBB2_3436:                             ;   in Loop: Header=BB2_3018 Depth=4
	s_or_b64 exec, exec, s[48:49]
                                        ; implicit-def: $vgpr8
.LBB2_3437:                             ;   in Loop: Header=BB2_3018 Depth=4
	s_andn2_saveexec_b64 s[40:41], s[38:39]
; %bb.3438:                             ;   in Loop: Header=BB2_3018 Depth=4
	v_or_b32_e32 v58, 0x7b, v8
; %bb.3439:                             ;   in Loop: Header=BB2_3018 Depth=4
	s_or_b64 exec, exec, s[40:41]
                                        ; implicit-def: $vgpr2
.LBB2_3440:                             ;   in Loop: Header=BB2_3018 Depth=4
	s_andn2_saveexec_b64 s[40:41], s[42:43]
	s_cbranch_execz .LBB2_3446
; %bb.3441:                             ;   in Loop: Header=BB2_3018 Depth=4
	v_cmp_ne_u64_e32 vcc, 0, v[28:29]
                                        ; implicit-def: $vgpr58
	s_and_saveexec_b64 s[42:43], vcc
	s_xor_b64 s[42:43], exec, s[42:43]
; %bb.3442:                             ;   in Loop: Header=BB2_3018 Depth=4
	v_or_b32_sdwa v58, v2, s47 dst_sel:DWORD dst_unused:UNUSED_PAD src0_sel:BYTE_3 src1_sel:DWORD
                                        ; implicit-def: $vgpr2
; %bb.3443:                             ;   in Loop: Header=BB2_3018 Depth=4
	s_andn2_saveexec_b64 s[42:43], s[42:43]
; %bb.3444:                             ;   in Loop: Header=BB2_3018 Depth=4
	v_cmp_lt_i32_e32 vcc, -1, v2
	v_cndmask_b32_e32 v58, v6, v22, vcc
; %bb.3445:                             ;   in Loop: Header=BB2_3018 Depth=4
	s_or_b64 exec, exec, s[42:43]
.LBB2_3446:                             ;   in Loop: Header=BB2_3018 Depth=4
	s_or_b64 exec, exec, s[40:41]
	v_cmp_lt_u64_e32 vcc, s[56:57], v[10:11]
	v_mov_b32_e32 v3, 0
	s_and_saveexec_b64 s[40:41], vcc
	s_cbranch_execz .LBB2_3454
; %bb.3447:                             ;   in Loop: Header=BB2_3018 Depth=4
	v_lshrrev_b32_e32 v2, 24, v11
	v_cmp_ne_u32_e32 vcc, s96, v2
	v_bfrev_b32_e32 v3, 1
	s_and_saveexec_b64 s[42:43], vcc
	s_cbranch_execz .LBB2_3453
; %bb.3448:                             ;   in Loop: Header=BB2_3018 Depth=4
	v_and_b32_e32 v3, 0x7c000000, v11
	v_bfe_u32 v4, v11, 24, 2
	v_cmp_ne_u32_e32 vcc, s45, v3
                                        ; implicit-def: $vgpr3
	s_and_saveexec_b64 s[38:39], vcc
	s_xor_b64 s[38:39], exec, s[38:39]
	s_cbranch_execz .LBB2_3450
; %bb.3449:                             ;   in Loop: Header=BB2_3018 Depth=4
	v_ffbh_u32_e32 v3, v4
	v_min_u32_e32 v9, 32, v3
	v_subrev_u32_e32 v3, 29, v9
	v_lshlrev_b64 v[2:3], v3, v[2:3]
	v_bfe_u32 v8, v11, 26, 5
	v_sub_u32_e32 v3, 30, v9
	v_and_b32_e32 v2, 3, v2
	v_cmp_eq_u32_e32 vcc, 0, v8
	v_cndmask_b32_e32 v3, v8, v3, vcc
	v_cndmask_b32_e32 v2, v4, v2, vcc
	v_and_b32_e32 v4, 0x80000000, v11
	v_lshl_add_u32 v3, v3, 23, v4
	v_lshl_or_b32 v2, v2, 21, v3
	v_add_u32_e32 v3, 0x38000000, v2
                                        ; implicit-def: $vgpr4
                                        ; implicit-def: $vgpr10_vgpr11
.LBB2_3450:                             ;   in Loop: Header=BB2_3018 Depth=4
	s_andn2_saveexec_b64 s[38:39], s[38:39]
; %bb.3451:                             ;   in Loop: Header=BB2_3018 Depth=4
	v_cmp_lt_i64_e32 vcc, -1, v[10:11]
	v_cndmask_b32_e32 v2, v7, v0, vcc
	v_cmp_eq_u32_e32 vcc, 0, v4
	v_cndmask_b32_e32 v3, v35, v2, vcc
; %bb.3452:                             ;   in Loop: Header=BB2_3018 Depth=4
	s_or_b64 exec, exec, s[38:39]
.LBB2_3453:                             ;   in Loop: Header=BB2_3018 Depth=4
	s_or_b64 exec, exec, s[42:43]
.LBB2_3454:                             ;   in Loop: Header=BB2_3018 Depth=4
	s_or_b64 exec, exec, s[40:41]
	v_mul_f32_e32 v2, v17, v3
	v_and_b32_e32 v3, 0x7f800000, v2
	v_mov_b32_e32 v4, v29
	v_cmp_ne_u64_e32 vcc, s[76:77], v[3:4]
	v_and_b32_e32 v28, 0x7fffff, v2
                                        ; implicit-def: $vgpr60
	s_and_saveexec_b64 s[40:41], vcc
	s_xor_b64 s[42:43], exec, s[40:41]
	s_cbranch_execz .LBB2_3468
; %bb.3455:                             ;   in Loop: Header=BB2_3018 Depth=4
	v_and_b32_e32 v3, 0x7fffffff, v2
	v_mov_b32_e32 v4, v29
	v_cmp_gt_u64_e32 vcc, s[78:79], v[3:4]
	v_and_b32_sdwa v8, v2, s96 dst_sel:DWORD dst_unused:UNUSED_PAD src0_sel:BYTE_3 src1_sel:DWORD
                                        ; implicit-def: $vgpr60
	s_and_saveexec_b64 s[40:41], vcc
	s_xor_b64 s[38:39], exec, s[40:41]
	s_cbranch_execz .LBB2_3465
; %bb.3456:                             ;   in Loop: Header=BB2_3018 Depth=4
	v_mov_b32_e32 v60, 0
	v_cmp_ne_u32_e32 vcc, 0, v2
	s_and_saveexec_b64 s[48:49], vcc
	s_cbranch_execz .LBB2_3464
; %bb.3457:                             ;   in Loop: Header=BB2_3018 Depth=4
	v_bfe_u32 v9, v2, 23, 8
	v_cmp_gt_u32_e64 s[40:41], s46, v9
	v_sub_u32_e32 v2, 0x71, v9
	v_cmp_eq_u32_e32 vcc, 0, v9
	v_cndmask_b32_e64 v2, 0, v2, s[40:41]
	v_mov_b32_e32 v4, 0x70
	v_cndmask_b32_e32 v10, v2, v4, vcc
	v_or_b32_e32 v3, 0x800000, v28
	v_add_u32_e32 v2, 21, v10
	v_cndmask_b32_e32 v28, v3, v28, vcc
	v_lshlrev_b64 v[2:3], v2, -1
	v_add_u32_e32 v4, 20, v10
	v_lshlrev_b64 v[38:39], v4, 1
	v_bfi_b32 v3, v3, 0, 0
	v_bfi_b32 v2, v2, 0, v28
	v_cmp_eq_u64_e64 s[40:41], v[2:3], v[38:39]
	v_lshrrev_b64 v[2:3], v10, v[28:29]
	v_mov_b32_e32 v4, v3
	v_mov_b32_e32 v3, v2
	s_and_saveexec_b64 s[50:51], s[40:41]
; %bb.3458:                             ;   in Loop: Header=BB2_3018 Depth=4
	v_bfe_u32 v3, v2, 21, 1
	v_add_co_u32_e64 v3, s[40:41], v2, v3
	v_add_co_u32_e64 v3, s[40:41], -1, v3
; %bb.3459:                             ;   in Loop: Header=BB2_3018 Depth=4
	s_or_b64 exec, exec, s[50:51]
	v_add_u32_e32 v4, 0xffffff81, v9
	v_cndmask_b32_e32 v4, v4, v1, vcc
	v_lshrrev_b32_e32 v9, 23, v2
	v_add3_u32 v10, v10, v4, v9
	v_add_u32_e32 v9, 14, v10
	v_and_b32_e32 v3, 0x1fffff, v3
	v_add_u32_e32 v28, v3, v2
	v_cmp_ne_u32_e32 vcc, 0, v9
                                        ; implicit-def: $vgpr2_vgpr3
                                        ; implicit-def: $vgpr4
	s_and_saveexec_b64 s[40:41], vcc
	s_xor_b64 s[40:41], exec, s[40:41]
; %bb.3460:                             ;   in Loop: Header=BB2_3018 Depth=4
	v_cmp_lt_u64_e32 vcc, s[88:89], v[28:29]
	v_add_u32_e32 v2, 15, v10
	v_cndmask_b32_e32 v4, v9, v2, vcc
	v_cndmask_b32_e64 v2, 0, 1, vcc
	v_lshrrev_b64 v[2:3], v2, v[28:29]
; %bb.3461:                             ;   in Loop: Header=BB2_3018 Depth=4
	s_andn2_saveexec_b64 s[40:41], s[40:41]
; %bb.3462:                             ;   in Loop: Header=BB2_3018 Depth=4
	v_mov_b32_e32 v2, v28
	v_bfe_u32 v4, v28, 23, 1
	v_mov_b32_e32 v3, v29
; %bb.3463:                             ;   in Loop: Header=BB2_3018 Depth=4
	s_or_b64 exec, exec, s[40:41]
	v_lshrrev_b64 v[2:3], 21, v[2:3]
	v_cmp_gt_i32_e32 vcc, 32, v4
	v_cndmask_b32_e32 v3, 0, v3, vcc
	v_cndmask_b32_e32 v2, 3, v2, vcc
	v_cmp_eq_u64_e64 s[40:41], 0, v[2:3]
	v_min_i32_e32 v3, 31, v4
	v_lshlrev_b32_e32 v3, 2, v3
	v_cmp_eq_u32_e32 vcc, 0, v4
	v_and_b32_e32 v3, 0xfc, v3
	v_and_or_b32 v2, v2, 3, v3
	s_and_b64 s[40:41], vcc, s[40:41]
	v_cndmask_b32_e64 v2, v2, 0, s[40:41]
	v_or_b32_e32 v60, v2, v8
.LBB2_3464:                             ;   in Loop: Header=BB2_3018 Depth=4
	s_or_b64 exec, exec, s[48:49]
                                        ; implicit-def: $vgpr8
.LBB2_3465:                             ;   in Loop: Header=BB2_3018 Depth=4
	s_andn2_saveexec_b64 s[40:41], s[38:39]
; %bb.3466:                             ;   in Loop: Header=BB2_3018 Depth=4
	v_or_b32_e32 v60, 0x7b, v8
; %bb.3467:                             ;   in Loop: Header=BB2_3018 Depth=4
	s_or_b64 exec, exec, s[40:41]
                                        ; implicit-def: $vgpr2
.LBB2_3468:                             ;   in Loop: Header=BB2_3018 Depth=4
	s_andn2_saveexec_b64 s[40:41], s[42:43]
	s_cbranch_execz .LBB2_3474
; %bb.3469:                             ;   in Loop: Header=BB2_3018 Depth=4
	v_cmp_ne_u64_e32 vcc, 0, v[28:29]
                                        ; implicit-def: $vgpr60
	s_and_saveexec_b64 s[42:43], vcc
	s_xor_b64 s[42:43], exec, s[42:43]
; %bb.3470:                             ;   in Loop: Header=BB2_3018 Depth=4
	v_or_b32_sdwa v60, v2, s47 dst_sel:DWORD dst_unused:UNUSED_PAD src0_sel:BYTE_3 src1_sel:DWORD
                                        ; implicit-def: $vgpr2
; %bb.3471:                             ;   in Loop: Header=BB2_3018 Depth=4
	s_andn2_saveexec_b64 s[42:43], s[42:43]
; %bb.3472:                             ;   in Loop: Header=BB2_3018 Depth=4
	v_cmp_lt_i32_e32 vcc, -1, v2
	v_cndmask_b32_e32 v60, v6, v22, vcc
; %bb.3473:                             ;   in Loop: Header=BB2_3018 Depth=4
	s_or_b64 exec, exec, s[42:43]
.LBB2_3474:                             ;   in Loop: Header=BB2_3018 Depth=4
	s_or_b64 exec, exec, s[40:41]
	global_load_dwordx4 v[8:11], v[44:45], off glc slc
	v_lshl_or_b32 v17, v23, 8, v14
	v_lshlrev_b32_e32 v2, 16, v51
	v_lshlrev_b32_e32 v3, 24, v57
	v_or3_b32 v28, v2, v3, v17
	v_cmp_ne_u32_e32 vcc, 0, v14
	v_mov_b32_e32 v2, 0
	s_and_saveexec_b64 s[42:43], vcc
	s_cbranch_execz .LBB2_3482
; %bb.3475:                             ;   in Loop: Header=BB2_3018 Depth=4
	v_cmp_ne_u32_e32 vcc, s96, v14
	v_bfrev_b32_e32 v2, 1
	s_and_saveexec_b64 s[38:39], vcc
	s_cbranch_execz .LBB2_3481
; %bb.3476:                             ;   in Loop: Header=BB2_3018 Depth=4
	v_and_b32_e32 v2, 0x7c, v14
	v_and_b32_e32 v3, 3, v14
	v_cmp_ne_u32_e32 vcc, s85, v2
                                        ; implicit-def: $vgpr2
	s_and_saveexec_b64 s[40:41], vcc
	s_xor_b64 s[40:41], exec, s[40:41]
	s_cbranch_execz .LBB2_3478
; %bb.3477:                             ;   in Loop: Header=BB2_3018 Depth=4
	v_ffbh_u32_e32 v4, v3
	v_min_u32_e32 v4, 32, v4
	v_bfe_u32 v2, v14, 2, 5
	v_subrev_u32_e32 v23, 29, v4
	v_lshlrev_b64 v[38:39], v23, v[28:29]
	v_sub_u32_e32 v4, 30, v4
	v_cmp_eq_u32_e32 vcc, 0, v2
	v_cndmask_b32_e32 v2, v2, v4, vcc
	v_lshlrev_b32_e32 v4, 24, v14
	v_and_b32_e32 v23, 3, v38
	v_and_b32_e32 v4, 0x80000000, v4
	v_cndmask_b32_e32 v3, v3, v23, vcc
	v_lshl_add_u32 v2, v2, 23, v4
	v_lshl_or_b32 v2, v3, 21, v2
	v_add_u32_e32 v2, 0x38000000, v2
                                        ; implicit-def: $vgpr3
                                        ; implicit-def: $vgpr14
.LBB2_3478:                             ;   in Loop: Header=BB2_3018 Depth=4
	s_andn2_saveexec_b64 s[48:49], s[40:41]
; %bb.3479:                             ;   in Loop: Header=BB2_3018 Depth=4
	v_and_b32_e32 v2, 0x80, v14
	v_cmp_eq_u32_e64 s[40:41], 0, v2
	v_cmp_eq_u32_e32 vcc, 0, v3
	v_cndmask_b32_e64 v2, v7, v0, s[40:41]
	v_cndmask_b32_e32 v2, v35, v2, vcc
; %bb.3480:                             ;   in Loop: Header=BB2_3018 Depth=4
	s_or_b64 exec, exec, s[48:49]
.LBB2_3481:                             ;   in Loop: Header=BB2_3018 Depth=4
	s_or_b64 exec, exec, s[38:39]
.LBB2_3482:                             ;   in Loop: Header=BB2_3018 Depth=4
	s_or_b64 exec, exec, s[42:43]
	s_waitcnt vmcnt(0)
	v_cmp_gt_i16_sdwa s[42:43], v8, s47 src0_sel:BYTE_0 src1_sel:DWORD
	s_mov_b64 s[40:41], 0
	s_and_saveexec_b64 vcc, s[42:43]
	s_xor_b64 s[42:43], exec, vcc
	s_cbranch_execz .LBB2_3997
; %bb.3483:                             ;   in Loop: Header=BB2_3018 Depth=4
	v_cmp_eq_u16_sdwa s[38:39], v8, s96 src0_sel:BYTE_0 src1_sel:DWORD
	s_mov_b64 s[40:41], -1
	s_and_saveexec_b64 vcc, s[38:39]
; %bb.3484:                             ;   in Loop: Header=BB2_3018 Depth=4
	s_xor_b64 s[40:41], exec, -1
; %bb.3485:                             ;   in Loop: Header=BB2_3018 Depth=4
	s_or_b64 exec, exec, vcc
	s_and_b64 s[40:41], s[40:41], exec
	s_or_saveexec_b64 s[42:43], s[42:43]
	v_bfrev_b32_e32 v3, 1
	s_xor_b64 exec, exec, s[42:43]
	s_cbranch_execnz .LBB2_3998
.LBB2_3486:                             ;   in Loop: Header=BB2_3018 Depth=4
	s_or_b64 exec, exec, s[42:43]
	s_and_saveexec_b64 s[38:39], s[40:41]
	s_cbranch_execz .LBB2_3488
.LBB2_3487:                             ;   in Loop: Header=BB2_3018 Depth=4
	v_and_b32_e32 v14, 3, v8
	v_and_b32_e32 v3, 0x7c, v8
	v_cmp_eq_u32_e32 vcc, s85, v3
	v_ffbh_u32_e32 v3, v14
	v_min_u32_e32 v38, 32, v3
	v_subrev_u32_e32 v3, 29, v38
	v_bfe_u32 v23, v8, 2, 5
	v_lshlrev_b64 v[3:4], v3, v[8:9]
	v_cmp_eq_u32_e64 s[40:41], 0, v23
	v_sub_u32_e32 v4, 30, v38
	v_cndmask_b32_e64 v4, v23, v4, s[40:41]
	v_lshlrev_b32_e32 v23, 24, v8
	v_and_b32_e32 v3, 3, v3
	v_and_b32_e32 v23, 0x80000000, v23
	v_cndmask_b32_e64 v3, v14, v3, s[40:41]
	v_lshl_add_u32 v4, v4, 23, v23
	v_cmp_gt_i16_sdwa s[42:43], sext(v8), v48 src0_sel:BYTE_0 src1_sel:DWORD
	v_lshl_or_b32 v3, v3, 21, v4
	v_cmp_eq_u32_e64 s[40:41], 0, v14
	v_cndmask_b32_e64 v4, v7, v0, s[42:43]
	v_add_u32_e32 v3, 0x38000000, v3
	v_cndmask_b32_e64 v4, v35, v4, s[40:41]
	v_cndmask_b32_e32 v3, v3, v4, vcc
.LBB2_3488:                             ;   in Loop: Header=BB2_3018 Depth=4
	s_or_b64 exec, exec, s[38:39]
	v_add_f32_e32 v4, v2, v3
	v_and_b32_e32 v38, 0x7f800000, v4
	v_mov_b32_e32 v39, v29
	v_cmp_ne_u64_e32 vcc, s[76:77], v[38:39]
	v_and_b32_e32 v2, 0x7fffff, v4
	v_mov_b32_e32 v3, v29
                                        ; implicit-def: $vgpr23
	s_and_saveexec_b64 s[40:41], vcc
	s_xor_b64 s[42:43], exec, s[40:41]
	s_cbranch_execz .LBB2_3502
; %bb.3489:                             ;   in Loop: Header=BB2_3018 Depth=4
	v_and_b32_e32 v38, 0x7fffffff, v4
	v_mov_b32_e32 v39, v29
	v_cmp_gt_u64_e32 vcc, s[78:79], v[38:39]
	v_and_b32_sdwa v14, v4, s96 dst_sel:DWORD dst_unused:UNUSED_PAD src0_sel:BYTE_3 src1_sel:DWORD
                                        ; implicit-def: $vgpr23
	s_and_saveexec_b64 s[40:41], vcc
	s_xor_b64 s[38:39], exec, s[40:41]
	s_cbranch_execz .LBB2_3499
; %bb.3490:                             ;   in Loop: Header=BB2_3018 Depth=4
	v_mov_b32_e32 v23, 0
	v_cmp_ne_u32_e32 vcc, 0, v4
	s_and_saveexec_b64 s[48:49], vcc
	s_cbranch_execz .LBB2_3498
; %bb.3491:                             ;   in Loop: Header=BB2_3018 Depth=4
	v_bfe_u32 v23, v4, 23, 8
	v_cmp_gt_u32_e64 s[40:41], s46, v23
	v_sub_u32_e32 v4, 0x71, v23
	v_cmp_eq_u32_e32 vcc, 0, v23
	v_cndmask_b32_e64 v4, 0, v4, s[40:41]
	v_mov_b32_e32 v39, 0x70
	v_cndmask_b32_e32 v49, v4, v39, vcc
	v_or_b32_e32 v38, 0x800000, v2
	v_add_u32_e32 v4, 21, v49
	v_cndmask_b32_e32 v2, v38, v2, vcc
	v_lshlrev_b64 v[38:39], v4, -1
	v_add_u32_e32 v4, 20, v49
	v_bfi_b32 v38, v38, 0, v2
	v_lshlrev_b64 v[40:41], v4, 1
	v_lshrrev_b64 v[2:3], v49, v[2:3]
	v_bfi_b32 v39, v39, 0, 0
	v_cmp_eq_u64_e64 s[40:41], v[38:39], v[40:41]
	v_mov_b32_e32 v4, v3
	v_mov_b32_e32 v3, v2
	s_and_saveexec_b64 s[50:51], s[40:41]
; %bb.3492:                             ;   in Loop: Header=BB2_3018 Depth=4
	v_bfe_u32 v3, v2, 21, 1
	v_add_co_u32_e64 v3, s[40:41], v2, v3
	v_add_co_u32_e64 v3, s[40:41], -1, v3
; %bb.3493:                             ;   in Loop: Header=BB2_3018 Depth=4
	s_or_b64 exec, exec, s[50:51]
	v_add_u32_e32 v4, 0xffffff81, v23
	v_cndmask_b32_e32 v4, v4, v1, vcc
	v_lshrrev_b32_e32 v23, 23, v2
	v_add3_u32 v49, v49, v4, v23
	v_add_u32_e32 v23, 14, v49
	v_and_b32_e32 v3, 0x1fffff, v3
	v_add_u32_e32 v2, v3, v2
	v_mov_b32_e32 v3, v29
	v_cmp_ne_u32_e32 vcc, 0, v23
                                        ; implicit-def: $vgpr4
	s_and_saveexec_b64 s[40:41], vcc
	s_xor_b64 s[40:41], exec, s[40:41]
; %bb.3494:                             ;   in Loop: Header=BB2_3018 Depth=4
	v_cmp_lt_u64_e32 vcc, s[88:89], v[2:3]
	v_add_u32_e32 v4, 15, v49
	v_cndmask_b32_e32 v4, v23, v4, vcc
	v_cndmask_b32_e64 v23, 0, 1, vcc
	v_lshrrev_b64 v[2:3], v23, v[2:3]
; %bb.3495:                             ;   in Loop: Header=BB2_3018 Depth=4
	s_andn2_saveexec_b64 s[40:41], s[40:41]
; %bb.3496:                             ;   in Loop: Header=BB2_3018 Depth=4
	v_bfe_u32 v4, v2, 23, 1
; %bb.3497:                             ;   in Loop: Header=BB2_3018 Depth=4
	s_or_b64 exec, exec, s[40:41]
	v_lshrrev_b64 v[2:3], 21, v[2:3]
	v_cmp_gt_i32_e32 vcc, 32, v4
	v_cndmask_b32_e32 v3, 0, v3, vcc
	v_cndmask_b32_e32 v2, 3, v2, vcc
	v_cmp_eq_u64_e64 s[40:41], 0, v[2:3]
	v_min_i32_e32 v3, 31, v4
	v_lshlrev_b32_e32 v3, 2, v3
	v_cmp_eq_u32_e32 vcc, 0, v4
	v_and_b32_e32 v3, 0xfc, v3
	v_and_or_b32 v2, v2, 3, v3
	s_and_b64 s[40:41], vcc, s[40:41]
	v_cndmask_b32_e64 v2, v2, 0, s[40:41]
	v_or_b32_e32 v23, v2, v14
.LBB2_3498:                             ;   in Loop: Header=BB2_3018 Depth=4
	s_or_b64 exec, exec, s[48:49]
                                        ; implicit-def: $vgpr14
.LBB2_3499:                             ;   in Loop: Header=BB2_3018 Depth=4
	s_andn2_saveexec_b64 s[40:41], s[38:39]
; %bb.3500:                             ;   in Loop: Header=BB2_3018 Depth=4
	v_or_b32_e32 v23, 0x7b, v14
; %bb.3501:                             ;   in Loop: Header=BB2_3018 Depth=4
	s_or_b64 exec, exec, s[40:41]
                                        ; implicit-def: $vgpr4
                                        ; implicit-def: $vgpr2_vgpr3
.LBB2_3502:                             ;   in Loop: Header=BB2_3018 Depth=4
	s_andn2_saveexec_b64 s[40:41], s[42:43]
	s_cbranch_execz .LBB2_3508
; %bb.3503:                             ;   in Loop: Header=BB2_3018 Depth=4
	v_cmp_ne_u64_e32 vcc, 0, v[2:3]
                                        ; implicit-def: $vgpr23
	s_and_saveexec_b64 s[42:43], vcc
	s_xor_b64 s[42:43], exec, s[42:43]
; %bb.3504:                             ;   in Loop: Header=BB2_3018 Depth=4
	v_or_b32_sdwa v23, v4, s47 dst_sel:DWORD dst_unused:UNUSED_PAD src0_sel:BYTE_3 src1_sel:DWORD
                                        ; implicit-def: $vgpr4
; %bb.3505:                             ;   in Loop: Header=BB2_3018 Depth=4
	s_andn2_saveexec_b64 s[42:43], s[42:43]
; %bb.3506:                             ;   in Loop: Header=BB2_3018 Depth=4
	v_cmp_lt_i32_e32 vcc, -1, v4
	v_cndmask_b32_e32 v23, v6, v22, vcc
; %bb.3507:                             ;   in Loop: Header=BB2_3018 Depth=4
	s_or_b64 exec, exec, s[42:43]
.LBB2_3508:                             ;   in Loop: Header=BB2_3018 Depth=4
	s_or_b64 exec, exec, s[40:41]
	v_lshrrev_b16_e32 v2, 8, v17
	v_cmp_ne_u16_e32 vcc, 0, v2
	v_mov_b32_e32 v4, 0
	s_and_saveexec_b64 s[40:41], vcc
	s_cbranch_execz .LBB2_3516
; %bb.3509:                             ;   in Loop: Header=BB2_3018 Depth=4
	v_cmp_ne_u16_e32 vcc, s96, v2
	v_bfrev_b32_e32 v4, 1
	s_and_saveexec_b64 s[42:43], vcc
	s_cbranch_execz .LBB2_3515
; %bb.3510:                             ;   in Loop: Header=BB2_3018 Depth=4
	v_and_b32_e32 v3, 0x7c, v2
	v_and_b32_e32 v14, 3, v2
	v_cmp_ne_u32_e32 vcc, s85, v3
                                        ; implicit-def: $vgpr4
	s_and_saveexec_b64 s[38:39], vcc
	s_xor_b64 s[38:39], exec, s[38:39]
	s_cbranch_execz .LBB2_3512
; %bb.3511:                             ;   in Loop: Header=BB2_3018 Depth=4
	v_ffbh_u32_e32 v38, v14
	v_min_u32_e32 v38, 32, v38
	v_mov_b32_e32 v3, v29
	v_subrev_u32_e32 v39, 29, v38
	v_bfe_u32 v4, v2, 2, 5
	v_lshlrev_b64 v[2:3], v39, v[2:3]
	v_sub_u32_e32 v3, 30, v38
	v_cmp_eq_u32_e32 vcc, 0, v4
	v_cndmask_b32_e32 v3, v4, v3, vcc
	v_lshlrev_b32_e32 v4, 16, v17
	v_and_b32_e32 v2, 3, v2
	v_and_b32_e32 v4, 0x80000000, v4
	v_cndmask_b32_e32 v2, v14, v2, vcc
	v_lshl_add_u32 v3, v3, 23, v4
	v_lshl_or_b32 v2, v2, 21, v3
	v_add_u32_e32 v4, 0x38000000, v2
                                        ; implicit-def: $vgpr14
                                        ; implicit-def: $vgpr17
.LBB2_3512:                             ;   in Loop: Header=BB2_3018 Depth=4
	s_andn2_saveexec_b64 s[38:39], s[38:39]
; %bb.3513:                             ;   in Loop: Header=BB2_3018 Depth=4
	v_cmp_lt_i16_e32 vcc, -1, v17
	v_cndmask_b32_e32 v2, v7, v0, vcc
	v_cmp_eq_u32_e32 vcc, 0, v14
	v_cndmask_b32_e32 v4, v35, v2, vcc
; %bb.3514:                             ;   in Loop: Header=BB2_3018 Depth=4
	s_or_b64 exec, exec, s[38:39]
.LBB2_3515:                             ;   in Loop: Header=BB2_3018 Depth=4
	s_or_b64 exec, exec, s[42:43]
.LBB2_3516:                             ;   in Loop: Header=BB2_3018 Depth=4
	s_or_b64 exec, exec, s[40:41]
	v_lshrrev_b16_e32 v2, 8, v8
	v_cmp_lt_i16_e32 vcc, s47, v2
	s_mov_b64 s[40:41], 0
	s_and_saveexec_b64 s[42:43], vcc
	s_xor_b64 s[42:43], exec, s[42:43]
	s_cbranch_execz .LBB2_3999
; %bb.3517:                             ;   in Loop: Header=BB2_3018 Depth=4
	v_cmp_eq_u16_e32 vcc, s96, v2
	s_mov_b64 s[40:41], -1
	s_and_saveexec_b64 s[38:39], vcc
; %bb.3518:                             ;   in Loop: Header=BB2_3018 Depth=4
	s_xor_b64 s[40:41], exec, -1
; %bb.3519:                             ;   in Loop: Header=BB2_3018 Depth=4
	s_or_b64 exec, exec, s[38:39]
	s_and_b64 s[40:41], s[40:41], exec
	s_or_saveexec_b64 s[42:43], s[42:43]
	v_bfrev_b32_e32 v3, 1
	s_xor_b64 exec, exec, s[42:43]
	s_cbranch_execnz .LBB2_4000
.LBB2_3520:                             ;   in Loop: Header=BB2_3018 Depth=4
	s_or_b64 exec, exec, s[42:43]
	s_and_saveexec_b64 s[38:39], s[40:41]
	s_cbranch_execz .LBB2_3522
.LBB2_3521:                             ;   in Loop: Header=BB2_3018 Depth=4
	v_and_b32_e32 v14, 3, v2
	v_and_b32_e32 v38, 0x7c, v2
	v_cmp_eq_u32_e32 vcc, s85, v38
	v_ffbh_u32_e32 v38, v14
	v_min_u32_e32 v49, 32, v38
	v_mov_b32_e32 v3, v29
	v_subrev_u32_e32 v38, 29, v49
	v_bfe_u32 v17, v2, 2, 5
	v_lshlrev_b64 v[38:39], v38, v[2:3]
	v_cmp_eq_u32_e64 s[40:41], 0, v17
	v_sub_u32_e32 v3, 30, v49
	v_lshlrev_b32_e32 v2, 24, v2
	v_and_b32_e32 v38, 3, v38
	v_cndmask_b32_e64 v3, v17, v3, s[40:41]
	v_and_b32_e32 v2, 0x80000000, v2
	v_cndmask_b32_e64 v17, v14, v38, s[40:41]
	v_lshl_add_u32 v2, v3, 23, v2
	v_cmp_lt_i16_e64 s[42:43], -1, v8
	v_lshl_or_b32 v2, v17, 21, v2
	v_cmp_eq_u32_e64 s[40:41], 0, v14
	v_cndmask_b32_e64 v3, v7, v0, s[42:43]
	v_add_u32_e32 v2, 0x38000000, v2
	v_cndmask_b32_e64 v3, v35, v3, s[40:41]
	v_cndmask_b32_e32 v3, v2, v3, vcc
.LBB2_3522:                             ;   in Loop: Header=BB2_3018 Depth=4
	s_or_b64 exec, exec, s[38:39]
	v_add_f32_e32 v4, v4, v3
	v_and_b32_e32 v38, 0x7f800000, v4
	v_mov_b32_e32 v39, v29
	v_cmp_ne_u64_e32 vcc, s[76:77], v[38:39]
	v_and_b32_e32 v2, 0x7fffff, v4
	v_mov_b32_e32 v3, v29
                                        ; implicit-def: $vgpr51
	s_and_saveexec_b64 s[40:41], vcc
	s_xor_b64 s[42:43], exec, s[40:41]
	s_cbranch_execz .LBB2_3536
; %bb.3523:                             ;   in Loop: Header=BB2_3018 Depth=4
	v_and_b32_e32 v38, 0x7fffffff, v4
	v_mov_b32_e32 v39, v29
	v_cmp_gt_u64_e32 vcc, s[78:79], v[38:39]
	v_and_b32_sdwa v14, v4, s96 dst_sel:DWORD dst_unused:UNUSED_PAD src0_sel:BYTE_3 src1_sel:DWORD
                                        ; implicit-def: $vgpr51
	s_and_saveexec_b64 s[40:41], vcc
	s_xor_b64 s[38:39], exec, s[40:41]
	s_cbranch_execz .LBB2_3533
; %bb.3524:                             ;   in Loop: Header=BB2_3018 Depth=4
	v_mov_b32_e32 v51, 0
	v_cmp_ne_u32_e32 vcc, 0, v4
	s_and_saveexec_b64 s[48:49], vcc
	s_cbranch_execz .LBB2_3532
; %bb.3525:                             ;   in Loop: Header=BB2_3018 Depth=4
	v_bfe_u32 v17, v4, 23, 8
	v_cmp_gt_u32_e64 s[40:41], s46, v17
	v_sub_u32_e32 v4, 0x71, v17
	v_cmp_eq_u32_e32 vcc, 0, v17
	v_cndmask_b32_e64 v4, 0, v4, s[40:41]
	v_mov_b32_e32 v39, 0x70
	v_cndmask_b32_e32 v49, v4, v39, vcc
	v_or_b32_e32 v38, 0x800000, v2
	v_add_u32_e32 v4, 21, v49
	v_cndmask_b32_e32 v2, v38, v2, vcc
	v_lshlrev_b64 v[38:39], v4, -1
	v_add_u32_e32 v4, 20, v49
	v_bfi_b32 v38, v38, 0, v2
	v_lshlrev_b64 v[40:41], v4, 1
	v_lshrrev_b64 v[2:3], v49, v[2:3]
	v_bfi_b32 v39, v39, 0, 0
	v_cmp_eq_u64_e64 s[40:41], v[38:39], v[40:41]
	v_mov_b32_e32 v4, v3
	v_mov_b32_e32 v3, v2
	s_and_saveexec_b64 s[50:51], s[40:41]
; %bb.3526:                             ;   in Loop: Header=BB2_3018 Depth=4
	v_bfe_u32 v3, v2, 21, 1
	v_add_co_u32_e64 v3, s[40:41], v2, v3
	v_add_co_u32_e64 v3, s[40:41], -1, v3
; %bb.3527:                             ;   in Loop: Header=BB2_3018 Depth=4
	s_or_b64 exec, exec, s[50:51]
	v_add_u32_e32 v4, 0xffffff81, v17
	v_cndmask_b32_e32 v4, v4, v1, vcc
	v_lshrrev_b32_e32 v17, 23, v2
	v_add3_u32 v49, v49, v4, v17
	v_add_u32_e32 v17, 14, v49
	v_and_b32_e32 v3, 0x1fffff, v3
	v_add_u32_e32 v2, v3, v2
	v_mov_b32_e32 v3, v29
	v_cmp_ne_u32_e32 vcc, 0, v17
                                        ; implicit-def: $vgpr4
	s_and_saveexec_b64 s[40:41], vcc
	s_xor_b64 s[40:41], exec, s[40:41]
; %bb.3528:                             ;   in Loop: Header=BB2_3018 Depth=4
	v_cmp_lt_u64_e32 vcc, s[88:89], v[2:3]
	v_add_u32_e32 v4, 15, v49
	v_cndmask_b32_e32 v4, v17, v4, vcc
	v_cndmask_b32_e64 v17, 0, 1, vcc
	v_lshrrev_b64 v[2:3], v17, v[2:3]
; %bb.3529:                             ;   in Loop: Header=BB2_3018 Depth=4
	s_andn2_saveexec_b64 s[40:41], s[40:41]
; %bb.3530:                             ;   in Loop: Header=BB2_3018 Depth=4
	v_bfe_u32 v4, v2, 23, 1
; %bb.3531:                             ;   in Loop: Header=BB2_3018 Depth=4
	s_or_b64 exec, exec, s[40:41]
	v_lshrrev_b64 v[2:3], 21, v[2:3]
	v_cmp_gt_i32_e32 vcc, 32, v4
	v_cndmask_b32_e32 v3, 0, v3, vcc
	v_cndmask_b32_e32 v2, 3, v2, vcc
	v_cmp_eq_u64_e64 s[40:41], 0, v[2:3]
	v_min_i32_e32 v3, 31, v4
	v_lshlrev_b32_e32 v3, 2, v3
	v_cmp_eq_u32_e32 vcc, 0, v4
	v_and_b32_e32 v3, 0xfc, v3
	v_and_or_b32 v2, v2, 3, v3
	s_and_b64 s[40:41], vcc, s[40:41]
	v_cndmask_b32_e64 v2, v2, 0, s[40:41]
	v_or_b32_e32 v51, v2, v14
.LBB2_3532:                             ;   in Loop: Header=BB2_3018 Depth=4
	s_or_b64 exec, exec, s[48:49]
                                        ; implicit-def: $vgpr14
.LBB2_3533:                             ;   in Loop: Header=BB2_3018 Depth=4
	s_andn2_saveexec_b64 s[40:41], s[38:39]
; %bb.3534:                             ;   in Loop: Header=BB2_3018 Depth=4
	v_or_b32_e32 v51, 0x7b, v14
; %bb.3535:                             ;   in Loop: Header=BB2_3018 Depth=4
	s_or_b64 exec, exec, s[40:41]
                                        ; implicit-def: $vgpr4
                                        ; implicit-def: $vgpr2_vgpr3
.LBB2_3536:                             ;   in Loop: Header=BB2_3018 Depth=4
	s_andn2_saveexec_b64 s[40:41], s[42:43]
	s_cbranch_execz .LBB2_3542
; %bb.3537:                             ;   in Loop: Header=BB2_3018 Depth=4
	v_cmp_ne_u64_e32 vcc, 0, v[2:3]
                                        ; implicit-def: $vgpr51
	s_and_saveexec_b64 s[42:43], vcc
	s_xor_b64 s[42:43], exec, s[42:43]
; %bb.3538:                             ;   in Loop: Header=BB2_3018 Depth=4
	v_or_b32_sdwa v51, v4, s47 dst_sel:DWORD dst_unused:UNUSED_PAD src0_sel:BYTE_3 src1_sel:DWORD
                                        ; implicit-def: $vgpr4
; %bb.3539:                             ;   in Loop: Header=BB2_3018 Depth=4
	s_andn2_saveexec_b64 s[42:43], s[42:43]
; %bb.3540:                             ;   in Loop: Header=BB2_3018 Depth=4
	v_cmp_lt_i32_e32 vcc, -1, v4
	v_cndmask_b32_e32 v51, v6, v22, vcc
; %bb.3541:                             ;   in Loop: Header=BB2_3018 Depth=4
	s_or_b64 exec, exec, s[42:43]
.LBB2_3542:                             ;   in Loop: Header=BB2_3018 Depth=4
	s_or_b64 exec, exec, s[40:41]
	v_and_b32_sdwa v4, v28, s87 dst_sel:DWORD dst_unused:UNUSED_PAD src0_sel:WORD_1 src1_sel:DWORD
	v_lshrrev_b32_e32 v2, 16, v28
	v_cmp_ne_u16_e32 vcc, 0, v4
	v_mov_b32_e32 v3, 0
	s_and_saveexec_b64 s[40:41], vcc
	s_cbranch_execz .LBB2_3550
; %bb.3543:                             ;   in Loop: Header=BB2_3018 Depth=4
	v_cmp_ne_u16_e32 vcc, s96, v4
	v_bfrev_b32_e32 v3, 1
	s_and_saveexec_b64 s[42:43], vcc
	s_cbranch_execz .LBB2_3549
; %bb.3544:                             ;   in Loop: Header=BB2_3018 Depth=4
	v_and_b32_e32 v3, 0x7c0000, v28
	v_bfe_u32 v4, v28, 16, 2
	v_cmp_ne_u32_e32 vcc, s44, v3
                                        ; implicit-def: $vgpr3
	s_and_saveexec_b64 s[38:39], vcc
	s_xor_b64 s[38:39], exec, s[38:39]
	s_cbranch_execz .LBB2_3546
; %bb.3545:                             ;   in Loop: Header=BB2_3018 Depth=4
	v_ffbh_u32_e32 v3, v4
	v_min_u32_e32 v17, 32, v3
	v_lshrrev_b32_e32 v2, 16, v28
	v_subrev_u32_e32 v3, 29, v17
	v_lshlrev_b64 v[2:3], v3, v[2:3]
	v_bfe_u32 v14, v28, 18, 5
	v_and_b32_e32 v2, 3, v2
	v_cmp_eq_u32_e32 vcc, 0, v14
	v_sub_u32_e32 v3, 30, v17
	v_cndmask_b32_e32 v2, v4, v2, vcc
	v_lshlrev_b32_e32 v4, 8, v28
	v_cndmask_b32_e32 v3, v14, v3, vcc
	v_and_b32_e32 v4, 0x80000000, v4
	v_lshl_add_u32 v3, v3, 23, v4
	v_lshl_or_b32 v2, v2, 21, v3
	v_add_u32_e32 v3, 0x38000000, v2
                                        ; implicit-def: $vgpr4
                                        ; implicit-def: $vgpr2
.LBB2_3546:                             ;   in Loop: Header=BB2_3018 Depth=4
	s_andn2_saveexec_b64 s[38:39], s[38:39]
; %bb.3547:                             ;   in Loop: Header=BB2_3018 Depth=4
	v_cmp_gt_i16_sdwa vcc, sext(v2), v48 src0_sel:BYTE_0 src1_sel:DWORD
	v_cndmask_b32_e32 v2, v7, v0, vcc
	v_cmp_eq_u32_e32 vcc, 0, v4
	v_cndmask_b32_e32 v3, v35, v2, vcc
; %bb.3548:                             ;   in Loop: Header=BB2_3018 Depth=4
	s_or_b64 exec, exec, s[38:39]
.LBB2_3549:                             ;   in Loop: Header=BB2_3018 Depth=4
	s_or_b64 exec, exec, s[42:43]
.LBB2_3550:                             ;   in Loop: Header=BB2_3018 Depth=4
	s_or_b64 exec, exec, s[40:41]
	v_lshrrev_b32_e32 v2, 16, v8
	v_cmp_gt_i16_sdwa s[42:43], v2, s47 src0_sel:BYTE_0 src1_sel:DWORD
	s_mov_b64 s[40:41], 0
	s_and_saveexec_b64 vcc, s[42:43]
	s_xor_b64 s[42:43], exec, vcc
	s_cbranch_execz .LBB2_4001
; %bb.3551:                             ;   in Loop: Header=BB2_3018 Depth=4
	v_cmp_eq_u16_sdwa s[38:39], v2, s96 src0_sel:BYTE_0 src1_sel:DWORD
	s_mov_b64 s[40:41], -1
	s_and_saveexec_b64 vcc, s[38:39]
; %bb.3552:                             ;   in Loop: Header=BB2_3018 Depth=4
	s_xor_b64 s[40:41], exec, -1
; %bb.3553:                             ;   in Loop: Header=BB2_3018 Depth=4
	s_or_b64 exec, exec, vcc
	s_and_b64 s[40:41], s[40:41], exec
	s_or_saveexec_b64 s[42:43], s[42:43]
	v_bfrev_b32_e32 v4, 1
	s_xor_b64 exec, exec, s[42:43]
	s_cbranch_execnz .LBB2_4002
.LBB2_3554:                             ;   in Loop: Header=BB2_3018 Depth=4
	s_or_b64 exec, exec, s[42:43]
	s_and_saveexec_b64 s[38:39], s[40:41]
	s_cbranch_execz .LBB2_3556
.LBB2_3555:                             ;   in Loop: Header=BB2_3018 Depth=4
	v_and_b32_e32 v4, 3, v2
	v_and_b32_e32 v17, 0x7c0000, v8
	v_cmp_eq_u32_e32 vcc, s44, v17
	v_ffbh_u32_e32 v17, v4
	v_min_u32_e32 v17, 32, v17
	v_subrev_u32_e32 v38, 29, v17
	v_lshlrev_b64 v[38:39], v38, v[2:3]
	v_bfe_u32 v14, v8, 18, 5
	v_cmp_eq_u32_e64 s[40:41], 0, v14
	v_sub_u32_e32 v17, 30, v17
	v_and_b32_e32 v38, 3, v38
	v_cndmask_b32_e64 v14, v14, v17, s[40:41]
	v_cndmask_b32_e64 v17, v4, v38, s[40:41]
	v_lshlrev_b32_e32 v38, 24, v2
	v_and_b32_e32 v38, 0x80000000, v38
	v_lshl_add_u32 v14, v14, 23, v38
	v_cmp_gt_i16_sdwa s[42:43], sext(v2), v48 src0_sel:BYTE_0 src1_sel:DWORD
	v_lshl_or_b32 v14, v17, 21, v14
	v_cmp_eq_u32_e64 s[40:41], 0, v4
	v_cndmask_b32_e64 v2, v7, v0, s[42:43]
	v_add_u32_e32 v14, 0x38000000, v14
	v_cndmask_b32_e64 v2, v35, v2, s[40:41]
	v_cndmask_b32_e32 v4, v14, v2, vcc
.LBB2_3556:                             ;   in Loop: Header=BB2_3018 Depth=4
	s_or_b64 exec, exec, s[38:39]
	v_add_f32_e32 v4, v3, v4
	v_and_b32_e32 v38, 0x7f800000, v4
	v_mov_b32_e32 v39, v29
	v_cmp_ne_u64_e32 vcc, s[76:77], v[38:39]
	v_and_b32_e32 v2, 0x7fffff, v4
	v_mov_b32_e32 v3, v29
                                        ; implicit-def: $vgpr57
	s_and_saveexec_b64 s[40:41], vcc
	s_xor_b64 s[42:43], exec, s[40:41]
	s_cbranch_execz .LBB2_3570
; %bb.3557:                             ;   in Loop: Header=BB2_3018 Depth=4
	v_and_b32_e32 v38, 0x7fffffff, v4
	v_mov_b32_e32 v39, v29
	v_cmp_gt_u64_e32 vcc, s[78:79], v[38:39]
	v_and_b32_sdwa v14, v4, s96 dst_sel:DWORD dst_unused:UNUSED_PAD src0_sel:BYTE_3 src1_sel:DWORD
                                        ; implicit-def: $vgpr57
	s_and_saveexec_b64 s[40:41], vcc
	s_xor_b64 s[38:39], exec, s[40:41]
	s_cbranch_execz .LBB2_3567
; %bb.3558:                             ;   in Loop: Header=BB2_3018 Depth=4
	v_mov_b32_e32 v57, 0
	v_cmp_ne_u32_e32 vcc, 0, v4
	s_and_saveexec_b64 s[48:49], vcc
	s_cbranch_execz .LBB2_3566
; %bb.3559:                             ;   in Loop: Header=BB2_3018 Depth=4
	v_bfe_u32 v17, v4, 23, 8
	v_cmp_gt_u32_e64 s[40:41], s46, v17
	v_sub_u32_e32 v4, 0x71, v17
	v_cmp_eq_u32_e32 vcc, 0, v17
	v_cndmask_b32_e64 v4, 0, v4, s[40:41]
	v_mov_b32_e32 v39, 0x70
	v_cndmask_b32_e32 v49, v4, v39, vcc
	v_or_b32_e32 v38, 0x800000, v2
	v_add_u32_e32 v4, 21, v49
	v_cndmask_b32_e32 v2, v38, v2, vcc
	v_lshlrev_b64 v[38:39], v4, -1
	v_add_u32_e32 v4, 20, v49
	v_bfi_b32 v38, v38, 0, v2
	v_lshlrev_b64 v[40:41], v4, 1
	v_lshrrev_b64 v[2:3], v49, v[2:3]
	v_bfi_b32 v39, v39, 0, 0
	v_cmp_eq_u64_e64 s[40:41], v[38:39], v[40:41]
	v_mov_b32_e32 v4, v3
	v_mov_b32_e32 v3, v2
	s_and_saveexec_b64 s[50:51], s[40:41]
; %bb.3560:                             ;   in Loop: Header=BB2_3018 Depth=4
	v_bfe_u32 v3, v2, 21, 1
	v_add_co_u32_e64 v3, s[40:41], v2, v3
	v_add_co_u32_e64 v3, s[40:41], -1, v3
; %bb.3561:                             ;   in Loop: Header=BB2_3018 Depth=4
	s_or_b64 exec, exec, s[50:51]
	v_add_u32_e32 v4, 0xffffff81, v17
	v_cndmask_b32_e32 v4, v4, v1, vcc
	v_lshrrev_b32_e32 v17, 23, v2
	v_add3_u32 v49, v49, v4, v17
	v_add_u32_e32 v17, 14, v49
	v_and_b32_e32 v3, 0x1fffff, v3
	v_add_u32_e32 v2, v3, v2
	v_mov_b32_e32 v3, v29
	v_cmp_ne_u32_e32 vcc, 0, v17
                                        ; implicit-def: $vgpr4
	s_and_saveexec_b64 s[40:41], vcc
	s_xor_b64 s[40:41], exec, s[40:41]
; %bb.3562:                             ;   in Loop: Header=BB2_3018 Depth=4
	v_cmp_lt_u64_e32 vcc, s[88:89], v[2:3]
	v_add_u32_e32 v4, 15, v49
	v_cndmask_b32_e32 v4, v17, v4, vcc
	v_cndmask_b32_e64 v17, 0, 1, vcc
	v_lshrrev_b64 v[2:3], v17, v[2:3]
; %bb.3563:                             ;   in Loop: Header=BB2_3018 Depth=4
	s_andn2_saveexec_b64 s[40:41], s[40:41]
; %bb.3564:                             ;   in Loop: Header=BB2_3018 Depth=4
	v_bfe_u32 v4, v2, 23, 1
; %bb.3565:                             ;   in Loop: Header=BB2_3018 Depth=4
	s_or_b64 exec, exec, s[40:41]
	v_lshrrev_b64 v[2:3], 21, v[2:3]
	v_cmp_gt_i32_e32 vcc, 32, v4
	v_cndmask_b32_e32 v3, 0, v3, vcc
	v_cndmask_b32_e32 v2, 3, v2, vcc
	v_cmp_eq_u64_e64 s[40:41], 0, v[2:3]
	v_min_i32_e32 v3, 31, v4
	v_lshlrev_b32_e32 v3, 2, v3
	v_cmp_eq_u32_e32 vcc, 0, v4
	v_and_b32_e32 v3, 0xfc, v3
	v_and_or_b32 v2, v2, 3, v3
	s_and_b64 s[40:41], vcc, s[40:41]
	v_cndmask_b32_e64 v2, v2, 0, s[40:41]
	v_or_b32_e32 v57, v2, v14
.LBB2_3566:                             ;   in Loop: Header=BB2_3018 Depth=4
	s_or_b64 exec, exec, s[48:49]
                                        ; implicit-def: $vgpr14
.LBB2_3567:                             ;   in Loop: Header=BB2_3018 Depth=4
	s_andn2_saveexec_b64 s[40:41], s[38:39]
; %bb.3568:                             ;   in Loop: Header=BB2_3018 Depth=4
	v_or_b32_e32 v57, 0x7b, v14
; %bb.3569:                             ;   in Loop: Header=BB2_3018 Depth=4
	s_or_b64 exec, exec, s[40:41]
                                        ; implicit-def: $vgpr4
                                        ; implicit-def: $vgpr2_vgpr3
.LBB2_3570:                             ;   in Loop: Header=BB2_3018 Depth=4
	s_andn2_saveexec_b64 s[40:41], s[42:43]
	s_cbranch_execz .LBB2_3576
; %bb.3571:                             ;   in Loop: Header=BB2_3018 Depth=4
	v_cmp_ne_u64_e32 vcc, 0, v[2:3]
                                        ; implicit-def: $vgpr57
	s_and_saveexec_b64 s[42:43], vcc
	s_xor_b64 s[42:43], exec, s[42:43]
; %bb.3572:                             ;   in Loop: Header=BB2_3018 Depth=4
	v_or_b32_sdwa v57, v4, s47 dst_sel:DWORD dst_unused:UNUSED_PAD src0_sel:BYTE_3 src1_sel:DWORD
                                        ; implicit-def: $vgpr4
; %bb.3573:                             ;   in Loop: Header=BB2_3018 Depth=4
	s_andn2_saveexec_b64 s[42:43], s[42:43]
; %bb.3574:                             ;   in Loop: Header=BB2_3018 Depth=4
	v_cmp_lt_i32_e32 vcc, -1, v4
	v_cndmask_b32_e32 v57, v6, v22, vcc
; %bb.3575:                             ;   in Loop: Header=BB2_3018 Depth=4
	s_or_b64 exec, exec, s[42:43]
.LBB2_3576:                             ;   in Loop: Header=BB2_3018 Depth=4
	s_or_b64 exec, exec, s[40:41]
	v_cmp_lt_u32_e32 vcc, s57, v28
	v_mov_b32_e32 v3, 0
	s_and_saveexec_b64 s[40:41], vcc
	s_cbranch_execz .LBB2_3584
; %bb.3577:                             ;   in Loop: Header=BB2_3018 Depth=4
	v_lshrrev_b32_e32 v2, 24, v28
	v_cmp_ne_u32_e32 vcc, s96, v2
	v_bfrev_b32_e32 v3, 1
	s_and_saveexec_b64 s[42:43], vcc
	s_cbranch_execz .LBB2_3583
; %bb.3578:                             ;   in Loop: Header=BB2_3018 Depth=4
	v_and_b32_e32 v3, 0x7c000000, v28
	v_bfe_u32 v4, v28, 24, 2
	v_cmp_ne_u32_e32 vcc, s45, v3
                                        ; implicit-def: $vgpr3
	s_and_saveexec_b64 s[38:39], vcc
	s_xor_b64 s[38:39], exec, s[38:39]
	s_cbranch_execz .LBB2_3580
; %bb.3579:                             ;   in Loop: Header=BB2_3018 Depth=4
	v_ffbh_u32_e32 v3, v4
	v_min_u32_e32 v17, 32, v3
	v_subrev_u32_e32 v3, 29, v17
	v_lshlrev_b64 v[2:3], v3, v[2:3]
	v_bfe_u32 v14, v28, 26, 5
	v_sub_u32_e32 v3, 30, v17
	v_and_b32_e32 v2, 3, v2
	v_cmp_eq_u32_e32 vcc, 0, v14
	v_cndmask_b32_e32 v3, v14, v3, vcc
	v_cndmask_b32_e32 v2, v4, v2, vcc
	v_and_b32_e32 v4, 0x80000000, v28
	v_lshl_add_u32 v3, v3, 23, v4
	v_lshl_or_b32 v2, v2, 21, v3
	v_add_u32_e32 v3, 0x38000000, v2
                                        ; implicit-def: $vgpr4
.LBB2_3580:                             ;   in Loop: Header=BB2_3018 Depth=4
	s_andn2_saveexec_b64 s[38:39], s[38:39]
; %bb.3581:                             ;   in Loop: Header=BB2_3018 Depth=4
	v_cmp_lt_i32_e32 vcc, -1, v28
	v_cndmask_b32_e32 v2, v7, v0, vcc
	v_cmp_eq_u32_e32 vcc, 0, v4
	v_cndmask_b32_e32 v3, v35, v2, vcc
; %bb.3582:                             ;   in Loop: Header=BB2_3018 Depth=4
	s_or_b64 exec, exec, s[38:39]
.LBB2_3583:                             ;   in Loop: Header=BB2_3018 Depth=4
	s_or_b64 exec, exec, s[42:43]
.LBB2_3584:                             ;   in Loop: Header=BB2_3018 Depth=4
	s_or_b64 exec, exec, s[40:41]
	v_bfe_u32 v4, v8, 24, 2
	v_and_b32_e32 v17, 0x7c000000, v8
	v_cmp_eq_u32_e32 vcc, s45, v17
	v_ffbh_u32_e32 v17, v4
	v_min_u32_e32 v17, 32, v17
	v_lshrrev_b32_e32 v2, 24, v8
	v_subrev_u32_e32 v28, 29, v17
	v_lshlrev_b64 v[38:39], v28, v[2:3]
	v_bfe_u32 v14, v8, 26, 5
	v_cmp_eq_u32_e64 s[40:41], 0, v14
	v_sub_u32_e32 v17, 30, v17
	v_and_b32_e32 v28, 3, v38
	v_cndmask_b32_e64 v14, v14, v17, s[40:41]
	v_cndmask_b32_e64 v17, v4, v28, s[40:41]
	v_and_b32_e32 v28, 0x80000000, v8
	v_lshl_add_u32 v14, v14, 23, v28
	v_cmp_lt_i32_e64 s[42:43], -1, v8
	v_lshl_or_b32 v14, v17, 21, v14
	v_cmp_eq_u32_e64 s[40:41], 0, v4
	v_cndmask_b32_e64 v4, v7, v0, s[42:43]
	v_add_u32_e32 v14, 0x38000000, v14
	v_cndmask_b32_e64 v4, v35, v4, s[40:41]
	v_cndmask_b32_e32 v4, v14, v4, vcc
	v_cmp_ne_u32_e32 vcc, s96, v2
	v_bfrev_b32_e32 v2, 1
	v_cndmask_b32_e32 v2, v2, v4, vcc
	v_cmp_lt_u32_e32 vcc, s57, v8
	v_cndmask_b32_e32 v2, 0, v2, vcc
	v_add_f32_e32 v2, v2, v3
	v_and_b32_e32 v3, 0x7f800000, v2
	v_mov_b32_e32 v4, v29
	v_cmp_ne_u64_e32 vcc, s[76:77], v[3:4]
	v_and_b32_e32 v28, 0x7fffff, v2
                                        ; implicit-def: $vgpr17
	s_and_saveexec_b64 s[40:41], vcc
	s_xor_b64 s[42:43], exec, s[40:41]
	s_cbranch_execz .LBB2_3598
; %bb.3585:                             ;   in Loop: Header=BB2_3018 Depth=4
	v_and_b32_e32 v3, 0x7fffffff, v2
	v_mov_b32_e32 v4, v29
	v_cmp_gt_u64_e32 vcc, s[78:79], v[3:4]
	v_and_b32_sdwa v14, v2, s96 dst_sel:DWORD dst_unused:UNUSED_PAD src0_sel:BYTE_3 src1_sel:DWORD
                                        ; implicit-def: $vgpr17
	s_and_saveexec_b64 s[40:41], vcc
	s_xor_b64 s[38:39], exec, s[40:41]
	s_cbranch_execz .LBB2_3595
; %bb.3586:                             ;   in Loop: Header=BB2_3018 Depth=4
	v_mov_b32_e32 v17, 0
	v_cmp_ne_u32_e32 vcc, 0, v2
	s_and_saveexec_b64 s[48:49], vcc
	s_cbranch_execz .LBB2_3594
; %bb.3587:                             ;   in Loop: Header=BB2_3018 Depth=4
	v_bfe_u32 v17, v2, 23, 8
	v_cmp_gt_u32_e64 s[40:41], s46, v17
	v_sub_u32_e32 v2, 0x71, v17
	v_cmp_eq_u32_e32 vcc, 0, v17
	v_cndmask_b32_e64 v2, 0, v2, s[40:41]
	v_mov_b32_e32 v4, 0x70
	v_cndmask_b32_e32 v49, v2, v4, vcc
	v_or_b32_e32 v3, 0x800000, v28
	v_add_u32_e32 v2, 21, v49
	v_cndmask_b32_e32 v28, v3, v28, vcc
	v_lshlrev_b64 v[2:3], v2, -1
	v_add_u32_e32 v4, 20, v49
	v_lshlrev_b64 v[38:39], v4, 1
	v_bfi_b32 v3, v3, 0, 0
	v_bfi_b32 v2, v2, 0, v28
	v_cmp_eq_u64_e64 s[40:41], v[2:3], v[38:39]
	v_lshrrev_b64 v[2:3], v49, v[28:29]
	v_mov_b32_e32 v4, v3
	v_mov_b32_e32 v3, v2
	s_and_saveexec_b64 s[50:51], s[40:41]
; %bb.3588:                             ;   in Loop: Header=BB2_3018 Depth=4
	v_bfe_u32 v3, v2, 21, 1
	v_add_co_u32_e64 v3, s[40:41], v2, v3
	v_add_co_u32_e64 v3, s[40:41], -1, v3
; %bb.3589:                             ;   in Loop: Header=BB2_3018 Depth=4
	s_or_b64 exec, exec, s[50:51]
	v_add_u32_e32 v4, 0xffffff81, v17
	v_cndmask_b32_e32 v4, v4, v1, vcc
	v_lshrrev_b32_e32 v17, 23, v2
	v_add3_u32 v49, v49, v4, v17
	v_add_u32_e32 v17, 14, v49
	v_and_b32_e32 v3, 0x1fffff, v3
	v_add_u32_e32 v28, v3, v2
	v_cmp_ne_u32_e32 vcc, 0, v17
                                        ; implicit-def: $vgpr2_vgpr3
                                        ; implicit-def: $vgpr4
	s_and_saveexec_b64 s[40:41], vcc
	s_xor_b64 s[40:41], exec, s[40:41]
; %bb.3590:                             ;   in Loop: Header=BB2_3018 Depth=4
	v_cmp_lt_u64_e32 vcc, s[88:89], v[28:29]
	v_add_u32_e32 v2, 15, v49
	v_cndmask_b32_e32 v4, v17, v2, vcc
	v_cndmask_b32_e64 v2, 0, 1, vcc
	v_lshrrev_b64 v[2:3], v2, v[28:29]
; %bb.3591:                             ;   in Loop: Header=BB2_3018 Depth=4
	s_andn2_saveexec_b64 s[40:41], s[40:41]
; %bb.3592:                             ;   in Loop: Header=BB2_3018 Depth=4
	v_mov_b32_e32 v2, v28
	v_bfe_u32 v4, v28, 23, 1
	v_mov_b32_e32 v3, v29
; %bb.3593:                             ;   in Loop: Header=BB2_3018 Depth=4
	s_or_b64 exec, exec, s[40:41]
	v_lshrrev_b64 v[2:3], 21, v[2:3]
	v_cmp_gt_i32_e32 vcc, 32, v4
	v_cndmask_b32_e32 v3, 0, v3, vcc
	v_cndmask_b32_e32 v2, 3, v2, vcc
	v_cmp_eq_u64_e64 s[40:41], 0, v[2:3]
	v_min_i32_e32 v3, 31, v4
	v_lshlrev_b32_e32 v3, 2, v3
	v_cmp_eq_u32_e32 vcc, 0, v4
	v_and_b32_e32 v3, 0xfc, v3
	v_and_or_b32 v2, v2, 3, v3
	s_and_b64 s[40:41], vcc, s[40:41]
	v_cndmask_b32_e64 v2, v2, 0, s[40:41]
	v_or_b32_e32 v17, v2, v14
.LBB2_3594:                             ;   in Loop: Header=BB2_3018 Depth=4
	s_or_b64 exec, exec, s[48:49]
                                        ; implicit-def: $vgpr14
.LBB2_3595:                             ;   in Loop: Header=BB2_3018 Depth=4
	s_andn2_saveexec_b64 s[40:41], s[38:39]
; %bb.3596:                             ;   in Loop: Header=BB2_3018 Depth=4
	v_or_b32_e32 v17, 0x7b, v14
; %bb.3597:                             ;   in Loop: Header=BB2_3018 Depth=4
	s_or_b64 exec, exec, s[40:41]
                                        ; implicit-def: $vgpr2
.LBB2_3598:                             ;   in Loop: Header=BB2_3018 Depth=4
	s_andn2_saveexec_b64 s[40:41], s[42:43]
	s_cbranch_execz .LBB2_3604
; %bb.3599:                             ;   in Loop: Header=BB2_3018 Depth=4
	v_cmp_ne_u64_e32 vcc, 0, v[28:29]
                                        ; implicit-def: $vgpr17
	s_and_saveexec_b64 s[42:43], vcc
	s_xor_b64 s[42:43], exec, s[42:43]
; %bb.3600:                             ;   in Loop: Header=BB2_3018 Depth=4
	v_or_b32_sdwa v17, v2, s47 dst_sel:DWORD dst_unused:UNUSED_PAD src0_sel:BYTE_3 src1_sel:DWORD
                                        ; implicit-def: $vgpr2
; %bb.3601:                             ;   in Loop: Header=BB2_3018 Depth=4
	s_andn2_saveexec_b64 s[42:43], s[42:43]
; %bb.3602:                             ;   in Loop: Header=BB2_3018 Depth=4
	v_cmp_lt_i32_e32 vcc, -1, v2
	v_cndmask_b32_e32 v17, v6, v22, vcc
; %bb.3603:                             ;   in Loop: Header=BB2_3018 Depth=4
	s_or_b64 exec, exec, s[42:43]
.LBB2_3604:                             ;   in Loop: Header=BB2_3018 Depth=4
	s_or_b64 exec, exec, s[40:41]
	v_lshl_or_b32 v49, v15, 8, v5
	v_lshlrev_b32_e32 v2, 16, v30
	v_lshlrev_b32_e32 v3, 24, v56
	v_or3_b32 v28, v2, v3, v49
	v_cmp_ne_u32_e32 vcc, 0, v5
	v_mov_b32_e32 v2, 0
	s_and_saveexec_b64 s[42:43], vcc
	s_cbranch_execz .LBB2_3612
; %bb.3605:                             ;   in Loop: Header=BB2_3018 Depth=4
	v_cmp_ne_u32_e32 vcc, s96, v5
	v_bfrev_b32_e32 v2, 1
	s_and_saveexec_b64 s[38:39], vcc
	s_cbranch_execz .LBB2_3611
; %bb.3606:                             ;   in Loop: Header=BB2_3018 Depth=4
	v_and_b32_e32 v2, 0x7c, v5
	v_and_b32_e32 v3, 3, v5
	v_cmp_ne_u32_e32 vcc, s85, v2
                                        ; implicit-def: $vgpr2
	s_and_saveexec_b64 s[40:41], vcc
	s_xor_b64 s[40:41], exec, s[40:41]
	s_cbranch_execz .LBB2_3608
; %bb.3607:                             ;   in Loop: Header=BB2_3018 Depth=4
	v_ffbh_u32_e32 v4, v3
	v_min_u32_e32 v4, 32, v4
	v_bfe_u32 v2, v5, 2, 5
	v_subrev_u32_e32 v14, 29, v4
	v_lshlrev_b64 v[14:15], v14, v[28:29]
	v_sub_u32_e32 v4, 30, v4
	v_cmp_eq_u32_e32 vcc, 0, v2
	v_cndmask_b32_e32 v2, v2, v4, vcc
	v_lshlrev_b32_e32 v4, 24, v5
	v_and_b32_e32 v14, 3, v14
	v_and_b32_e32 v4, 0x80000000, v4
	v_cndmask_b32_e32 v3, v3, v14, vcc
	v_lshl_add_u32 v2, v2, 23, v4
	v_lshl_or_b32 v2, v3, 21, v2
	v_add_u32_e32 v2, 0x38000000, v2
                                        ; implicit-def: $vgpr3
                                        ; implicit-def: $vgpr5
.LBB2_3608:                             ;   in Loop: Header=BB2_3018 Depth=4
	s_andn2_saveexec_b64 s[48:49], s[40:41]
; %bb.3609:                             ;   in Loop: Header=BB2_3018 Depth=4
	v_and_b32_e32 v2, 0x80, v5
	v_cmp_eq_u32_e64 s[40:41], 0, v2
	v_cmp_eq_u32_e32 vcc, 0, v3
	v_cndmask_b32_e64 v2, v7, v0, s[40:41]
	v_cndmask_b32_e32 v2, v35, v2, vcc
; %bb.3610:                             ;   in Loop: Header=BB2_3018 Depth=4
	s_or_b64 exec, exec, s[48:49]
.LBB2_3611:                             ;   in Loop: Header=BB2_3018 Depth=4
	s_or_b64 exec, exec, s[38:39]
.LBB2_3612:                             ;   in Loop: Header=BB2_3018 Depth=4
	s_or_b64 exec, exec, s[42:43]
	v_cmp_gt_i16_sdwa s[42:43], v9, s47 src0_sel:BYTE_0 src1_sel:DWORD
	s_mov_b64 s[40:41], 0
	s_and_saveexec_b64 vcc, s[42:43]
	s_xor_b64 s[42:43], exec, vcc
	s_cbranch_execz .LBB2_3616
; %bb.3613:                             ;   in Loop: Header=BB2_3018 Depth=4
	v_cmp_eq_u16_sdwa s[38:39], v9, s96 src0_sel:BYTE_0 src1_sel:DWORD
	s_mov_b64 s[40:41], -1
	s_and_saveexec_b64 vcc, s[38:39]
; %bb.3614:                             ;   in Loop: Header=BB2_3018 Depth=4
	s_xor_b64 s[40:41], exec, -1
; %bb.3615:                             ;   in Loop: Header=BB2_3018 Depth=4
	s_or_b64 exec, exec, vcc
	s_and_b64 s[40:41], s[40:41], exec
.LBB2_3616:                             ;   in Loop: Header=BB2_3018 Depth=4
	s_or_saveexec_b64 s[42:43], s[42:43]
	v_bfrev_b32_e32 v3, 1
	s_xor_b64 exec, exec, s[42:43]
; %bb.3617:                             ;   in Loop: Header=BB2_3018 Depth=4
	v_cmp_ne_u16_sdwa vcc, v9, v29 src0_sel:BYTE_0 src1_sel:DWORD
	s_andn2_b64 s[40:41], s[40:41], exec
	s_and_b64 vcc, vcc, exec
	v_mov_b32_e32 v3, 0
	s_or_b64 s[40:41], s[40:41], vcc
; %bb.3618:                             ;   in Loop: Header=BB2_3018 Depth=4
	s_or_b64 exec, exec, s[42:43]
	v_mov_b32_e32 v4, v9
	v_mov_b32_e32 v5, v29
	s_and_saveexec_b64 s[38:39], s[40:41]
	s_cbranch_execz .LBB2_3620
; %bb.3619:                             ;   in Loop: Header=BB2_3018 Depth=4
	v_and_b32_e32 v3, 3, v9
	v_and_b32_e32 v14, 0x7c, v9
	v_cmp_eq_u32_e32 vcc, s85, v14
	v_ffbh_u32_e32 v14, v3
	v_min_u32_e32 v38, 32, v14
	v_subrev_u32_e32 v14, 29, v38
	v_bfe_u32 v30, v9, 2, 5
	v_lshlrev_b64 v[14:15], v14, v[4:5]
	v_cmp_eq_u32_e64 s[40:41], 0, v30
	v_sub_u32_e32 v5, 30, v38
	v_lshlrev_b32_e32 v15, 24, v9
	v_and_b32_e32 v14, 3, v14
	v_cndmask_b32_e64 v5, v30, v5, s[40:41]
	v_and_b32_e32 v15, 0x80000000, v15
	v_cndmask_b32_e64 v14, v3, v14, s[40:41]
	v_lshl_add_u32 v5, v5, 23, v15
	v_cmp_gt_i16_sdwa s[42:43], sext(v9), v48 src0_sel:BYTE_0 src1_sel:DWORD
	v_lshl_or_b32 v5, v14, 21, v5
	v_cmp_eq_u32_e64 s[40:41], 0, v3
	v_cndmask_b32_e64 v3, v7, v0, s[42:43]
	v_add_u32_e32 v5, 0x38000000, v5
	v_cndmask_b32_e64 v3, v35, v3, s[40:41]
	v_cndmask_b32_e32 v3, v5, v3, vcc
.LBB2_3620:                             ;   in Loop: Header=BB2_3018 Depth=4
	s_or_b64 exec, exec, s[38:39]
	v_add_f32_e32 v15, v2, v3
	v_and_b32_e32 v38, 0x7f800000, v15
	v_mov_b32_e32 v39, v29
	v_cmp_ne_u64_e32 vcc, s[76:77], v[38:39]
	v_and_b32_e32 v2, 0x7fffff, v15
	v_mov_b32_e32 v3, v29
                                        ; implicit-def: $vgpr14
	s_and_saveexec_b64 s[40:41], vcc
	s_xor_b64 s[42:43], exec, s[40:41]
	s_cbranch_execz .LBB2_3634
; %bb.3621:                             ;   in Loop: Header=BB2_3018 Depth=4
	v_and_b32_e32 v38, 0x7fffffff, v15
	v_mov_b32_e32 v39, v29
	v_cmp_gt_u64_e32 vcc, s[78:79], v[38:39]
	v_and_b32_sdwa v5, v15, s96 dst_sel:DWORD dst_unused:UNUSED_PAD src0_sel:BYTE_3 src1_sel:DWORD
                                        ; implicit-def: $vgpr14
	s_and_saveexec_b64 s[40:41], vcc
	s_xor_b64 s[38:39], exec, s[40:41]
	s_cbranch_execz .LBB2_3631
; %bb.3622:                             ;   in Loop: Header=BB2_3018 Depth=4
	v_mov_b32_e32 v14, 0
	v_cmp_ne_u32_e32 vcc, 0, v15
	s_and_saveexec_b64 s[48:49], vcc
	s_cbranch_execz .LBB2_3630
; %bb.3623:                             ;   in Loop: Header=BB2_3018 Depth=4
	v_bfe_u32 v30, v15, 23, 8
	v_cmp_gt_u32_e64 s[40:41], s46, v30
	v_sub_u32_e32 v14, 0x71, v30
	v_cmp_eq_u32_e32 vcc, 0, v30
	v_cndmask_b32_e64 v14, 0, v14, s[40:41]
	v_mov_b32_e32 v38, 0x70
	v_cndmask_b32_e32 v56, v14, v38, vcc
	v_or_b32_e32 v15, 0x800000, v2
	v_add_u32_e32 v14, 21, v56
	v_cndmask_b32_e32 v2, v15, v2, vcc
	v_lshlrev_b64 v[14:15], v14, -1
	v_add_u32_e32 v38, 20, v56
	v_bfi_b32 v14, v14, 0, v2
	v_lshlrev_b64 v[38:39], v38, 1
	v_lshrrev_b64 v[2:3], v56, v[2:3]
	v_bfi_b32 v15, v15, 0, 0
	v_cmp_eq_u64_e64 s[40:41], v[14:15], v[38:39]
	v_mov_b32_e32 v15, v3
	v_mov_b32_e32 v14, v2
	s_and_saveexec_b64 s[50:51], s[40:41]
; %bb.3624:                             ;   in Loop: Header=BB2_3018 Depth=4
	v_bfe_u32 v3, v2, 21, 1
	v_add_co_u32_e64 v3, s[40:41], v2, v3
	v_add_co_u32_e64 v14, s[40:41], -1, v3
; %bb.3625:                             ;   in Loop: Header=BB2_3018 Depth=4
	s_or_b64 exec, exec, s[50:51]
	v_add_u32_e32 v3, 0xffffff81, v30
	v_cndmask_b32_e32 v3, v3, v1, vcc
	v_lshrrev_b32_e32 v15, 23, v2
	v_add3_u32 v30, v56, v3, v15
	v_add_u32_e32 v15, 14, v30
	v_and_b32_e32 v3, 0x1fffff, v14
	v_add_u32_e32 v2, v3, v2
	v_mov_b32_e32 v3, v29
	v_cmp_ne_u32_e32 vcc, 0, v15
                                        ; implicit-def: $vgpr14
	s_and_saveexec_b64 s[40:41], vcc
	s_xor_b64 s[40:41], exec, s[40:41]
; %bb.3626:                             ;   in Loop: Header=BB2_3018 Depth=4
	v_cmp_lt_u64_e32 vcc, s[88:89], v[2:3]
	v_add_u32_e32 v14, 15, v30
	v_cndmask_b32_e32 v14, v15, v14, vcc
	v_cndmask_b32_e64 v15, 0, 1, vcc
	v_lshrrev_b64 v[2:3], v15, v[2:3]
; %bb.3627:                             ;   in Loop: Header=BB2_3018 Depth=4
	s_andn2_saveexec_b64 s[40:41], s[40:41]
; %bb.3628:                             ;   in Loop: Header=BB2_3018 Depth=4
	v_bfe_u32 v14, v2, 23, 1
; %bb.3629:                             ;   in Loop: Header=BB2_3018 Depth=4
	s_or_b64 exec, exec, s[40:41]
	v_lshrrev_b64 v[2:3], 21, v[2:3]
	v_cmp_gt_i32_e32 vcc, 32, v14
	v_cndmask_b32_e32 v3, 0, v3, vcc
	v_cndmask_b32_e32 v2, 3, v2, vcc
	v_cmp_eq_u64_e64 s[40:41], 0, v[2:3]
	v_min_i32_e32 v3, 31, v14
	v_lshlrev_b32_e32 v3, 2, v3
	v_cmp_eq_u32_e32 vcc, 0, v14
	v_and_b32_e32 v3, 0xfc, v3
	v_and_or_b32 v2, v2, 3, v3
	s_and_b64 s[40:41], vcc, s[40:41]
	v_cndmask_b32_e64 v2, v2, 0, s[40:41]
	v_or_b32_e32 v14, v2, v5
.LBB2_3630:                             ;   in Loop: Header=BB2_3018 Depth=4
	s_or_b64 exec, exec, s[48:49]
                                        ; implicit-def: $vgpr5
.LBB2_3631:                             ;   in Loop: Header=BB2_3018 Depth=4
	s_andn2_saveexec_b64 s[40:41], s[38:39]
; %bb.3632:                             ;   in Loop: Header=BB2_3018 Depth=4
	v_or_b32_e32 v14, 0x7b, v5
; %bb.3633:                             ;   in Loop: Header=BB2_3018 Depth=4
	s_or_b64 exec, exec, s[40:41]
                                        ; implicit-def: $vgpr15
                                        ; implicit-def: $vgpr2_vgpr3
.LBB2_3634:                             ;   in Loop: Header=BB2_3018 Depth=4
	s_andn2_saveexec_b64 s[40:41], s[42:43]
	s_cbranch_execz .LBB2_3640
; %bb.3635:                             ;   in Loop: Header=BB2_3018 Depth=4
	v_cmp_ne_u64_e32 vcc, 0, v[2:3]
                                        ; implicit-def: $vgpr14
	s_and_saveexec_b64 s[42:43], vcc
	s_xor_b64 s[42:43], exec, s[42:43]
; %bb.3636:                             ;   in Loop: Header=BB2_3018 Depth=4
	v_or_b32_sdwa v14, v15, s47 dst_sel:DWORD dst_unused:UNUSED_PAD src0_sel:BYTE_3 src1_sel:DWORD
                                        ; implicit-def: $vgpr15
; %bb.3637:                             ;   in Loop: Header=BB2_3018 Depth=4
	s_andn2_saveexec_b64 s[42:43], s[42:43]
; %bb.3638:                             ;   in Loop: Header=BB2_3018 Depth=4
	v_cmp_lt_i32_e32 vcc, -1, v15
	v_cndmask_b32_e32 v14, v6, v22, vcc
; %bb.3639:                             ;   in Loop: Header=BB2_3018 Depth=4
	s_or_b64 exec, exec, s[42:43]
.LBB2_3640:                             ;   in Loop: Header=BB2_3018 Depth=4
	s_or_b64 exec, exec, s[40:41]
	v_lshrrev_b16_e32 v2, 8, v49
	v_cmp_ne_u16_e32 vcc, 0, v2
	v_mov_b32_e32 v5, 0
	s_and_saveexec_b64 s[40:41], vcc
	s_cbranch_execz .LBB2_3648
; %bb.3641:                             ;   in Loop: Header=BB2_3018 Depth=4
	v_cmp_ne_u16_e32 vcc, s96, v2
	v_bfrev_b32_e32 v5, 1
	s_and_saveexec_b64 s[42:43], vcc
	s_cbranch_execz .LBB2_3647
; %bb.3642:                             ;   in Loop: Header=BB2_3018 Depth=4
	v_and_b32_e32 v3, 0x7c, v2
	v_and_b32_e32 v15, 3, v2
	v_cmp_ne_u32_e32 vcc, s85, v3
                                        ; implicit-def: $vgpr5
	s_and_saveexec_b64 s[38:39], vcc
	s_xor_b64 s[38:39], exec, s[38:39]
	s_cbranch_execz .LBB2_3644
; %bb.3643:                             ;   in Loop: Header=BB2_3018 Depth=4
	v_ffbh_u32_e32 v30, v15
	v_min_u32_e32 v30, 32, v30
	v_mov_b32_e32 v3, v29
	v_subrev_u32_e32 v38, 29, v30
	v_bfe_u32 v5, v2, 2, 5
	v_lshlrev_b64 v[2:3], v38, v[2:3]
	v_sub_u32_e32 v3, 30, v30
	v_cmp_eq_u32_e32 vcc, 0, v5
	v_cndmask_b32_e32 v3, v5, v3, vcc
	v_lshlrev_b32_e32 v5, 16, v49
	v_and_b32_e32 v2, 3, v2
	v_and_b32_e32 v5, 0x80000000, v5
	v_cndmask_b32_e32 v2, v15, v2, vcc
	v_lshl_add_u32 v3, v3, 23, v5
	v_lshl_or_b32 v2, v2, 21, v3
	v_add_u32_e32 v5, 0x38000000, v2
                                        ; implicit-def: $vgpr15
                                        ; implicit-def: $vgpr49
.LBB2_3644:                             ;   in Loop: Header=BB2_3018 Depth=4
	s_andn2_saveexec_b64 s[38:39], s[38:39]
; %bb.3645:                             ;   in Loop: Header=BB2_3018 Depth=4
	v_cmp_lt_i16_e32 vcc, -1, v49
	v_cndmask_b32_e32 v2, v7, v0, vcc
	v_cmp_eq_u32_e32 vcc, 0, v15
	v_cndmask_b32_e32 v5, v35, v2, vcc
; %bb.3646:                             ;   in Loop: Header=BB2_3018 Depth=4
	s_or_b64 exec, exec, s[38:39]
.LBB2_3647:                             ;   in Loop: Header=BB2_3018 Depth=4
	s_or_b64 exec, exec, s[42:43]
.LBB2_3648:                             ;   in Loop: Header=BB2_3018 Depth=4
	s_or_b64 exec, exec, s[40:41]
	v_lshrrev_b16_e32 v2, 8, v4
	v_cmp_lt_i16_e32 vcc, s47, v2
	s_mov_b64 s[40:41], 0
	s_and_saveexec_b64 s[42:43], vcc
	s_xor_b64 s[42:43], exec, s[42:43]
	s_cbranch_execz .LBB2_4003
; %bb.3649:                             ;   in Loop: Header=BB2_3018 Depth=4
	v_cmp_eq_u16_e32 vcc, s96, v2
	s_mov_b64 s[40:41], -1
	s_and_saveexec_b64 s[38:39], vcc
; %bb.3650:                             ;   in Loop: Header=BB2_3018 Depth=4
	s_xor_b64 s[40:41], exec, -1
; %bb.3651:                             ;   in Loop: Header=BB2_3018 Depth=4
	s_or_b64 exec, exec, s[38:39]
	s_and_b64 s[40:41], s[40:41], exec
	s_or_saveexec_b64 s[42:43], s[42:43]
	v_bfrev_b32_e32 v3, 1
	s_xor_b64 exec, exec, s[42:43]
	s_cbranch_execnz .LBB2_4004
.LBB2_3652:                             ;   in Loop: Header=BB2_3018 Depth=4
	s_or_b64 exec, exec, s[42:43]
	s_and_saveexec_b64 s[38:39], s[40:41]
	s_cbranch_execz .LBB2_3654
.LBB2_3653:                             ;   in Loop: Header=BB2_3018 Depth=4
	v_and_b32_e32 v15, 3, v2
	v_and_b32_e32 v38, 0x7c, v2
	v_cmp_eq_u32_e32 vcc, s85, v38
	v_ffbh_u32_e32 v38, v15
	v_min_u32_e32 v49, 32, v38
	v_mov_b32_e32 v3, v29
	v_subrev_u32_e32 v38, 29, v49
	v_bfe_u32 v30, v2, 2, 5
	v_lshlrev_b64 v[38:39], v38, v[2:3]
	v_cmp_eq_u32_e64 s[40:41], 0, v30
	v_sub_u32_e32 v3, 30, v49
	v_lshlrev_b32_e32 v2, 24, v2
	v_and_b32_e32 v38, 3, v38
	v_cndmask_b32_e64 v3, v30, v3, s[40:41]
	v_and_b32_e32 v2, 0x80000000, v2
	v_cndmask_b32_e64 v30, v15, v38, s[40:41]
	v_lshl_add_u32 v2, v3, 23, v2
	v_cmp_lt_i16_e64 s[42:43], -1, v4
	v_lshl_or_b32 v2, v30, 21, v2
	v_cmp_eq_u32_e64 s[40:41], 0, v15
	v_cndmask_b32_e64 v3, v7, v0, s[42:43]
	v_add_u32_e32 v2, 0x38000000, v2
	v_cndmask_b32_e64 v3, v35, v3, s[40:41]
	v_cndmask_b32_e32 v3, v2, v3, vcc
.LBB2_3654:                             ;   in Loop: Header=BB2_3018 Depth=4
	s_or_b64 exec, exec, s[38:39]
	v_add_f32_e32 v4, v5, v3
	v_and_b32_e32 v38, 0x7f800000, v4
	v_mov_b32_e32 v39, v29
	v_cmp_ne_u64_e32 vcc, s[76:77], v[38:39]
	v_and_b32_e32 v2, 0x7fffff, v4
	v_mov_b32_e32 v3, v29
                                        ; implicit-def: $vgpr15
	s_and_saveexec_b64 s[40:41], vcc
	s_xor_b64 s[42:43], exec, s[40:41]
	s_cbranch_execz .LBB2_3668
; %bb.3655:                             ;   in Loop: Header=BB2_3018 Depth=4
	v_and_b32_e32 v38, 0x7fffffff, v4
	v_mov_b32_e32 v39, v29
	v_cmp_gt_u64_e32 vcc, s[78:79], v[38:39]
	v_and_b32_sdwa v5, v4, s96 dst_sel:DWORD dst_unused:UNUSED_PAD src0_sel:BYTE_3 src1_sel:DWORD
                                        ; implicit-def: $vgpr15
	s_and_saveexec_b64 s[40:41], vcc
	s_xor_b64 s[38:39], exec, s[40:41]
	s_cbranch_execz .LBB2_3665
; %bb.3656:                             ;   in Loop: Header=BB2_3018 Depth=4
	v_mov_b32_e32 v15, 0
	v_cmp_ne_u32_e32 vcc, 0, v4
	s_and_saveexec_b64 s[48:49], vcc
	s_cbranch_execz .LBB2_3664
; %bb.3657:                             ;   in Loop: Header=BB2_3018 Depth=4
	v_bfe_u32 v15, v4, 23, 8
	v_cmp_gt_u32_e64 s[40:41], s46, v15
	v_sub_u32_e32 v4, 0x71, v15
	v_cmp_eq_u32_e32 vcc, 0, v15
	v_cndmask_b32_e64 v4, 0, v4, s[40:41]
	v_mov_b32_e32 v30, 0x70
	v_cndmask_b32_e32 v30, v4, v30, vcc
	v_or_b32_e32 v38, 0x800000, v2
	v_add_u32_e32 v4, 21, v30
	v_cndmask_b32_e32 v2, v38, v2, vcc
	v_lshlrev_b64 v[38:39], v4, -1
	v_add_u32_e32 v4, 20, v30
	v_bfi_b32 v38, v38, 0, v2
	v_lshlrev_b64 v[40:41], v4, 1
	v_lshrrev_b64 v[2:3], v30, v[2:3]
	v_bfi_b32 v39, v39, 0, 0
	v_cmp_eq_u64_e64 s[40:41], v[38:39], v[40:41]
	v_mov_b32_e32 v4, v3
	v_mov_b32_e32 v3, v2
	s_and_saveexec_b64 s[50:51], s[40:41]
; %bb.3658:                             ;   in Loop: Header=BB2_3018 Depth=4
	v_bfe_u32 v3, v2, 21, 1
	v_add_co_u32_e64 v3, s[40:41], v2, v3
	v_add_co_u32_e64 v3, s[40:41], -1, v3
; %bb.3659:                             ;   in Loop: Header=BB2_3018 Depth=4
	s_or_b64 exec, exec, s[50:51]
	v_add_u32_e32 v4, 0xffffff81, v15
	v_cndmask_b32_e32 v4, v4, v1, vcc
	v_lshrrev_b32_e32 v15, 23, v2
	v_add3_u32 v30, v30, v4, v15
	v_add_u32_e32 v15, 14, v30
	v_and_b32_e32 v3, 0x1fffff, v3
	v_add_u32_e32 v2, v3, v2
	v_mov_b32_e32 v3, v29
	v_cmp_ne_u32_e32 vcc, 0, v15
                                        ; implicit-def: $vgpr4
	s_and_saveexec_b64 s[40:41], vcc
	s_xor_b64 s[40:41], exec, s[40:41]
; %bb.3660:                             ;   in Loop: Header=BB2_3018 Depth=4
	v_cmp_lt_u64_e32 vcc, s[88:89], v[2:3]
	v_add_u32_e32 v4, 15, v30
	v_cndmask_b32_e32 v4, v15, v4, vcc
	v_cndmask_b32_e64 v15, 0, 1, vcc
	v_lshrrev_b64 v[2:3], v15, v[2:3]
; %bb.3661:                             ;   in Loop: Header=BB2_3018 Depth=4
	s_andn2_saveexec_b64 s[40:41], s[40:41]
; %bb.3662:                             ;   in Loop: Header=BB2_3018 Depth=4
	v_bfe_u32 v4, v2, 23, 1
; %bb.3663:                             ;   in Loop: Header=BB2_3018 Depth=4
	s_or_b64 exec, exec, s[40:41]
	v_lshrrev_b64 v[2:3], 21, v[2:3]
	v_cmp_gt_i32_e32 vcc, 32, v4
	v_cndmask_b32_e32 v3, 0, v3, vcc
	v_cndmask_b32_e32 v2, 3, v2, vcc
	v_cmp_eq_u64_e64 s[40:41], 0, v[2:3]
	v_min_i32_e32 v3, 31, v4
	v_lshlrev_b32_e32 v3, 2, v3
	v_cmp_eq_u32_e32 vcc, 0, v4
	v_and_b32_e32 v3, 0xfc, v3
	v_and_or_b32 v2, v2, 3, v3
	s_and_b64 s[40:41], vcc, s[40:41]
	v_cndmask_b32_e64 v2, v2, 0, s[40:41]
	v_or_b32_e32 v15, v2, v5
.LBB2_3664:                             ;   in Loop: Header=BB2_3018 Depth=4
	s_or_b64 exec, exec, s[48:49]
                                        ; implicit-def: $vgpr5
.LBB2_3665:                             ;   in Loop: Header=BB2_3018 Depth=4
	s_andn2_saveexec_b64 s[40:41], s[38:39]
; %bb.3666:                             ;   in Loop: Header=BB2_3018 Depth=4
	v_or_b32_e32 v15, 0x7b, v5
; %bb.3667:                             ;   in Loop: Header=BB2_3018 Depth=4
	s_or_b64 exec, exec, s[40:41]
                                        ; implicit-def: $vgpr4
                                        ; implicit-def: $vgpr2_vgpr3
.LBB2_3668:                             ;   in Loop: Header=BB2_3018 Depth=4
	s_andn2_saveexec_b64 s[40:41], s[42:43]
	s_cbranch_execz .LBB2_3674
; %bb.3669:                             ;   in Loop: Header=BB2_3018 Depth=4
	v_cmp_ne_u64_e32 vcc, 0, v[2:3]
                                        ; implicit-def: $vgpr15
	s_and_saveexec_b64 s[42:43], vcc
	s_xor_b64 s[42:43], exec, s[42:43]
; %bb.3670:                             ;   in Loop: Header=BB2_3018 Depth=4
	v_or_b32_sdwa v15, v4, s47 dst_sel:DWORD dst_unused:UNUSED_PAD src0_sel:BYTE_3 src1_sel:DWORD
                                        ; implicit-def: $vgpr4
; %bb.3671:                             ;   in Loop: Header=BB2_3018 Depth=4
	s_andn2_saveexec_b64 s[42:43], s[42:43]
; %bb.3672:                             ;   in Loop: Header=BB2_3018 Depth=4
	v_cmp_lt_i32_e32 vcc, -1, v4
	v_cndmask_b32_e32 v15, v6, v22, vcc
; %bb.3673:                             ;   in Loop: Header=BB2_3018 Depth=4
	s_or_b64 exec, exec, s[42:43]
.LBB2_3674:                             ;   in Loop: Header=BB2_3018 Depth=4
	s_or_b64 exec, exec, s[40:41]
	v_and_b32_sdwa v4, v28, s87 dst_sel:DWORD dst_unused:UNUSED_PAD src0_sel:WORD_1 src1_sel:DWORD
	v_lshrrev_b32_e32 v2, 16, v28
	v_cmp_ne_u16_e32 vcc, 0, v4
	v_mov_b32_e32 v3, 0
	s_and_saveexec_b64 s[40:41], vcc
	s_cbranch_execz .LBB2_3682
; %bb.3675:                             ;   in Loop: Header=BB2_3018 Depth=4
	v_cmp_ne_u16_e32 vcc, s96, v4
	v_bfrev_b32_e32 v3, 1
	s_and_saveexec_b64 s[42:43], vcc
	s_cbranch_execz .LBB2_3681
; %bb.3676:                             ;   in Loop: Header=BB2_3018 Depth=4
	v_and_b32_e32 v3, 0x7c0000, v28
	v_bfe_u32 v4, v28, 16, 2
	v_cmp_ne_u32_e32 vcc, s44, v3
                                        ; implicit-def: $vgpr3
	s_and_saveexec_b64 s[38:39], vcc
	s_xor_b64 s[38:39], exec, s[38:39]
	s_cbranch_execz .LBB2_3678
; %bb.3677:                             ;   in Loop: Header=BB2_3018 Depth=4
	v_ffbh_u32_e32 v3, v4
	v_min_u32_e32 v30, 32, v3
	v_subrev_u32_e32 v3, 29, v30
	v_lshlrev_b64 v[2:3], v3, v[2:3]
	v_bfe_u32 v5, v28, 18, 5
	v_and_b32_e32 v2, 3, v2
	v_cmp_eq_u32_e32 vcc, 0, v5
	v_sub_u32_e32 v3, 30, v30
	v_cndmask_b32_e32 v2, v4, v2, vcc
	v_lshlrev_b32_e32 v4, 8, v28
	v_cndmask_b32_e32 v3, v5, v3, vcc
	v_and_b32_e32 v4, 0x80000000, v4
	v_lshl_add_u32 v3, v3, 23, v4
	v_lshl_or_b32 v2, v2, 21, v3
	v_add_u32_e32 v3, 0x38000000, v2
                                        ; implicit-def: $vgpr4
                                        ; implicit-def: $vgpr2
.LBB2_3678:                             ;   in Loop: Header=BB2_3018 Depth=4
	s_andn2_saveexec_b64 s[38:39], s[38:39]
; %bb.3679:                             ;   in Loop: Header=BB2_3018 Depth=4
	v_cmp_gt_i16_sdwa vcc, sext(v2), v48 src0_sel:BYTE_0 src1_sel:DWORD
	v_cndmask_b32_e32 v2, v7, v0, vcc
	v_cmp_eq_u32_e32 vcc, 0, v4
	v_cndmask_b32_e32 v3, v35, v2, vcc
; %bb.3680:                             ;   in Loop: Header=BB2_3018 Depth=4
	s_or_b64 exec, exec, s[38:39]
.LBB2_3681:                             ;   in Loop: Header=BB2_3018 Depth=4
	s_or_b64 exec, exec, s[42:43]
.LBB2_3682:                             ;   in Loop: Header=BB2_3018 Depth=4
	s_or_b64 exec, exec, s[40:41]
	v_lshrrev_b32_e32 v2, 16, v9
	v_cmp_gt_i16_sdwa s[42:43], v2, s47 src0_sel:BYTE_0 src1_sel:DWORD
	s_mov_b64 s[40:41], 0
	s_and_saveexec_b64 vcc, s[42:43]
	s_xor_b64 s[42:43], exec, vcc
	s_cbranch_execz .LBB2_4005
; %bb.3683:                             ;   in Loop: Header=BB2_3018 Depth=4
	v_cmp_eq_u16_sdwa s[38:39], v2, s96 src0_sel:BYTE_0 src1_sel:DWORD
	s_mov_b64 s[40:41], -1
	s_and_saveexec_b64 vcc, s[38:39]
; %bb.3684:                             ;   in Loop: Header=BB2_3018 Depth=4
	s_xor_b64 s[40:41], exec, -1
; %bb.3685:                             ;   in Loop: Header=BB2_3018 Depth=4
	s_or_b64 exec, exec, vcc
	s_and_b64 s[40:41], s[40:41], exec
	s_or_saveexec_b64 s[42:43], s[42:43]
	v_bfrev_b32_e32 v4, 1
	s_xor_b64 exec, exec, s[42:43]
	s_cbranch_execnz .LBB2_4006
.LBB2_3686:                             ;   in Loop: Header=BB2_3018 Depth=4
	s_or_b64 exec, exec, s[42:43]
	s_and_saveexec_b64 s[38:39], s[40:41]
	s_cbranch_execz .LBB2_3688
.LBB2_3687:                             ;   in Loop: Header=BB2_3018 Depth=4
	v_and_b32_e32 v30, 3, v2
	v_and_b32_e32 v4, 0x7c0000, v9
	v_cmp_eq_u32_e32 vcc, s44, v4
	v_ffbh_u32_e32 v4, v30
	v_min_u32_e32 v39, 32, v4
	v_subrev_u32_e32 v4, 29, v39
	v_bfe_u32 v38, v9, 18, 5
	v_lshlrev_b64 v[4:5], v4, v[2:3]
	v_cmp_eq_u32_e64 s[40:41], 0, v38
	v_sub_u32_e32 v5, 30, v39
	v_cndmask_b32_e64 v5, v38, v5, s[40:41]
	v_lshlrev_b32_e32 v38, 24, v2
	v_and_b32_e32 v4, 3, v4
	v_and_b32_e32 v38, 0x80000000, v38
	v_cndmask_b32_e64 v4, v30, v4, s[40:41]
	v_lshl_add_u32 v5, v5, 23, v38
	v_cmp_gt_i16_sdwa s[42:43], sext(v2), v48 src0_sel:BYTE_0 src1_sel:DWORD
	v_lshl_or_b32 v4, v4, 21, v5
	v_cmp_eq_u32_e64 s[40:41], 0, v30
	v_cndmask_b32_e64 v2, v7, v0, s[42:43]
	v_add_u32_e32 v4, 0x38000000, v4
	v_cndmask_b32_e64 v2, v35, v2, s[40:41]
	v_cndmask_b32_e32 v4, v4, v2, vcc
.LBB2_3688:                             ;   in Loop: Header=BB2_3018 Depth=4
	s_or_b64 exec, exec, s[38:39]
	v_add_f32_e32 v4, v3, v4
	v_and_b32_e32 v38, 0x7f800000, v4
	v_mov_b32_e32 v39, v29
	v_cmp_ne_u64_e32 vcc, s[76:77], v[38:39]
	v_and_b32_e32 v2, 0x7fffff, v4
	v_mov_b32_e32 v3, v29
                                        ; implicit-def: $vgpr30
	s_and_saveexec_b64 s[40:41], vcc
	s_xor_b64 s[42:43], exec, s[40:41]
	s_cbranch_execz .LBB2_3702
; %bb.3689:                             ;   in Loop: Header=BB2_3018 Depth=4
	v_and_b32_e32 v38, 0x7fffffff, v4
	v_mov_b32_e32 v39, v29
	v_cmp_gt_u64_e32 vcc, s[78:79], v[38:39]
	v_and_b32_sdwa v5, v4, s96 dst_sel:DWORD dst_unused:UNUSED_PAD src0_sel:BYTE_3 src1_sel:DWORD
                                        ; implicit-def: $vgpr30
	s_and_saveexec_b64 s[40:41], vcc
	s_xor_b64 s[38:39], exec, s[40:41]
	s_cbranch_execz .LBB2_3699
; %bb.3690:                             ;   in Loop: Header=BB2_3018 Depth=4
	v_mov_b32_e32 v30, 0
	v_cmp_ne_u32_e32 vcc, 0, v4
	s_and_saveexec_b64 s[48:49], vcc
	s_cbranch_execz .LBB2_3698
; %bb.3691:                             ;   in Loop: Header=BB2_3018 Depth=4
	v_bfe_u32 v30, v4, 23, 8
	v_cmp_gt_u32_e64 s[40:41], s46, v30
	v_sub_u32_e32 v4, 0x71, v30
	v_cmp_eq_u32_e32 vcc, 0, v30
	v_cndmask_b32_e64 v4, 0, v4, s[40:41]
	v_mov_b32_e32 v39, 0x70
	v_cndmask_b32_e32 v49, v4, v39, vcc
	v_or_b32_e32 v38, 0x800000, v2
	v_add_u32_e32 v4, 21, v49
	v_cndmask_b32_e32 v2, v38, v2, vcc
	v_lshlrev_b64 v[38:39], v4, -1
	v_add_u32_e32 v4, 20, v49
	v_bfi_b32 v38, v38, 0, v2
	v_lshlrev_b64 v[40:41], v4, 1
	v_lshrrev_b64 v[2:3], v49, v[2:3]
	v_bfi_b32 v39, v39, 0, 0
	v_cmp_eq_u64_e64 s[40:41], v[38:39], v[40:41]
	v_mov_b32_e32 v4, v3
	v_mov_b32_e32 v3, v2
	s_and_saveexec_b64 s[50:51], s[40:41]
; %bb.3692:                             ;   in Loop: Header=BB2_3018 Depth=4
	v_bfe_u32 v3, v2, 21, 1
	v_add_co_u32_e64 v3, s[40:41], v2, v3
	v_add_co_u32_e64 v3, s[40:41], -1, v3
; %bb.3693:                             ;   in Loop: Header=BB2_3018 Depth=4
	s_or_b64 exec, exec, s[50:51]
	v_add_u32_e32 v4, 0xffffff81, v30
	v_cndmask_b32_e32 v4, v4, v1, vcc
	v_lshrrev_b32_e32 v30, 23, v2
	v_add3_u32 v49, v49, v4, v30
	v_add_u32_e32 v30, 14, v49
	v_and_b32_e32 v3, 0x1fffff, v3
	v_add_u32_e32 v2, v3, v2
	v_mov_b32_e32 v3, v29
	v_cmp_ne_u32_e32 vcc, 0, v30
                                        ; implicit-def: $vgpr4
	s_and_saveexec_b64 s[40:41], vcc
	s_xor_b64 s[40:41], exec, s[40:41]
; %bb.3694:                             ;   in Loop: Header=BB2_3018 Depth=4
	v_cmp_lt_u64_e32 vcc, s[88:89], v[2:3]
	v_add_u32_e32 v4, 15, v49
	v_cndmask_b32_e32 v4, v30, v4, vcc
	v_cndmask_b32_e64 v30, 0, 1, vcc
	v_lshrrev_b64 v[2:3], v30, v[2:3]
; %bb.3695:                             ;   in Loop: Header=BB2_3018 Depth=4
	s_andn2_saveexec_b64 s[40:41], s[40:41]
; %bb.3696:                             ;   in Loop: Header=BB2_3018 Depth=4
	v_bfe_u32 v4, v2, 23, 1
; %bb.3697:                             ;   in Loop: Header=BB2_3018 Depth=4
	s_or_b64 exec, exec, s[40:41]
	v_lshrrev_b64 v[2:3], 21, v[2:3]
	v_cmp_gt_i32_e32 vcc, 32, v4
	v_cndmask_b32_e32 v3, 0, v3, vcc
	v_cndmask_b32_e32 v2, 3, v2, vcc
	v_cmp_eq_u64_e64 s[40:41], 0, v[2:3]
	v_min_i32_e32 v3, 31, v4
	v_lshlrev_b32_e32 v3, 2, v3
	v_cmp_eq_u32_e32 vcc, 0, v4
	v_and_b32_e32 v3, 0xfc, v3
	v_and_or_b32 v2, v2, 3, v3
	s_and_b64 s[40:41], vcc, s[40:41]
	v_cndmask_b32_e64 v2, v2, 0, s[40:41]
	v_or_b32_e32 v30, v2, v5
.LBB2_3698:                             ;   in Loop: Header=BB2_3018 Depth=4
	s_or_b64 exec, exec, s[48:49]
                                        ; implicit-def: $vgpr5
.LBB2_3699:                             ;   in Loop: Header=BB2_3018 Depth=4
	s_andn2_saveexec_b64 s[40:41], s[38:39]
; %bb.3700:                             ;   in Loop: Header=BB2_3018 Depth=4
	v_or_b32_e32 v30, 0x7b, v5
; %bb.3701:                             ;   in Loop: Header=BB2_3018 Depth=4
	s_or_b64 exec, exec, s[40:41]
                                        ; implicit-def: $vgpr4
                                        ; implicit-def: $vgpr2_vgpr3
.LBB2_3702:                             ;   in Loop: Header=BB2_3018 Depth=4
	s_andn2_saveexec_b64 s[40:41], s[42:43]
	s_cbranch_execz .LBB2_3708
; %bb.3703:                             ;   in Loop: Header=BB2_3018 Depth=4
	v_cmp_ne_u64_e32 vcc, 0, v[2:3]
                                        ; implicit-def: $vgpr30
	s_and_saveexec_b64 s[42:43], vcc
	s_xor_b64 s[42:43], exec, s[42:43]
; %bb.3704:                             ;   in Loop: Header=BB2_3018 Depth=4
	v_or_b32_sdwa v30, v4, s47 dst_sel:DWORD dst_unused:UNUSED_PAD src0_sel:BYTE_3 src1_sel:DWORD
                                        ; implicit-def: $vgpr4
; %bb.3705:                             ;   in Loop: Header=BB2_3018 Depth=4
	s_andn2_saveexec_b64 s[42:43], s[42:43]
; %bb.3706:                             ;   in Loop: Header=BB2_3018 Depth=4
	v_cmp_lt_i32_e32 vcc, -1, v4
	v_cndmask_b32_e32 v30, v6, v22, vcc
; %bb.3707:                             ;   in Loop: Header=BB2_3018 Depth=4
	s_or_b64 exec, exec, s[42:43]
.LBB2_3708:                             ;   in Loop: Header=BB2_3018 Depth=4
	s_or_b64 exec, exec, s[40:41]
	v_cmp_lt_u32_e32 vcc, s57, v28
	v_mov_b32_e32 v3, 0
	s_and_saveexec_b64 s[40:41], vcc
	s_cbranch_execz .LBB2_3716
; %bb.3709:                             ;   in Loop: Header=BB2_3018 Depth=4
	v_lshrrev_b32_e32 v2, 24, v28
	v_cmp_ne_u32_e32 vcc, s96, v2
	v_bfrev_b32_e32 v3, 1
	s_and_saveexec_b64 s[42:43], vcc
	s_cbranch_execz .LBB2_3715
; %bb.3710:                             ;   in Loop: Header=BB2_3018 Depth=4
	v_and_b32_e32 v3, 0x7c000000, v28
	v_bfe_u32 v4, v28, 24, 2
	v_cmp_ne_u32_e32 vcc, s45, v3
                                        ; implicit-def: $vgpr3
	s_and_saveexec_b64 s[38:39], vcc
	s_xor_b64 s[38:39], exec, s[38:39]
	s_cbranch_execz .LBB2_3712
; %bb.3711:                             ;   in Loop: Header=BB2_3018 Depth=4
	v_ffbh_u32_e32 v3, v4
	v_min_u32_e32 v38, 32, v3
	v_subrev_u32_e32 v3, 29, v38
	v_lshlrev_b64 v[2:3], v3, v[2:3]
	v_bfe_u32 v5, v28, 26, 5
	v_sub_u32_e32 v3, 30, v38
	v_and_b32_e32 v2, 3, v2
	v_cmp_eq_u32_e32 vcc, 0, v5
	v_cndmask_b32_e32 v3, v5, v3, vcc
	v_cndmask_b32_e32 v2, v4, v2, vcc
	v_and_b32_e32 v4, 0x80000000, v28
	v_lshl_add_u32 v3, v3, 23, v4
	v_lshl_or_b32 v2, v2, 21, v3
	v_add_u32_e32 v3, 0x38000000, v2
                                        ; implicit-def: $vgpr4
.LBB2_3712:                             ;   in Loop: Header=BB2_3018 Depth=4
	s_andn2_saveexec_b64 s[38:39], s[38:39]
; %bb.3713:                             ;   in Loop: Header=BB2_3018 Depth=4
	v_cmp_lt_i32_e32 vcc, -1, v28
	v_cndmask_b32_e32 v2, v7, v0, vcc
	v_cmp_eq_u32_e32 vcc, 0, v4
	v_cndmask_b32_e32 v3, v35, v2, vcc
; %bb.3714:                             ;   in Loop: Header=BB2_3018 Depth=4
	s_or_b64 exec, exec, s[38:39]
.LBB2_3715:                             ;   in Loop: Header=BB2_3018 Depth=4
	s_or_b64 exec, exec, s[42:43]
.LBB2_3716:                             ;   in Loop: Header=BB2_3018 Depth=4
	s_or_b64 exec, exec, s[40:41]
	v_bfe_u32 v28, v9, 24, 2
	v_and_b32_e32 v4, 0x7c000000, v9
	v_cmp_eq_u32_e32 vcc, s45, v4
	v_ffbh_u32_e32 v4, v28
	v_min_u32_e32 v39, 32, v4
	v_lshrrev_b32_e32 v2, 24, v9
	v_subrev_u32_e32 v4, 29, v39
	v_bfe_u32 v38, v9, 26, 5
	v_lshlrev_b64 v[4:5], v4, v[2:3]
	v_cmp_eq_u32_e64 s[40:41], 0, v38
	v_sub_u32_e32 v5, 30, v39
	v_and_b32_e32 v4, 3, v4
	v_cndmask_b32_e64 v5, v38, v5, s[40:41]
	v_and_b32_e32 v38, 0x80000000, v9
	v_cmp_lt_i64_e64 s[42:43], -1, v[8:9]
	v_cndmask_b32_e64 v4, v28, v4, s[40:41]
	v_lshl_add_u32 v5, v5, 23, v38
	v_lshl_or_b32 v4, v4, 21, v5
	v_cmp_eq_u32_e64 s[40:41], 0, v28
	v_cndmask_b32_e64 v5, v7, v0, s[42:43]
	v_add_u32_e32 v4, 0x38000000, v4
	v_cndmask_b32_e64 v5, v35, v5, s[40:41]
	v_cndmask_b32_e32 v4, v4, v5, vcc
	v_cmp_ne_u32_e32 vcc, s96, v2
	v_bfrev_b32_e32 v2, 1
	v_cndmask_b32_e32 v2, v2, v4, vcc
	v_cmp_lt_u64_e32 vcc, s[56:57], v[8:9]
	v_mov_b32_e32 v4, v29
	v_cndmask_b32_e32 v2, 0, v2, vcc
	v_add_f32_e32 v2, v2, v3
	v_and_b32_e32 v3, 0x7f800000, v2
	v_cmp_ne_u64_e32 vcc, s[76:77], v[3:4]
	v_and_b32_e32 v28, 0x7fffff, v2
                                        ; implicit-def: $vgpr56
	s_and_saveexec_b64 s[40:41], vcc
	s_xor_b64 s[42:43], exec, s[40:41]
	s_cbranch_execz .LBB2_3730
; %bb.3717:                             ;   in Loop: Header=BB2_3018 Depth=4
	v_and_b32_e32 v3, 0x7fffffff, v2
	v_mov_b32_e32 v4, v29
	v_cmp_gt_u64_e32 vcc, s[78:79], v[3:4]
	v_and_b32_sdwa v5, v2, s96 dst_sel:DWORD dst_unused:UNUSED_PAD src0_sel:BYTE_3 src1_sel:DWORD
                                        ; implicit-def: $vgpr56
	s_and_saveexec_b64 s[40:41], vcc
	s_xor_b64 s[38:39], exec, s[40:41]
	s_cbranch_execz .LBB2_3727
; %bb.3718:                             ;   in Loop: Header=BB2_3018 Depth=4
	v_mov_b32_e32 v56, 0
	v_cmp_ne_u32_e32 vcc, 0, v2
	s_and_saveexec_b64 s[48:49], vcc
	s_cbranch_execz .LBB2_3726
; %bb.3719:                             ;   in Loop: Header=BB2_3018 Depth=4
	v_bfe_u32 v8, v2, 23, 8
	v_cmp_gt_u32_e64 s[40:41], s46, v8
	v_sub_u32_e32 v2, 0x71, v8
	v_cmp_eq_u32_e32 vcc, 0, v8
	v_cndmask_b32_e64 v2, 0, v2, s[40:41]
	v_mov_b32_e32 v4, 0x70
	v_cndmask_b32_e32 v9, v2, v4, vcc
	v_or_b32_e32 v3, 0x800000, v28
	v_add_u32_e32 v2, 21, v9
	v_cndmask_b32_e32 v28, v3, v28, vcc
	v_lshlrev_b64 v[2:3], v2, -1
	v_add_u32_e32 v4, 20, v9
	v_lshlrev_b64 v[38:39], v4, 1
	v_bfi_b32 v3, v3, 0, 0
	v_bfi_b32 v2, v2, 0, v28
	v_cmp_eq_u64_e64 s[40:41], v[2:3], v[38:39]
	v_lshrrev_b64 v[2:3], v9, v[28:29]
	v_mov_b32_e32 v4, v3
	v_mov_b32_e32 v3, v2
	s_and_saveexec_b64 s[50:51], s[40:41]
; %bb.3720:                             ;   in Loop: Header=BB2_3018 Depth=4
	v_bfe_u32 v3, v2, 21, 1
	v_add_co_u32_e64 v3, s[40:41], v2, v3
	v_add_co_u32_e64 v3, s[40:41], -1, v3
; %bb.3721:                             ;   in Loop: Header=BB2_3018 Depth=4
	s_or_b64 exec, exec, s[50:51]
	v_add_u32_e32 v4, 0xffffff81, v8
	v_cndmask_b32_e32 v4, v4, v1, vcc
	v_lshrrev_b32_e32 v8, 23, v2
	v_add3_u32 v9, v9, v4, v8
	v_add_u32_e32 v8, 14, v9
	v_and_b32_e32 v3, 0x1fffff, v3
	v_add_u32_e32 v28, v3, v2
	v_cmp_ne_u32_e32 vcc, 0, v8
                                        ; implicit-def: $vgpr2_vgpr3
                                        ; implicit-def: $vgpr4
	s_and_saveexec_b64 s[40:41], vcc
	s_xor_b64 s[40:41], exec, s[40:41]
; %bb.3722:                             ;   in Loop: Header=BB2_3018 Depth=4
	v_cmp_lt_u64_e32 vcc, s[88:89], v[28:29]
	v_add_u32_e32 v2, 15, v9
	v_cndmask_b32_e32 v4, v8, v2, vcc
	v_cndmask_b32_e64 v2, 0, 1, vcc
	v_lshrrev_b64 v[2:3], v2, v[28:29]
; %bb.3723:                             ;   in Loop: Header=BB2_3018 Depth=4
	s_andn2_saveexec_b64 s[40:41], s[40:41]
; %bb.3724:                             ;   in Loop: Header=BB2_3018 Depth=4
	v_mov_b32_e32 v2, v28
	v_bfe_u32 v4, v28, 23, 1
	v_mov_b32_e32 v3, v29
; %bb.3725:                             ;   in Loop: Header=BB2_3018 Depth=4
	s_or_b64 exec, exec, s[40:41]
	v_lshrrev_b64 v[2:3], 21, v[2:3]
	v_cmp_gt_i32_e32 vcc, 32, v4
	v_cndmask_b32_e32 v3, 0, v3, vcc
	v_cndmask_b32_e32 v2, 3, v2, vcc
	v_cmp_eq_u64_e64 s[40:41], 0, v[2:3]
	v_min_i32_e32 v3, 31, v4
	v_lshlrev_b32_e32 v3, 2, v3
	v_cmp_eq_u32_e32 vcc, 0, v4
	v_and_b32_e32 v3, 0xfc, v3
	v_and_or_b32 v2, v2, 3, v3
	s_and_b64 s[40:41], vcc, s[40:41]
	v_cndmask_b32_e64 v2, v2, 0, s[40:41]
	v_or_b32_e32 v56, v2, v5
.LBB2_3726:                             ;   in Loop: Header=BB2_3018 Depth=4
	s_or_b64 exec, exec, s[48:49]
                                        ; implicit-def: $vgpr5
.LBB2_3727:                             ;   in Loop: Header=BB2_3018 Depth=4
	s_andn2_saveexec_b64 s[40:41], s[38:39]
; %bb.3728:                             ;   in Loop: Header=BB2_3018 Depth=4
	v_or_b32_e32 v56, 0x7b, v5
; %bb.3729:                             ;   in Loop: Header=BB2_3018 Depth=4
	s_or_b64 exec, exec, s[40:41]
                                        ; implicit-def: $vgpr2
.LBB2_3730:                             ;   in Loop: Header=BB2_3018 Depth=4
	s_andn2_saveexec_b64 s[40:41], s[42:43]
	s_cbranch_execz .LBB2_3736
; %bb.3731:                             ;   in Loop: Header=BB2_3018 Depth=4
	v_cmp_ne_u64_e32 vcc, 0, v[28:29]
                                        ; implicit-def: $vgpr56
	s_and_saveexec_b64 s[42:43], vcc
	s_xor_b64 s[42:43], exec, s[42:43]
; %bb.3732:                             ;   in Loop: Header=BB2_3018 Depth=4
	v_or_b32_sdwa v56, v2, s47 dst_sel:DWORD dst_unused:UNUSED_PAD src0_sel:BYTE_3 src1_sel:DWORD
                                        ; implicit-def: $vgpr2
; %bb.3733:                             ;   in Loop: Header=BB2_3018 Depth=4
	s_andn2_saveexec_b64 s[42:43], s[42:43]
; %bb.3734:                             ;   in Loop: Header=BB2_3018 Depth=4
	v_cmp_lt_i32_e32 vcc, -1, v2
	v_cndmask_b32_e32 v56, v6, v22, vcc
; %bb.3735:                             ;   in Loop: Header=BB2_3018 Depth=4
	s_or_b64 exec, exec, s[42:43]
.LBB2_3736:                             ;   in Loop: Header=BB2_3018 Depth=4
	s_or_b64 exec, exec, s[40:41]
	v_lshl_or_b32 v5, v59, 8, v52
	v_lshlrev_b32_e32 v2, 16, v18
	v_lshlrev_b32_e32 v3, 24, v19
	v_or3_b32 v28, v2, v3, v5
	v_cmp_ne_u32_e32 vcc, 0, v52
	v_mov_b32_e32 v2, 0
	s_and_saveexec_b64 s[42:43], vcc
	s_cbranch_execz .LBB2_3744
; %bb.3737:                             ;   in Loop: Header=BB2_3018 Depth=4
	v_cmp_ne_u32_e32 vcc, s96, v52
	v_bfrev_b32_e32 v2, 1
	s_and_saveexec_b64 s[38:39], vcc
	s_cbranch_execz .LBB2_3743
; %bb.3738:                             ;   in Loop: Header=BB2_3018 Depth=4
	v_and_b32_e32 v2, 0x7c, v52
	v_and_b32_e32 v3, 3, v52
	v_cmp_ne_u32_e32 vcc, s85, v2
                                        ; implicit-def: $vgpr2
	s_and_saveexec_b64 s[40:41], vcc
	s_xor_b64 s[40:41], exec, s[40:41]
	s_cbranch_execz .LBB2_3740
; %bb.3739:                             ;   in Loop: Header=BB2_3018 Depth=4
	v_ffbh_u32_e32 v4, v3
	v_min_u32_e32 v4, 32, v4
	v_bfe_u32 v2, v52, 2, 5
	v_subrev_u32_e32 v8, 29, v4
	v_lshlrev_b64 v[8:9], v8, v[28:29]
	v_sub_u32_e32 v4, 30, v4
	v_cmp_eq_u32_e32 vcc, 0, v2
	v_cndmask_b32_e32 v2, v2, v4, vcc
	v_lshlrev_b32_e32 v4, 24, v52
	v_and_b32_e32 v8, 3, v8
	v_and_b32_e32 v4, 0x80000000, v4
	v_cndmask_b32_e32 v3, v3, v8, vcc
	v_lshl_add_u32 v2, v2, 23, v4
	v_lshl_or_b32 v2, v3, 21, v2
	v_add_u32_e32 v2, 0x38000000, v2
                                        ; implicit-def: $vgpr3
                                        ; implicit-def: $vgpr52
.LBB2_3740:                             ;   in Loop: Header=BB2_3018 Depth=4
	s_andn2_saveexec_b64 s[48:49], s[40:41]
; %bb.3741:                             ;   in Loop: Header=BB2_3018 Depth=4
	v_and_b32_e32 v2, 0x80, v52
	v_cmp_eq_u32_e64 s[40:41], 0, v2
	v_cmp_eq_u32_e32 vcc, 0, v3
	v_cndmask_b32_e64 v2, v7, v0, s[40:41]
	v_cndmask_b32_e32 v2, v35, v2, vcc
; %bb.3742:                             ;   in Loop: Header=BB2_3018 Depth=4
	s_or_b64 exec, exec, s[48:49]
.LBB2_3743:                             ;   in Loop: Header=BB2_3018 Depth=4
	s_or_b64 exec, exec, s[38:39]
.LBB2_3744:                             ;   in Loop: Header=BB2_3018 Depth=4
	s_or_b64 exec, exec, s[42:43]
	v_cmp_gt_i16_sdwa s[42:43], v10, s47 src0_sel:BYTE_0 src1_sel:DWORD
	s_mov_b64 s[40:41], 0
	s_and_saveexec_b64 vcc, s[42:43]
	s_xor_b64 s[42:43], exec, vcc
	s_cbranch_execz .LBB2_4007
; %bb.3745:                             ;   in Loop: Header=BB2_3018 Depth=4
	v_cmp_eq_u16_sdwa s[38:39], v10, s96 src0_sel:BYTE_0 src1_sel:DWORD
	s_mov_b64 s[40:41], -1
	s_and_saveexec_b64 vcc, s[38:39]
; %bb.3746:                             ;   in Loop: Header=BB2_3018 Depth=4
	s_xor_b64 s[40:41], exec, -1
; %bb.3747:                             ;   in Loop: Header=BB2_3018 Depth=4
	s_or_b64 exec, exec, vcc
	s_and_b64 s[40:41], s[40:41], exec
	s_or_saveexec_b64 s[42:43], s[42:43]
	v_bfrev_b32_e32 v3, 1
	s_xor_b64 exec, exec, s[42:43]
	s_cbranch_execnz .LBB2_4008
.LBB2_3748:                             ;   in Loop: Header=BB2_3018 Depth=4
	s_or_b64 exec, exec, s[42:43]
	s_and_saveexec_b64 s[38:39], s[40:41]
	s_cbranch_execz .LBB2_3750
.LBB2_3749:                             ;   in Loop: Header=BB2_3018 Depth=4
	v_and_b32_e32 v8, 3, v10
	v_and_b32_e32 v3, 0x7c, v10
	v_cmp_eq_u32_e32 vcc, s85, v3
	v_ffbh_u32_e32 v3, v8
	v_min_u32_e32 v18, 32, v3
	v_subrev_u32_e32 v3, 29, v18
	v_bfe_u32 v9, v10, 2, 5
	v_lshlrev_b64 v[3:4], v3, v[10:11]
	v_cmp_eq_u32_e64 s[40:41], 0, v9
	v_sub_u32_e32 v4, 30, v18
	v_cndmask_b32_e64 v4, v9, v4, s[40:41]
	v_lshlrev_b32_e32 v9, 24, v10
	v_and_b32_e32 v3, 3, v3
	v_and_b32_e32 v9, 0x80000000, v9
	v_cndmask_b32_e64 v3, v8, v3, s[40:41]
	v_lshl_add_u32 v4, v4, 23, v9
	v_cmp_gt_i16_sdwa s[42:43], sext(v10), v48 src0_sel:BYTE_0 src1_sel:DWORD
	v_lshl_or_b32 v3, v3, 21, v4
	v_cmp_eq_u32_e64 s[40:41], 0, v8
	v_cndmask_b32_e64 v4, v7, v0, s[42:43]
	v_add_u32_e32 v3, 0x38000000, v3
	v_cndmask_b32_e64 v4, v35, v4, s[40:41]
	v_cndmask_b32_e32 v3, v3, v4, vcc
.LBB2_3750:                             ;   in Loop: Header=BB2_3018 Depth=4
	s_or_b64 exec, exec, s[38:39]
	v_add_f32_e32 v4, v2, v3
	v_and_b32_e32 v8, 0x7f800000, v4
	v_mov_b32_e32 v9, v29
	v_cmp_ne_u64_e32 vcc, s[76:77], v[8:9]
	v_and_b32_e32 v2, 0x7fffff, v4
	v_mov_b32_e32 v3, v29
                                        ; implicit-def: $vgpr18
	s_and_saveexec_b64 s[40:41], vcc
	s_xor_b64 s[42:43], exec, s[40:41]
	s_cbranch_execz .LBB2_3764
; %bb.3751:                             ;   in Loop: Header=BB2_3018 Depth=4
	v_and_b32_e32 v8, 0x7fffffff, v4
	v_mov_b32_e32 v9, v29
	v_cmp_gt_u64_e32 vcc, s[78:79], v[8:9]
	v_and_b32_sdwa v8, v4, s96 dst_sel:DWORD dst_unused:UNUSED_PAD src0_sel:BYTE_3 src1_sel:DWORD
                                        ; implicit-def: $vgpr18
	s_and_saveexec_b64 s[40:41], vcc
	s_xor_b64 s[38:39], exec, s[40:41]
	s_cbranch_execz .LBB2_3761
; %bb.3752:                             ;   in Loop: Header=BB2_3018 Depth=4
	v_mov_b32_e32 v18, 0
	v_cmp_ne_u32_e32 vcc, 0, v4
	s_and_saveexec_b64 s[48:49], vcc
	s_cbranch_execz .LBB2_3760
; %bb.3753:                             ;   in Loop: Header=BB2_3018 Depth=4
	v_bfe_u32 v9, v4, 23, 8
	v_cmp_gt_u32_e64 s[40:41], s46, v9
	v_sub_u32_e32 v4, 0x71, v9
	v_cmp_eq_u32_e32 vcc, 0, v9
	v_cndmask_b32_e64 v4, 0, v4, s[40:41]
	v_mov_b32_e32 v18, 0x70
	v_cndmask_b32_e32 v18, v4, v18, vcc
	v_add_u32_e32 v4, 21, v18
	v_or_b32_e32 v19, 0x800000, v2
	v_lshlrev_b64 v[38:39], v4, -1
	v_cndmask_b32_e32 v2, v19, v2, vcc
	v_add_u32_e32 v4, 20, v18
	v_bfi_b32 v38, v38, 0, v2
	v_lshlrev_b64 v[40:41], v4, 1
	v_lshrrev_b64 v[2:3], v18, v[2:3]
	v_bfi_b32 v39, v39, 0, 0
	v_cmp_eq_u64_e64 s[40:41], v[38:39], v[40:41]
	v_mov_b32_e32 v4, v3
	v_mov_b32_e32 v3, v2
	s_and_saveexec_b64 s[50:51], s[40:41]
; %bb.3754:                             ;   in Loop: Header=BB2_3018 Depth=4
	v_bfe_u32 v3, v2, 21, 1
	v_add_co_u32_e64 v3, s[40:41], v2, v3
	v_add_co_u32_e64 v3, s[40:41], -1, v3
; %bb.3755:                             ;   in Loop: Header=BB2_3018 Depth=4
	s_or_b64 exec, exec, s[50:51]
	v_add_u32_e32 v4, 0xffffff81, v9
	v_cndmask_b32_e32 v4, v4, v1, vcc
	v_lshrrev_b32_e32 v9, 23, v2
	v_add3_u32 v18, v18, v4, v9
	v_add_u32_e32 v9, 14, v18
	v_and_b32_e32 v3, 0x1fffff, v3
	v_add_u32_e32 v2, v3, v2
	v_mov_b32_e32 v3, v29
	v_cmp_ne_u32_e32 vcc, 0, v9
                                        ; implicit-def: $vgpr4
	s_and_saveexec_b64 s[40:41], vcc
	s_xor_b64 s[40:41], exec, s[40:41]
; %bb.3756:                             ;   in Loop: Header=BB2_3018 Depth=4
	v_cmp_lt_u64_e32 vcc, s[88:89], v[2:3]
	v_add_u32_e32 v4, 15, v18
	v_cndmask_b32_e32 v4, v9, v4, vcc
	v_cndmask_b32_e64 v9, 0, 1, vcc
	v_lshrrev_b64 v[2:3], v9, v[2:3]
; %bb.3757:                             ;   in Loop: Header=BB2_3018 Depth=4
	s_andn2_saveexec_b64 s[40:41], s[40:41]
; %bb.3758:                             ;   in Loop: Header=BB2_3018 Depth=4
	v_bfe_u32 v4, v2, 23, 1
; %bb.3759:                             ;   in Loop: Header=BB2_3018 Depth=4
	s_or_b64 exec, exec, s[40:41]
	v_lshrrev_b64 v[2:3], 21, v[2:3]
	v_cmp_gt_i32_e32 vcc, 32, v4
	v_cndmask_b32_e32 v3, 0, v3, vcc
	v_cndmask_b32_e32 v2, 3, v2, vcc
	v_cmp_eq_u64_e64 s[40:41], 0, v[2:3]
	v_min_i32_e32 v3, 31, v4
	v_lshlrev_b32_e32 v3, 2, v3
	v_cmp_eq_u32_e32 vcc, 0, v4
	v_and_b32_e32 v3, 0xfc, v3
	v_and_or_b32 v2, v2, 3, v3
	s_and_b64 s[40:41], vcc, s[40:41]
	v_cndmask_b32_e64 v2, v2, 0, s[40:41]
	v_or_b32_e32 v18, v2, v8
.LBB2_3760:                             ;   in Loop: Header=BB2_3018 Depth=4
	s_or_b64 exec, exec, s[48:49]
                                        ; implicit-def: $vgpr8
.LBB2_3761:                             ;   in Loop: Header=BB2_3018 Depth=4
	s_andn2_saveexec_b64 s[40:41], s[38:39]
; %bb.3762:                             ;   in Loop: Header=BB2_3018 Depth=4
	v_or_b32_e32 v18, 0x7b, v8
; %bb.3763:                             ;   in Loop: Header=BB2_3018 Depth=4
	s_or_b64 exec, exec, s[40:41]
                                        ; implicit-def: $vgpr4
                                        ; implicit-def: $vgpr2_vgpr3
.LBB2_3764:                             ;   in Loop: Header=BB2_3018 Depth=4
	s_andn2_saveexec_b64 s[40:41], s[42:43]
	s_cbranch_execz .LBB2_3770
; %bb.3765:                             ;   in Loop: Header=BB2_3018 Depth=4
	v_cmp_ne_u64_e32 vcc, 0, v[2:3]
                                        ; implicit-def: $vgpr18
	s_and_saveexec_b64 s[42:43], vcc
	s_xor_b64 s[42:43], exec, s[42:43]
; %bb.3766:                             ;   in Loop: Header=BB2_3018 Depth=4
	v_or_b32_sdwa v18, v4, s47 dst_sel:DWORD dst_unused:UNUSED_PAD src0_sel:BYTE_3 src1_sel:DWORD
                                        ; implicit-def: $vgpr4
; %bb.3767:                             ;   in Loop: Header=BB2_3018 Depth=4
	s_andn2_saveexec_b64 s[42:43], s[42:43]
; %bb.3768:                             ;   in Loop: Header=BB2_3018 Depth=4
	v_cmp_lt_i32_e32 vcc, -1, v4
	v_cndmask_b32_e32 v18, v6, v22, vcc
; %bb.3769:                             ;   in Loop: Header=BB2_3018 Depth=4
	s_or_b64 exec, exec, s[42:43]
.LBB2_3770:                             ;   in Loop: Header=BB2_3018 Depth=4
	s_or_b64 exec, exec, s[40:41]
	v_lshrrev_b16_e32 v2, 8, v5
	v_cmp_ne_u16_e32 vcc, 0, v2
	v_mov_b32_e32 v4, 0
	s_and_saveexec_b64 s[40:41], vcc
	s_cbranch_execz .LBB2_3778
; %bb.3771:                             ;   in Loop: Header=BB2_3018 Depth=4
	v_cmp_ne_u16_e32 vcc, s96, v2
	v_bfrev_b32_e32 v4, 1
	s_and_saveexec_b64 s[42:43], vcc
	s_cbranch_execz .LBB2_3777
; %bb.3772:                             ;   in Loop: Header=BB2_3018 Depth=4
	v_and_b32_e32 v3, 0x7c, v2
	v_and_b32_e32 v8, 3, v2
	v_cmp_ne_u32_e32 vcc, s85, v3
                                        ; implicit-def: $vgpr4
	s_and_saveexec_b64 s[38:39], vcc
	s_xor_b64 s[38:39], exec, s[38:39]
	s_cbranch_execz .LBB2_3774
; %bb.3773:                             ;   in Loop: Header=BB2_3018 Depth=4
	v_ffbh_u32_e32 v9, v8
	v_min_u32_e32 v9, 32, v9
	v_mov_b32_e32 v3, v29
	v_subrev_u32_e32 v19, 29, v9
	v_bfe_u32 v4, v2, 2, 5
	v_lshlrev_b64 v[2:3], v19, v[2:3]
	v_sub_u32_e32 v3, 30, v9
	v_cmp_eq_u32_e32 vcc, 0, v4
	v_cndmask_b32_e32 v3, v4, v3, vcc
	v_lshlrev_b32_e32 v4, 16, v5
	v_and_b32_e32 v2, 3, v2
	v_and_b32_e32 v4, 0x80000000, v4
	v_cndmask_b32_e32 v2, v8, v2, vcc
	v_lshl_add_u32 v3, v3, 23, v4
	v_lshl_or_b32 v2, v2, 21, v3
	v_add_u32_e32 v4, 0x38000000, v2
                                        ; implicit-def: $vgpr8
                                        ; implicit-def: $vgpr5
.LBB2_3774:                             ;   in Loop: Header=BB2_3018 Depth=4
	s_andn2_saveexec_b64 s[38:39], s[38:39]
; %bb.3775:                             ;   in Loop: Header=BB2_3018 Depth=4
	v_cmp_lt_i16_e32 vcc, -1, v5
	v_cndmask_b32_e32 v2, v7, v0, vcc
	v_cmp_eq_u32_e32 vcc, 0, v8
	v_cndmask_b32_e32 v4, v35, v2, vcc
; %bb.3776:                             ;   in Loop: Header=BB2_3018 Depth=4
	s_or_b64 exec, exec, s[38:39]
.LBB2_3777:                             ;   in Loop: Header=BB2_3018 Depth=4
	s_or_b64 exec, exec, s[42:43]
.LBB2_3778:                             ;   in Loop: Header=BB2_3018 Depth=4
	s_or_b64 exec, exec, s[40:41]
	v_lshrrev_b16_e32 v2, 8, v10
	v_cmp_lt_i16_e32 vcc, s47, v2
	s_mov_b64 s[40:41], 0
	s_and_saveexec_b64 s[42:43], vcc
	s_xor_b64 s[42:43], exec, s[42:43]
	s_cbranch_execz .LBB2_4009
; %bb.3779:                             ;   in Loop: Header=BB2_3018 Depth=4
	v_cmp_eq_u16_e32 vcc, s96, v2
	s_mov_b64 s[40:41], -1
	s_and_saveexec_b64 s[38:39], vcc
; %bb.3780:                             ;   in Loop: Header=BB2_3018 Depth=4
	s_xor_b64 s[40:41], exec, -1
; %bb.3781:                             ;   in Loop: Header=BB2_3018 Depth=4
	s_or_b64 exec, exec, s[38:39]
	s_and_b64 s[40:41], s[40:41], exec
	s_or_saveexec_b64 s[42:43], s[42:43]
	v_bfrev_b32_e32 v3, 1
	s_xor_b64 exec, exec, s[42:43]
	s_cbranch_execnz .LBB2_4010
.LBB2_3782:                             ;   in Loop: Header=BB2_3018 Depth=4
	s_or_b64 exec, exec, s[42:43]
	s_and_saveexec_b64 s[38:39], s[40:41]
	s_cbranch_execz .LBB2_3784
.LBB2_3783:                             ;   in Loop: Header=BB2_3018 Depth=4
	v_and_b32_e32 v5, 3, v2
	v_and_b32_e32 v8, 0x7c, v2
	v_cmp_eq_u32_e32 vcc, s85, v8
	v_ffbh_u32_e32 v8, v5
	v_min_u32_e32 v38, 32, v8
	v_mov_b32_e32 v3, v29
	v_subrev_u32_e32 v8, 29, v38
	v_bfe_u32 v19, v2, 2, 5
	v_lshlrev_b64 v[8:9], v8, v[2:3]
	v_cmp_eq_u32_e64 s[40:41], 0, v19
	v_sub_u32_e32 v3, 30, v38
	v_lshlrev_b32_e32 v2, 24, v2
	v_and_b32_e32 v8, 3, v8
	v_cndmask_b32_e64 v3, v19, v3, s[40:41]
	v_and_b32_e32 v2, 0x80000000, v2
	v_cndmask_b32_e64 v8, v5, v8, s[40:41]
	v_lshl_add_u32 v2, v3, 23, v2
	v_cmp_lt_i16_e64 s[42:43], -1, v10
	v_lshl_or_b32 v2, v8, 21, v2
	v_cmp_eq_u32_e64 s[40:41], 0, v5
	v_cndmask_b32_e64 v3, v7, v0, s[42:43]
	v_add_u32_e32 v2, 0x38000000, v2
	v_cndmask_b32_e64 v3, v35, v3, s[40:41]
	v_cndmask_b32_e32 v3, v2, v3, vcc
.LBB2_3784:                             ;   in Loop: Header=BB2_3018 Depth=4
	s_or_b64 exec, exec, s[38:39]
	v_add_f32_e32 v4, v4, v3
	v_and_b32_e32 v8, 0x7f800000, v4
	v_mov_b32_e32 v9, v29
	v_cmp_ne_u64_e32 vcc, s[76:77], v[8:9]
	v_and_b32_e32 v2, 0x7fffff, v4
	v_mov_b32_e32 v3, v29
                                        ; implicit-def: $vgpr19
	s_and_saveexec_b64 s[40:41], vcc
	s_xor_b64 s[42:43], exec, s[40:41]
	s_cbranch_execz .LBB2_3798
; %bb.3785:                             ;   in Loop: Header=BB2_3018 Depth=4
	v_and_b32_e32 v8, 0x7fffffff, v4
	v_mov_b32_e32 v9, v29
	v_cmp_gt_u64_e32 vcc, s[78:79], v[8:9]
	v_and_b32_sdwa v5, v4, s96 dst_sel:DWORD dst_unused:UNUSED_PAD src0_sel:BYTE_3 src1_sel:DWORD
                                        ; implicit-def: $vgpr19
	s_and_saveexec_b64 s[40:41], vcc
	s_xor_b64 s[38:39], exec, s[40:41]
	s_cbranch_execz .LBB2_3795
; %bb.3786:                             ;   in Loop: Header=BB2_3018 Depth=4
	v_mov_b32_e32 v19, 0
	v_cmp_ne_u32_e32 vcc, 0, v4
	s_and_saveexec_b64 s[48:49], vcc
	s_cbranch_execz .LBB2_3794
; %bb.3787:                             ;   in Loop: Header=BB2_3018 Depth=4
	v_bfe_u32 v8, v4, 23, 8
	v_cmp_gt_u32_e64 s[40:41], s46, v8
	v_sub_u32_e32 v4, 0x71, v8
	v_cmp_eq_u32_e32 vcc, 0, v8
	v_cndmask_b32_e64 v4, 0, v4, s[40:41]
	v_mov_b32_e32 v9, 0x70
	v_cndmask_b32_e32 v9, v4, v9, vcc
	v_add_u32_e32 v4, 21, v9
	v_or_b32_e32 v19, 0x800000, v2
	v_lshlrev_b64 v[38:39], v4, -1
	v_cndmask_b32_e32 v2, v19, v2, vcc
	v_add_u32_e32 v4, 20, v9
	v_bfi_b32 v38, v38, 0, v2
	v_lshlrev_b64 v[40:41], v4, 1
	v_lshrrev_b64 v[2:3], v9, v[2:3]
	v_bfi_b32 v39, v39, 0, 0
	v_cmp_eq_u64_e64 s[40:41], v[38:39], v[40:41]
	v_mov_b32_e32 v4, v3
	v_mov_b32_e32 v3, v2
	s_and_saveexec_b64 s[50:51], s[40:41]
; %bb.3788:                             ;   in Loop: Header=BB2_3018 Depth=4
	v_bfe_u32 v3, v2, 21, 1
	v_add_co_u32_e64 v3, s[40:41], v2, v3
	v_add_co_u32_e64 v3, s[40:41], -1, v3
; %bb.3789:                             ;   in Loop: Header=BB2_3018 Depth=4
	s_or_b64 exec, exec, s[50:51]
	v_add_u32_e32 v4, 0xffffff81, v8
	v_cndmask_b32_e32 v4, v4, v1, vcc
	v_lshrrev_b32_e32 v8, 23, v2
	v_add3_u32 v9, v9, v4, v8
	v_add_u32_e32 v8, 14, v9
	v_and_b32_e32 v3, 0x1fffff, v3
	v_add_u32_e32 v2, v3, v2
	v_mov_b32_e32 v3, v29
	v_cmp_ne_u32_e32 vcc, 0, v8
                                        ; implicit-def: $vgpr4
	s_and_saveexec_b64 s[40:41], vcc
	s_xor_b64 s[40:41], exec, s[40:41]
; %bb.3790:                             ;   in Loop: Header=BB2_3018 Depth=4
	v_cmp_lt_u64_e32 vcc, s[88:89], v[2:3]
	v_add_u32_e32 v4, 15, v9
	v_cndmask_b32_e32 v4, v8, v4, vcc
	v_cndmask_b32_e64 v8, 0, 1, vcc
	v_lshrrev_b64 v[2:3], v8, v[2:3]
; %bb.3791:                             ;   in Loop: Header=BB2_3018 Depth=4
	s_andn2_saveexec_b64 s[40:41], s[40:41]
; %bb.3792:                             ;   in Loop: Header=BB2_3018 Depth=4
	v_bfe_u32 v4, v2, 23, 1
; %bb.3793:                             ;   in Loop: Header=BB2_3018 Depth=4
	s_or_b64 exec, exec, s[40:41]
	v_lshrrev_b64 v[2:3], 21, v[2:3]
	v_cmp_gt_i32_e32 vcc, 32, v4
	v_cndmask_b32_e32 v3, 0, v3, vcc
	v_cndmask_b32_e32 v2, 3, v2, vcc
	v_cmp_eq_u64_e64 s[40:41], 0, v[2:3]
	v_min_i32_e32 v3, 31, v4
	v_lshlrev_b32_e32 v3, 2, v3
	v_cmp_eq_u32_e32 vcc, 0, v4
	v_and_b32_e32 v3, 0xfc, v3
	v_and_or_b32 v2, v2, 3, v3
	s_and_b64 s[40:41], vcc, s[40:41]
	v_cndmask_b32_e64 v2, v2, 0, s[40:41]
	v_or_b32_e32 v19, v2, v5
.LBB2_3794:                             ;   in Loop: Header=BB2_3018 Depth=4
	s_or_b64 exec, exec, s[48:49]
                                        ; implicit-def: $vgpr5
.LBB2_3795:                             ;   in Loop: Header=BB2_3018 Depth=4
	s_andn2_saveexec_b64 s[40:41], s[38:39]
; %bb.3796:                             ;   in Loop: Header=BB2_3018 Depth=4
	v_or_b32_e32 v19, 0x7b, v5
; %bb.3797:                             ;   in Loop: Header=BB2_3018 Depth=4
	s_or_b64 exec, exec, s[40:41]
                                        ; implicit-def: $vgpr4
                                        ; implicit-def: $vgpr2_vgpr3
.LBB2_3798:                             ;   in Loop: Header=BB2_3018 Depth=4
	s_andn2_saveexec_b64 s[40:41], s[42:43]
	s_cbranch_execz .LBB2_3804
; %bb.3799:                             ;   in Loop: Header=BB2_3018 Depth=4
	v_cmp_ne_u64_e32 vcc, 0, v[2:3]
                                        ; implicit-def: $vgpr19
	s_and_saveexec_b64 s[42:43], vcc
	s_xor_b64 s[42:43], exec, s[42:43]
; %bb.3800:                             ;   in Loop: Header=BB2_3018 Depth=4
	v_or_b32_sdwa v19, v4, s47 dst_sel:DWORD dst_unused:UNUSED_PAD src0_sel:BYTE_3 src1_sel:DWORD
                                        ; implicit-def: $vgpr4
; %bb.3801:                             ;   in Loop: Header=BB2_3018 Depth=4
	s_andn2_saveexec_b64 s[42:43], s[42:43]
; %bb.3802:                             ;   in Loop: Header=BB2_3018 Depth=4
	v_cmp_lt_i32_e32 vcc, -1, v4
	v_cndmask_b32_e32 v19, v6, v22, vcc
; %bb.3803:                             ;   in Loop: Header=BB2_3018 Depth=4
	s_or_b64 exec, exec, s[42:43]
.LBB2_3804:                             ;   in Loop: Header=BB2_3018 Depth=4
	s_or_b64 exec, exec, s[40:41]
	v_and_b32_sdwa v4, v28, s87 dst_sel:DWORD dst_unused:UNUSED_PAD src0_sel:WORD_1 src1_sel:DWORD
	v_lshrrev_b32_e32 v2, 16, v28
	v_cmp_ne_u16_e32 vcc, 0, v4
	v_mov_b32_e32 v3, 0
	s_and_saveexec_b64 s[40:41], vcc
	s_cbranch_execz .LBB2_3812
; %bb.3805:                             ;   in Loop: Header=BB2_3018 Depth=4
	v_cmp_ne_u16_e32 vcc, s96, v4
	v_bfrev_b32_e32 v3, 1
	s_and_saveexec_b64 s[42:43], vcc
	s_cbranch_execz .LBB2_3811
; %bb.3806:                             ;   in Loop: Header=BB2_3018 Depth=4
	v_and_b32_e32 v3, 0x7c0000, v28
	v_bfe_u32 v4, v28, 16, 2
	v_cmp_ne_u32_e32 vcc, s44, v3
                                        ; implicit-def: $vgpr3
	s_and_saveexec_b64 s[38:39], vcc
	s_xor_b64 s[38:39], exec, s[38:39]
	s_cbranch_execz .LBB2_3808
; %bb.3807:                             ;   in Loop: Header=BB2_3018 Depth=4
	v_ffbh_u32_e32 v3, v4
	v_min_u32_e32 v8, 32, v3
	v_subrev_u32_e32 v3, 29, v8
	v_lshlrev_b64 v[2:3], v3, v[2:3]
	v_bfe_u32 v5, v28, 18, 5
	v_and_b32_e32 v2, 3, v2
	v_cmp_eq_u32_e32 vcc, 0, v5
	v_sub_u32_e32 v3, 30, v8
	v_cndmask_b32_e32 v2, v4, v2, vcc
	v_lshlrev_b32_e32 v4, 8, v28
	v_cndmask_b32_e32 v3, v5, v3, vcc
	v_and_b32_e32 v4, 0x80000000, v4
	v_lshl_add_u32 v3, v3, 23, v4
	v_lshl_or_b32 v2, v2, 21, v3
	v_add_u32_e32 v3, 0x38000000, v2
                                        ; implicit-def: $vgpr4
                                        ; implicit-def: $vgpr2
.LBB2_3808:                             ;   in Loop: Header=BB2_3018 Depth=4
	s_andn2_saveexec_b64 s[38:39], s[38:39]
; %bb.3809:                             ;   in Loop: Header=BB2_3018 Depth=4
	v_cmp_gt_i16_sdwa vcc, sext(v2), v48 src0_sel:BYTE_0 src1_sel:DWORD
	v_cndmask_b32_e32 v2, v7, v0, vcc
	v_cmp_eq_u32_e32 vcc, 0, v4
	v_cndmask_b32_e32 v3, v35, v2, vcc
; %bb.3810:                             ;   in Loop: Header=BB2_3018 Depth=4
	s_or_b64 exec, exec, s[38:39]
.LBB2_3811:                             ;   in Loop: Header=BB2_3018 Depth=4
	s_or_b64 exec, exec, s[42:43]
.LBB2_3812:                             ;   in Loop: Header=BB2_3018 Depth=4
	s_or_b64 exec, exec, s[40:41]
	v_lshrrev_b32_e32 v2, 16, v10
	v_cmp_gt_i16_sdwa s[42:43], v2, s47 src0_sel:BYTE_0 src1_sel:DWORD
	s_mov_b64 s[40:41], 0
	s_and_saveexec_b64 vcc, s[42:43]
	s_xor_b64 s[42:43], exec, vcc
	s_cbranch_execz .LBB2_4011
; %bb.3813:                             ;   in Loop: Header=BB2_3018 Depth=4
	v_cmp_eq_u16_sdwa s[38:39], v2, s96 src0_sel:BYTE_0 src1_sel:DWORD
	s_mov_b64 s[40:41], -1
	s_and_saveexec_b64 vcc, s[38:39]
; %bb.3814:                             ;   in Loop: Header=BB2_3018 Depth=4
	s_xor_b64 s[40:41], exec, -1
; %bb.3815:                             ;   in Loop: Header=BB2_3018 Depth=4
	s_or_b64 exec, exec, vcc
	s_and_b64 s[40:41], s[40:41], exec
	s_or_saveexec_b64 s[42:43], s[42:43]
	v_bfrev_b32_e32 v4, 1
	s_xor_b64 exec, exec, s[42:43]
	s_cbranch_execnz .LBB2_4012
.LBB2_3816:                             ;   in Loop: Header=BB2_3018 Depth=4
	s_or_b64 exec, exec, s[42:43]
	s_and_saveexec_b64 s[38:39], s[40:41]
	s_cbranch_execz .LBB2_3818
.LBB2_3817:                             ;   in Loop: Header=BB2_3018 Depth=4
	v_and_b32_e32 v8, 3, v2
	v_and_b32_e32 v4, 0x7c0000, v10
	v_cmp_eq_u32_e32 vcc, s44, v4
	v_ffbh_u32_e32 v4, v8
	v_min_u32_e32 v38, 32, v4
	v_subrev_u32_e32 v4, 29, v38
	v_bfe_u32 v9, v10, 18, 5
	v_lshlrev_b64 v[4:5], v4, v[2:3]
	v_cmp_eq_u32_e64 s[40:41], 0, v9
	v_sub_u32_e32 v5, 30, v38
	v_cndmask_b32_e64 v5, v9, v5, s[40:41]
	v_lshlrev_b32_e32 v9, 24, v2
	v_and_b32_e32 v4, 3, v4
	v_and_b32_e32 v9, 0x80000000, v9
	v_cndmask_b32_e64 v4, v8, v4, s[40:41]
	v_lshl_add_u32 v5, v5, 23, v9
	v_cmp_gt_i16_sdwa s[42:43], sext(v2), v48 src0_sel:BYTE_0 src1_sel:DWORD
	v_lshl_or_b32 v4, v4, 21, v5
	v_cmp_eq_u32_e64 s[40:41], 0, v8
	v_cndmask_b32_e64 v2, v7, v0, s[42:43]
	v_add_u32_e32 v4, 0x38000000, v4
	v_cndmask_b32_e64 v2, v35, v2, s[40:41]
	v_cndmask_b32_e32 v4, v4, v2, vcc
.LBB2_3818:                             ;   in Loop: Header=BB2_3018 Depth=4
	s_or_b64 exec, exec, s[38:39]
	v_add_f32_e32 v4, v3, v4
	v_and_b32_e32 v8, 0x7f800000, v4
	v_mov_b32_e32 v9, v29
	v_cmp_ne_u64_e32 vcc, s[76:77], v[8:9]
	v_and_b32_e32 v2, 0x7fffff, v4
	v_mov_b32_e32 v3, v29
                                        ; implicit-def: $vgpr52
	s_and_saveexec_b64 s[40:41], vcc
	s_xor_b64 s[42:43], exec, s[40:41]
	s_cbranch_execz .LBB2_3832
; %bb.3819:                             ;   in Loop: Header=BB2_3018 Depth=4
	v_and_b32_e32 v8, 0x7fffffff, v4
	v_mov_b32_e32 v9, v29
	v_cmp_gt_u64_e32 vcc, s[78:79], v[8:9]
	v_and_b32_sdwa v5, v4, s96 dst_sel:DWORD dst_unused:UNUSED_PAD src0_sel:BYTE_3 src1_sel:DWORD
                                        ; implicit-def: $vgpr52
	s_and_saveexec_b64 s[40:41], vcc
	s_xor_b64 s[38:39], exec, s[40:41]
	s_cbranch_execz .LBB2_3829
; %bb.3820:                             ;   in Loop: Header=BB2_3018 Depth=4
	v_mov_b32_e32 v52, 0
	v_cmp_ne_u32_e32 vcc, 0, v4
	s_and_saveexec_b64 s[48:49], vcc
	s_cbranch_execz .LBB2_3828
; %bb.3821:                             ;   in Loop: Header=BB2_3018 Depth=4
	v_bfe_u32 v8, v4, 23, 8
	v_cmp_gt_u32_e64 s[40:41], s46, v8
	v_sub_u32_e32 v4, 0x71, v8
	v_cmp_eq_u32_e32 vcc, 0, v8
	v_cndmask_b32_e64 v4, 0, v4, s[40:41]
	v_mov_b32_e32 v9, 0x70
	v_cndmask_b32_e32 v9, v4, v9, vcc
	v_or_b32_e32 v38, 0x800000, v2
	v_add_u32_e32 v4, 21, v9
	v_cndmask_b32_e32 v2, v38, v2, vcc
	v_lshlrev_b64 v[38:39], v4, -1
	v_add_u32_e32 v4, 20, v9
	v_bfi_b32 v38, v38, 0, v2
	v_lshlrev_b64 v[40:41], v4, 1
	v_lshrrev_b64 v[2:3], v9, v[2:3]
	v_bfi_b32 v39, v39, 0, 0
	v_cmp_eq_u64_e64 s[40:41], v[38:39], v[40:41]
	v_mov_b32_e32 v4, v3
	v_mov_b32_e32 v3, v2
	s_and_saveexec_b64 s[50:51], s[40:41]
; %bb.3822:                             ;   in Loop: Header=BB2_3018 Depth=4
	v_bfe_u32 v3, v2, 21, 1
	v_add_co_u32_e64 v3, s[40:41], v2, v3
	v_add_co_u32_e64 v3, s[40:41], -1, v3
; %bb.3823:                             ;   in Loop: Header=BB2_3018 Depth=4
	s_or_b64 exec, exec, s[50:51]
	v_add_u32_e32 v4, 0xffffff81, v8
	v_cndmask_b32_e32 v4, v4, v1, vcc
	v_lshrrev_b32_e32 v8, 23, v2
	v_add3_u32 v9, v9, v4, v8
	v_add_u32_e32 v8, 14, v9
	v_and_b32_e32 v3, 0x1fffff, v3
	v_add_u32_e32 v2, v3, v2
	v_mov_b32_e32 v3, v29
	v_cmp_ne_u32_e32 vcc, 0, v8
                                        ; implicit-def: $vgpr4
	s_and_saveexec_b64 s[40:41], vcc
	s_xor_b64 s[40:41], exec, s[40:41]
; %bb.3824:                             ;   in Loop: Header=BB2_3018 Depth=4
	v_cmp_lt_u64_e32 vcc, s[88:89], v[2:3]
	v_add_u32_e32 v4, 15, v9
	v_cndmask_b32_e32 v4, v8, v4, vcc
	v_cndmask_b32_e64 v8, 0, 1, vcc
	v_lshrrev_b64 v[2:3], v8, v[2:3]
; %bb.3825:                             ;   in Loop: Header=BB2_3018 Depth=4
	s_andn2_saveexec_b64 s[40:41], s[40:41]
; %bb.3826:                             ;   in Loop: Header=BB2_3018 Depth=4
	v_bfe_u32 v4, v2, 23, 1
; %bb.3827:                             ;   in Loop: Header=BB2_3018 Depth=4
	s_or_b64 exec, exec, s[40:41]
	v_lshrrev_b64 v[2:3], 21, v[2:3]
	v_cmp_gt_i32_e32 vcc, 32, v4
	v_cndmask_b32_e32 v3, 0, v3, vcc
	v_cndmask_b32_e32 v2, 3, v2, vcc
	v_cmp_eq_u64_e64 s[40:41], 0, v[2:3]
	v_min_i32_e32 v3, 31, v4
	v_lshlrev_b32_e32 v3, 2, v3
	v_cmp_eq_u32_e32 vcc, 0, v4
	v_and_b32_e32 v3, 0xfc, v3
	v_and_or_b32 v2, v2, 3, v3
	s_and_b64 s[40:41], vcc, s[40:41]
	v_cndmask_b32_e64 v2, v2, 0, s[40:41]
	v_or_b32_e32 v52, v2, v5
.LBB2_3828:                             ;   in Loop: Header=BB2_3018 Depth=4
	s_or_b64 exec, exec, s[48:49]
                                        ; implicit-def: $vgpr5
.LBB2_3829:                             ;   in Loop: Header=BB2_3018 Depth=4
	s_andn2_saveexec_b64 s[40:41], s[38:39]
; %bb.3830:                             ;   in Loop: Header=BB2_3018 Depth=4
	v_or_b32_e32 v52, 0x7b, v5
; %bb.3831:                             ;   in Loop: Header=BB2_3018 Depth=4
	s_or_b64 exec, exec, s[40:41]
                                        ; implicit-def: $vgpr4
                                        ; implicit-def: $vgpr2_vgpr3
.LBB2_3832:                             ;   in Loop: Header=BB2_3018 Depth=4
	s_andn2_saveexec_b64 s[40:41], s[42:43]
	s_cbranch_execz .LBB2_3838
; %bb.3833:                             ;   in Loop: Header=BB2_3018 Depth=4
	v_cmp_ne_u64_e32 vcc, 0, v[2:3]
                                        ; implicit-def: $vgpr52
	s_and_saveexec_b64 s[42:43], vcc
	s_xor_b64 s[42:43], exec, s[42:43]
; %bb.3834:                             ;   in Loop: Header=BB2_3018 Depth=4
	v_or_b32_sdwa v52, v4, s47 dst_sel:DWORD dst_unused:UNUSED_PAD src0_sel:BYTE_3 src1_sel:DWORD
                                        ; implicit-def: $vgpr4
; %bb.3835:                             ;   in Loop: Header=BB2_3018 Depth=4
	s_andn2_saveexec_b64 s[42:43], s[42:43]
; %bb.3836:                             ;   in Loop: Header=BB2_3018 Depth=4
	v_cmp_lt_i32_e32 vcc, -1, v4
	v_cndmask_b32_e32 v52, v6, v22, vcc
; %bb.3837:                             ;   in Loop: Header=BB2_3018 Depth=4
	s_or_b64 exec, exec, s[42:43]
.LBB2_3838:                             ;   in Loop: Header=BB2_3018 Depth=4
	s_or_b64 exec, exec, s[40:41]
	v_cmp_lt_u32_e32 vcc, s57, v28
	v_mov_b32_e32 v3, 0
	s_and_saveexec_b64 s[40:41], vcc
	s_cbranch_execz .LBB2_3846
; %bb.3839:                             ;   in Loop: Header=BB2_3018 Depth=4
	v_lshrrev_b32_e32 v2, 24, v28
	v_cmp_ne_u32_e32 vcc, s96, v2
	v_bfrev_b32_e32 v3, 1
	s_and_saveexec_b64 s[42:43], vcc
	s_cbranch_execz .LBB2_3845
; %bb.3840:                             ;   in Loop: Header=BB2_3018 Depth=4
	v_and_b32_e32 v3, 0x7c000000, v28
	v_bfe_u32 v4, v28, 24, 2
	v_cmp_ne_u32_e32 vcc, s45, v3
                                        ; implicit-def: $vgpr3
	s_and_saveexec_b64 s[38:39], vcc
	s_xor_b64 s[38:39], exec, s[38:39]
	s_cbranch_execz .LBB2_3842
; %bb.3841:                             ;   in Loop: Header=BB2_3018 Depth=4
	v_ffbh_u32_e32 v3, v4
	v_min_u32_e32 v8, 32, v3
	v_subrev_u32_e32 v3, 29, v8
	v_lshlrev_b64 v[2:3], v3, v[2:3]
	v_bfe_u32 v5, v28, 26, 5
	v_sub_u32_e32 v3, 30, v8
	v_and_b32_e32 v2, 3, v2
	v_cmp_eq_u32_e32 vcc, 0, v5
	v_cndmask_b32_e32 v3, v5, v3, vcc
	v_cndmask_b32_e32 v2, v4, v2, vcc
	v_and_b32_e32 v4, 0x80000000, v28
	v_lshl_add_u32 v3, v3, 23, v4
	v_lshl_or_b32 v2, v2, 21, v3
	v_add_u32_e32 v3, 0x38000000, v2
                                        ; implicit-def: $vgpr4
.LBB2_3842:                             ;   in Loop: Header=BB2_3018 Depth=4
	s_andn2_saveexec_b64 s[38:39], s[38:39]
; %bb.3843:                             ;   in Loop: Header=BB2_3018 Depth=4
	v_cmp_lt_i32_e32 vcc, -1, v28
	v_cndmask_b32_e32 v2, v7, v0, vcc
	v_cmp_eq_u32_e32 vcc, 0, v4
	v_cndmask_b32_e32 v3, v35, v2, vcc
; %bb.3844:                             ;   in Loop: Header=BB2_3018 Depth=4
	s_or_b64 exec, exec, s[38:39]
.LBB2_3845:                             ;   in Loop: Header=BB2_3018 Depth=4
	s_or_b64 exec, exec, s[42:43]
.LBB2_3846:                             ;   in Loop: Header=BB2_3018 Depth=4
	s_or_b64 exec, exec, s[40:41]
	v_bfe_u32 v8, v10, 24, 2
	v_and_b32_e32 v4, 0x7c000000, v10
	v_cmp_eq_u32_e32 vcc, s45, v4
	v_ffbh_u32_e32 v4, v8
	v_min_u32_e32 v28, 32, v4
	v_lshrrev_b32_e32 v2, 24, v10
	v_subrev_u32_e32 v4, 29, v28
	v_bfe_u32 v9, v10, 26, 5
	v_lshlrev_b64 v[4:5], v4, v[2:3]
	v_cmp_eq_u32_e64 s[40:41], 0, v9
	v_sub_u32_e32 v5, 30, v28
	v_and_b32_e32 v4, 3, v4
	v_cndmask_b32_e64 v5, v9, v5, s[40:41]
	v_and_b32_e32 v9, 0x80000000, v10
	v_cndmask_b32_e64 v4, v8, v4, s[40:41]
	v_lshl_add_u32 v5, v5, 23, v9
	v_cmp_lt_i32_e64 s[42:43], -1, v10
	v_lshl_or_b32 v4, v4, 21, v5
	v_cmp_eq_u32_e64 s[40:41], 0, v8
	v_cndmask_b32_e64 v5, v7, v0, s[42:43]
	v_add_u32_e32 v4, 0x38000000, v4
	v_cndmask_b32_e64 v5, v35, v5, s[40:41]
	v_cndmask_b32_e32 v4, v4, v5, vcc
	v_cmp_ne_u32_e32 vcc, s96, v2
	v_bfrev_b32_e32 v2, 1
	v_cndmask_b32_e32 v2, v2, v4, vcc
	v_cmp_lt_u32_e32 vcc, s57, v10
	v_cndmask_b32_e32 v2, 0, v2, vcc
	v_add_f32_e32 v2, v2, v3
	v_and_b32_e32 v3, 0x7f800000, v2
	v_mov_b32_e32 v4, v29
	v_cmp_ne_u64_e32 vcc, s[76:77], v[3:4]
	v_and_b32_e32 v28, 0x7fffff, v2
                                        ; implicit-def: $vgpr59
	s_and_saveexec_b64 s[40:41], vcc
	s_xor_b64 s[42:43], exec, s[40:41]
	s_cbranch_execz .LBB2_3860
; %bb.3847:                             ;   in Loop: Header=BB2_3018 Depth=4
	v_and_b32_e32 v3, 0x7fffffff, v2
	v_mov_b32_e32 v4, v29
	v_cmp_gt_u64_e32 vcc, s[78:79], v[3:4]
	v_and_b32_sdwa v5, v2, s96 dst_sel:DWORD dst_unused:UNUSED_PAD src0_sel:BYTE_3 src1_sel:DWORD
                                        ; implicit-def: $vgpr59
	s_and_saveexec_b64 s[40:41], vcc
	s_xor_b64 s[38:39], exec, s[40:41]
	s_cbranch_execz .LBB2_3857
; %bb.3848:                             ;   in Loop: Header=BB2_3018 Depth=4
	v_mov_b32_e32 v59, 0
	v_cmp_ne_u32_e32 vcc, 0, v2
	s_and_saveexec_b64 s[48:49], vcc
	s_cbranch_execz .LBB2_3856
; %bb.3849:                             ;   in Loop: Header=BB2_3018 Depth=4
	v_bfe_u32 v8, v2, 23, 8
	v_cmp_gt_u32_e64 s[40:41], s46, v8
	v_sub_u32_e32 v2, 0x71, v8
	v_cmp_eq_u32_e32 vcc, 0, v8
	v_cndmask_b32_e64 v2, 0, v2, s[40:41]
	v_mov_b32_e32 v4, 0x70
	v_cndmask_b32_e32 v9, v2, v4, vcc
	v_or_b32_e32 v3, 0x800000, v28
	v_add_u32_e32 v2, 21, v9
	v_cndmask_b32_e32 v28, v3, v28, vcc
	v_lshlrev_b64 v[2:3], v2, -1
	v_add_u32_e32 v4, 20, v9
	v_lshlrev_b64 v[38:39], v4, 1
	v_bfi_b32 v3, v3, 0, 0
	v_bfi_b32 v2, v2, 0, v28
	v_cmp_eq_u64_e64 s[40:41], v[2:3], v[38:39]
	v_lshrrev_b64 v[2:3], v9, v[28:29]
	v_mov_b32_e32 v4, v3
	v_mov_b32_e32 v3, v2
	s_and_saveexec_b64 s[50:51], s[40:41]
; %bb.3850:                             ;   in Loop: Header=BB2_3018 Depth=4
	v_bfe_u32 v3, v2, 21, 1
	v_add_co_u32_e64 v3, s[40:41], v2, v3
	v_add_co_u32_e64 v3, s[40:41], -1, v3
; %bb.3851:                             ;   in Loop: Header=BB2_3018 Depth=4
	s_or_b64 exec, exec, s[50:51]
	v_add_u32_e32 v4, 0xffffff81, v8
	v_cndmask_b32_e32 v4, v4, v1, vcc
	v_lshrrev_b32_e32 v8, 23, v2
	v_add3_u32 v9, v9, v4, v8
	v_add_u32_e32 v8, 14, v9
	v_and_b32_e32 v3, 0x1fffff, v3
	v_add_u32_e32 v28, v3, v2
	v_cmp_ne_u32_e32 vcc, 0, v8
                                        ; implicit-def: $vgpr2_vgpr3
                                        ; implicit-def: $vgpr4
	s_and_saveexec_b64 s[40:41], vcc
	s_xor_b64 s[40:41], exec, s[40:41]
; %bb.3852:                             ;   in Loop: Header=BB2_3018 Depth=4
	v_cmp_lt_u64_e32 vcc, s[88:89], v[28:29]
	v_add_u32_e32 v2, 15, v9
	v_cndmask_b32_e32 v4, v8, v2, vcc
	v_cndmask_b32_e64 v2, 0, 1, vcc
	v_lshrrev_b64 v[2:3], v2, v[28:29]
; %bb.3853:                             ;   in Loop: Header=BB2_3018 Depth=4
	s_andn2_saveexec_b64 s[40:41], s[40:41]
; %bb.3854:                             ;   in Loop: Header=BB2_3018 Depth=4
	v_mov_b32_e32 v2, v28
	v_bfe_u32 v4, v28, 23, 1
	v_mov_b32_e32 v3, v29
; %bb.3855:                             ;   in Loop: Header=BB2_3018 Depth=4
	s_or_b64 exec, exec, s[40:41]
	v_lshrrev_b64 v[2:3], 21, v[2:3]
	v_cmp_gt_i32_e32 vcc, 32, v4
	v_cndmask_b32_e32 v3, 0, v3, vcc
	v_cndmask_b32_e32 v2, 3, v2, vcc
	v_cmp_eq_u64_e64 s[40:41], 0, v[2:3]
	v_min_i32_e32 v3, 31, v4
	v_lshlrev_b32_e32 v3, 2, v3
	v_cmp_eq_u32_e32 vcc, 0, v4
	v_and_b32_e32 v3, 0xfc, v3
	v_and_or_b32 v2, v2, 3, v3
	s_and_b64 s[40:41], vcc, s[40:41]
	v_cndmask_b32_e64 v2, v2, 0, s[40:41]
	v_or_b32_e32 v59, v2, v5
.LBB2_3856:                             ;   in Loop: Header=BB2_3018 Depth=4
	s_or_b64 exec, exec, s[48:49]
                                        ; implicit-def: $vgpr5
.LBB2_3857:                             ;   in Loop: Header=BB2_3018 Depth=4
	s_andn2_saveexec_b64 s[40:41], s[38:39]
; %bb.3858:                             ;   in Loop: Header=BB2_3018 Depth=4
	v_or_b32_e32 v59, 0x7b, v5
; %bb.3859:                             ;   in Loop: Header=BB2_3018 Depth=4
	s_or_b64 exec, exec, s[40:41]
                                        ; implicit-def: $vgpr2
.LBB2_3860:                             ;   in Loop: Header=BB2_3018 Depth=4
	s_andn2_saveexec_b64 s[40:41], s[42:43]
	s_cbranch_execz .LBB2_3866
; %bb.3861:                             ;   in Loop: Header=BB2_3018 Depth=4
	v_cmp_ne_u64_e32 vcc, 0, v[28:29]
                                        ; implicit-def: $vgpr59
	s_and_saveexec_b64 s[42:43], vcc
	s_xor_b64 s[42:43], exec, s[42:43]
; %bb.3862:                             ;   in Loop: Header=BB2_3018 Depth=4
	v_or_b32_sdwa v59, v2, s47 dst_sel:DWORD dst_unused:UNUSED_PAD src0_sel:BYTE_3 src1_sel:DWORD
                                        ; implicit-def: $vgpr2
; %bb.3863:                             ;   in Loop: Header=BB2_3018 Depth=4
	s_andn2_saveexec_b64 s[42:43], s[42:43]
; %bb.3864:                             ;   in Loop: Header=BB2_3018 Depth=4
	v_cmp_lt_i32_e32 vcc, -1, v2
	v_cndmask_b32_e32 v59, v6, v22, vcc
; %bb.3865:                             ;   in Loop: Header=BB2_3018 Depth=4
	s_or_b64 exec, exec, s[42:43]
.LBB2_3866:                             ;   in Loop: Header=BB2_3018 Depth=4
	s_or_b64 exec, exec, s[40:41]
	v_lshlrev_b32_e32 v2, 24, v60
	v_lshlrev_b32_e32 v3, 16, v58
	v_lshl_or_b32 v49, v53, 8, v37
	v_or3_b32 v28, v3, v2, v49
	v_cmp_ne_u32_e32 vcc, 0, v37
	v_mov_b32_e32 v2, 0
	s_and_saveexec_b64 s[42:43], vcc
	s_cbranch_execz .LBB2_3874
; %bb.3867:                             ;   in Loop: Header=BB2_3018 Depth=4
	v_cmp_ne_u32_e32 vcc, s96, v37
	v_bfrev_b32_e32 v2, 1
	s_and_saveexec_b64 s[38:39], vcc
	s_cbranch_execz .LBB2_3873
; %bb.3868:                             ;   in Loop: Header=BB2_3018 Depth=4
	v_and_b32_e32 v2, 0x7c, v37
	v_and_b32_e32 v3, 3, v37
	v_cmp_ne_u32_e32 vcc, s85, v2
                                        ; implicit-def: $vgpr2
	s_and_saveexec_b64 s[40:41], vcc
	s_xor_b64 s[40:41], exec, s[40:41]
	s_cbranch_execz .LBB2_3870
; %bb.3869:                             ;   in Loop: Header=BB2_3018 Depth=4
	v_ffbh_u32_e32 v4, v3
	v_min_u32_e32 v8, 32, v4
	v_subrev_u32_e32 v4, 29, v8
	v_lshlrev_b64 v[4:5], v4, v[28:29]
	v_bfe_u32 v2, v37, 2, 5
	v_and_b32_e32 v4, 3, v4
	v_cmp_eq_u32_e32 vcc, 0, v2
	v_sub_u32_e32 v5, 30, v8
	v_cndmask_b32_e32 v3, v3, v4, vcc
	v_lshlrev_b32_e32 v4, 24, v37
	v_cndmask_b32_e32 v2, v2, v5, vcc
	v_and_b32_e32 v4, 0x80000000, v4
	v_lshl_add_u32 v2, v2, 23, v4
	v_lshl_or_b32 v2, v3, 21, v2
	v_add_u32_e32 v2, 0x38000000, v2
                                        ; implicit-def: $vgpr3
                                        ; implicit-def: $vgpr37
.LBB2_3870:                             ;   in Loop: Header=BB2_3018 Depth=4
	s_andn2_saveexec_b64 s[48:49], s[40:41]
; %bb.3871:                             ;   in Loop: Header=BB2_3018 Depth=4
	v_and_b32_e32 v2, 0x80, v37
	v_cmp_eq_u32_e64 s[40:41], 0, v2
	v_cmp_eq_u32_e32 vcc, 0, v3
	v_cndmask_b32_e64 v2, v7, v0, s[40:41]
	v_cndmask_b32_e32 v2, v35, v2, vcc
; %bb.3872:                             ;   in Loop: Header=BB2_3018 Depth=4
	s_or_b64 exec, exec, s[48:49]
.LBB2_3873:                             ;   in Loop: Header=BB2_3018 Depth=4
	s_or_b64 exec, exec, s[38:39]
.LBB2_3874:                             ;   in Loop: Header=BB2_3018 Depth=4
	s_or_b64 exec, exec, s[42:43]
	v_cmp_gt_i16_sdwa s[42:43], v11, s47 src0_sel:BYTE_0 src1_sel:DWORD
	s_mov_b64 s[40:41], 0
	s_and_saveexec_b64 vcc, s[42:43]
	s_xor_b64 s[42:43], exec, vcc
	s_cbranch_execz .LBB2_3878
; %bb.3875:                             ;   in Loop: Header=BB2_3018 Depth=4
	v_cmp_eq_u16_sdwa s[38:39], v11, s96 src0_sel:BYTE_0 src1_sel:DWORD
	s_mov_b64 s[40:41], -1
	s_and_saveexec_b64 vcc, s[38:39]
; %bb.3876:                             ;   in Loop: Header=BB2_3018 Depth=4
	s_xor_b64 s[40:41], exec, -1
; %bb.3877:                             ;   in Loop: Header=BB2_3018 Depth=4
	s_or_b64 exec, exec, vcc
	s_and_b64 s[40:41], s[40:41], exec
.LBB2_3878:                             ;   in Loop: Header=BB2_3018 Depth=4
	s_or_saveexec_b64 s[42:43], s[42:43]
	v_bfrev_b32_e32 v3, 1
	s_xor_b64 exec, exec, s[42:43]
; %bb.3879:                             ;   in Loop: Header=BB2_3018 Depth=4
	v_cmp_ne_u16_sdwa vcc, v11, v29 src0_sel:BYTE_0 src1_sel:DWORD
	s_andn2_b64 s[40:41], s[40:41], exec
	s_and_b64 vcc, vcc, exec
	v_mov_b32_e32 v3, 0
	s_or_b64 s[40:41], s[40:41], vcc
; %bb.3880:                             ;   in Loop: Header=BB2_3018 Depth=4
	s_or_b64 exec, exec, s[42:43]
	v_mov_b32_e32 v4, v11
	v_mov_b32_e32 v5, v29
	s_and_saveexec_b64 s[38:39], s[40:41]
	s_cbranch_execz .LBB2_3882
; %bb.3881:                             ;   in Loop: Header=BB2_3018 Depth=4
	v_and_b32_e32 v3, 3, v11
	v_and_b32_e32 v8, 0x7c, v11
	v_cmp_eq_u32_e32 vcc, s85, v8
	v_ffbh_u32_e32 v8, v3
	v_min_u32_e32 v38, 32, v8
	v_subrev_u32_e32 v8, 29, v38
	v_bfe_u32 v37, v11, 2, 5
	v_lshlrev_b64 v[8:9], v8, v[4:5]
	v_cmp_eq_u32_e64 s[40:41], 0, v37
	v_sub_u32_e32 v5, 30, v38
	v_lshlrev_b32_e32 v9, 24, v11
	v_and_b32_e32 v8, 3, v8
	v_cndmask_b32_e64 v5, v37, v5, s[40:41]
	v_and_b32_e32 v9, 0x80000000, v9
	v_cndmask_b32_e64 v8, v3, v8, s[40:41]
	v_lshl_add_u32 v5, v5, 23, v9
	v_cmp_gt_i16_sdwa s[42:43], sext(v11), v48 src0_sel:BYTE_0 src1_sel:DWORD
	v_lshl_or_b32 v5, v8, 21, v5
	v_cmp_eq_u32_e64 s[40:41], 0, v3
	v_cndmask_b32_e64 v3, v7, v0, s[42:43]
	v_add_u32_e32 v5, 0x38000000, v5
	v_cndmask_b32_e64 v3, v35, v3, s[40:41]
	v_cndmask_b32_e32 v3, v5, v3, vcc
.LBB2_3882:                             ;   in Loop: Header=BB2_3018 Depth=4
	s_or_b64 exec, exec, s[38:39]
	v_add_f32_e32 v8, v2, v3
	v_and_b32_e32 v37, 0x7f800000, v8
	v_mov_b32_e32 v38, v29
	v_cmp_ne_u64_e32 vcc, s[76:77], v[37:38]
	v_and_b32_e32 v2, 0x7fffff, v8
	v_mov_b32_e32 v3, v29
                                        ; implicit-def: $vgpr5
	s_and_saveexec_b64 s[40:41], vcc
	s_xor_b64 s[42:43], exec, s[40:41]
	s_cbranch_execz .LBB2_3896
; %bb.3883:                             ;   in Loop: Header=BB2_3018 Depth=4
	v_and_b32_e32 v37, 0x7fffffff, v8
	v_mov_b32_e32 v38, v29
	v_cmp_gt_u64_e32 vcc, s[78:79], v[37:38]
	v_and_b32_sdwa v37, v8, s96 dst_sel:DWORD dst_unused:UNUSED_PAD src0_sel:BYTE_3 src1_sel:DWORD
                                        ; implicit-def: $vgpr5
	s_and_saveexec_b64 s[40:41], vcc
	s_xor_b64 s[38:39], exec, s[40:41]
	s_cbranch_execz .LBB2_3893
; %bb.3884:                             ;   in Loop: Header=BB2_3018 Depth=4
	v_mov_b32_e32 v5, 0
	v_cmp_ne_u32_e32 vcc, 0, v8
	s_and_saveexec_b64 s[48:49], vcc
	s_cbranch_execz .LBB2_3892
; %bb.3885:                             ;   in Loop: Header=BB2_3018 Depth=4
	v_bfe_u32 v5, v8, 23, 8
	v_cmp_gt_u32_e64 s[40:41], s46, v5
	v_sub_u32_e32 v8, 0x71, v5
	v_cmp_eq_u32_e32 vcc, 0, v5
	v_cndmask_b32_e64 v8, 0, v8, s[40:41]
	v_mov_b32_e32 v38, 0x70
	v_cndmask_b32_e32 v53, v8, v38, vcc
	v_or_b32_e32 v9, 0x800000, v2
	v_add_u32_e32 v8, 21, v53
	v_cndmask_b32_e32 v2, v9, v2, vcc
	v_lshlrev_b64 v[8:9], v8, -1
	v_add_u32_e32 v38, 20, v53
	v_bfi_b32 v8, v8, 0, v2
	v_lshlrev_b64 v[38:39], v38, 1
	v_lshrrev_b64 v[2:3], v53, v[2:3]
	v_bfi_b32 v9, v9, 0, 0
	v_cmp_eq_u64_e64 s[40:41], v[8:9], v[38:39]
	v_mov_b32_e32 v9, v3
	v_mov_b32_e32 v8, v2
	s_and_saveexec_b64 s[50:51], s[40:41]
; %bb.3886:                             ;   in Loop: Header=BB2_3018 Depth=4
	v_bfe_u32 v3, v2, 21, 1
	v_add_co_u32_e64 v3, s[40:41], v2, v3
	v_add_co_u32_e64 v8, s[40:41], -1, v3
; %bb.3887:                             ;   in Loop: Header=BB2_3018 Depth=4
	s_or_b64 exec, exec, s[50:51]
	v_add_u32_e32 v3, 0xffffff81, v5
	v_cndmask_b32_e32 v3, v3, v1, vcc
	v_lshrrev_b32_e32 v5, 23, v2
	v_add3_u32 v53, v53, v3, v5
	v_add_u32_e32 v9, 14, v53
	v_and_b32_e32 v3, 0x1fffff, v8
	v_add_u32_e32 v2, v3, v2
	v_mov_b32_e32 v3, v29
	v_cmp_ne_u32_e32 vcc, 0, v9
                                        ; implicit-def: $vgpr5
	s_and_saveexec_b64 s[40:41], vcc
	s_xor_b64 s[40:41], exec, s[40:41]
; %bb.3888:                             ;   in Loop: Header=BB2_3018 Depth=4
	v_cmp_lt_u64_e32 vcc, s[88:89], v[2:3]
	v_add_u32_e32 v5, 15, v53
	v_cndmask_b32_e64 v8, 0, 1, vcc
	v_cndmask_b32_e32 v5, v9, v5, vcc
	v_lshrrev_b64 v[2:3], v8, v[2:3]
; %bb.3889:                             ;   in Loop: Header=BB2_3018 Depth=4
	s_andn2_saveexec_b64 s[40:41], s[40:41]
; %bb.3890:                             ;   in Loop: Header=BB2_3018 Depth=4
	v_bfe_u32 v5, v2, 23, 1
; %bb.3891:                             ;   in Loop: Header=BB2_3018 Depth=4
	s_or_b64 exec, exec, s[40:41]
	v_lshrrev_b64 v[2:3], 21, v[2:3]
	v_cmp_gt_i32_e32 vcc, 32, v5
	v_cndmask_b32_e32 v3, 0, v3, vcc
	v_cndmask_b32_e32 v2, 3, v2, vcc
	v_cmp_eq_u64_e64 s[40:41], 0, v[2:3]
	v_min_i32_e32 v3, 31, v5
	v_lshlrev_b32_e32 v3, 2, v3
	v_cmp_eq_u32_e32 vcc, 0, v5
	v_and_b32_e32 v3, 0xfc, v3
	v_and_or_b32 v2, v2, 3, v3
	s_and_b64 s[40:41], vcc, s[40:41]
	v_cndmask_b32_e64 v2, v2, 0, s[40:41]
	v_or_b32_e32 v5, v2, v37
.LBB2_3892:                             ;   in Loop: Header=BB2_3018 Depth=4
	s_or_b64 exec, exec, s[48:49]
                                        ; implicit-def: $vgpr37
.LBB2_3893:                             ;   in Loop: Header=BB2_3018 Depth=4
	s_andn2_saveexec_b64 s[40:41], s[38:39]
; %bb.3894:                             ;   in Loop: Header=BB2_3018 Depth=4
	v_or_b32_e32 v5, 0x7b, v37
; %bb.3895:                             ;   in Loop: Header=BB2_3018 Depth=4
	s_or_b64 exec, exec, s[40:41]
                                        ; implicit-def: $vgpr8
                                        ; implicit-def: $vgpr2_vgpr3
.LBB2_3896:                             ;   in Loop: Header=BB2_3018 Depth=4
	s_andn2_saveexec_b64 s[40:41], s[42:43]
	s_cbranch_execz .LBB2_3902
; %bb.3897:                             ;   in Loop: Header=BB2_3018 Depth=4
	v_cmp_ne_u64_e32 vcc, 0, v[2:3]
                                        ; implicit-def: $vgpr5
	s_and_saveexec_b64 s[42:43], vcc
	s_xor_b64 s[42:43], exec, s[42:43]
; %bb.3898:                             ;   in Loop: Header=BB2_3018 Depth=4
	v_or_b32_sdwa v5, v8, s47 dst_sel:DWORD dst_unused:UNUSED_PAD src0_sel:BYTE_3 src1_sel:DWORD
                                        ; implicit-def: $vgpr8
; %bb.3899:                             ;   in Loop: Header=BB2_3018 Depth=4
	s_andn2_saveexec_b64 s[42:43], s[42:43]
; %bb.3900:                             ;   in Loop: Header=BB2_3018 Depth=4
	v_cmp_lt_i32_e32 vcc, -1, v8
	v_cndmask_b32_e32 v5, v6, v22, vcc
; %bb.3901:                             ;   in Loop: Header=BB2_3018 Depth=4
	s_or_b64 exec, exec, s[42:43]
.LBB2_3902:                             ;   in Loop: Header=BB2_3018 Depth=4
	s_or_b64 exec, exec, s[40:41]
	v_lshrrev_b16_e32 v2, 8, v49
	v_cmp_ne_u16_e32 vcc, 0, v2
	v_mov_b32_e32 v8, 0
	s_and_saveexec_b64 s[40:41], vcc
	s_cbranch_execz .LBB2_3910
; %bb.3903:                             ;   in Loop: Header=BB2_3018 Depth=4
	v_cmp_ne_u16_e32 vcc, s96, v2
	v_bfrev_b32_e32 v8, 1
	s_and_saveexec_b64 s[42:43], vcc
	s_cbranch_execz .LBB2_3909
; %bb.3904:                             ;   in Loop: Header=BB2_3018 Depth=4
	v_and_b32_e32 v3, 0x7c, v2
	v_and_b32_e32 v9, 3, v2
	v_cmp_ne_u32_e32 vcc, s85, v3
                                        ; implicit-def: $vgpr8
	s_and_saveexec_b64 s[38:39], vcc
	s_xor_b64 s[38:39], exec, s[38:39]
	s_cbranch_execz .LBB2_3906
; %bb.3905:                             ;   in Loop: Header=BB2_3018 Depth=4
	v_ffbh_u32_e32 v37, v9
	v_min_u32_e32 v37, 32, v37
	v_mov_b32_e32 v3, v29
	v_subrev_u32_e32 v38, 29, v37
	v_bfe_u32 v8, v2, 2, 5
	v_lshlrev_b64 v[2:3], v38, v[2:3]
	v_sub_u32_e32 v3, 30, v37
	v_cmp_eq_u32_e32 vcc, 0, v8
	v_cndmask_b32_e32 v3, v8, v3, vcc
	v_lshlrev_b32_e32 v8, 16, v49
	v_and_b32_e32 v2, 3, v2
	v_and_b32_e32 v8, 0x80000000, v8
	v_cndmask_b32_e32 v2, v9, v2, vcc
	v_lshl_add_u32 v3, v3, 23, v8
	v_lshl_or_b32 v2, v2, 21, v3
	v_add_u32_e32 v8, 0x38000000, v2
                                        ; implicit-def: $vgpr9
                                        ; implicit-def: $vgpr49
.LBB2_3906:                             ;   in Loop: Header=BB2_3018 Depth=4
	s_andn2_saveexec_b64 s[38:39], s[38:39]
; %bb.3907:                             ;   in Loop: Header=BB2_3018 Depth=4
	v_cmp_lt_i16_e32 vcc, -1, v49
	v_cndmask_b32_e32 v2, v7, v0, vcc
	v_cmp_eq_u32_e32 vcc, 0, v9
	v_cndmask_b32_e32 v8, v35, v2, vcc
; %bb.3908:                             ;   in Loop: Header=BB2_3018 Depth=4
	s_or_b64 exec, exec, s[38:39]
.LBB2_3909:                             ;   in Loop: Header=BB2_3018 Depth=4
	s_or_b64 exec, exec, s[42:43]
.LBB2_3910:                             ;   in Loop: Header=BB2_3018 Depth=4
	s_or_b64 exec, exec, s[40:41]
	v_lshrrev_b16_e32 v2, 8, v4
	v_cmp_lt_i16_e32 vcc, s47, v2
	s_mov_b64 s[40:41], 0
	s_and_saveexec_b64 s[42:43], vcc
	s_xor_b64 s[42:43], exec, s[42:43]
	s_cbranch_execz .LBB2_4013
; %bb.3911:                             ;   in Loop: Header=BB2_3018 Depth=4
	v_cmp_eq_u16_e32 vcc, s96, v2
	s_mov_b64 s[40:41], -1
	s_and_saveexec_b64 s[38:39], vcc
; %bb.3912:                             ;   in Loop: Header=BB2_3018 Depth=4
	s_xor_b64 s[40:41], exec, -1
; %bb.3913:                             ;   in Loop: Header=BB2_3018 Depth=4
	s_or_b64 exec, exec, s[38:39]
	s_and_b64 s[40:41], s[40:41], exec
	s_or_saveexec_b64 s[42:43], s[42:43]
	v_bfrev_b32_e32 v3, 1
	s_xor_b64 exec, exec, s[42:43]
	s_cbranch_execnz .LBB2_4014
.LBB2_3914:                             ;   in Loop: Header=BB2_3018 Depth=4
	s_or_b64 exec, exec, s[42:43]
	s_and_saveexec_b64 s[38:39], s[40:41]
	s_cbranch_execz .LBB2_3916
.LBB2_3915:                             ;   in Loop: Header=BB2_3018 Depth=4
	v_and_b32_e32 v9, 3, v2
	v_and_b32_e32 v37, 0x7c, v2
	v_cmp_eq_u32_e32 vcc, s85, v37
	v_ffbh_u32_e32 v37, v9
	v_min_u32_e32 v49, 32, v37
	v_mov_b32_e32 v3, v29
	v_subrev_u32_e32 v37, 29, v49
	v_bfe_u32 v39, v2, 2, 5
	v_lshlrev_b64 v[37:38], v37, v[2:3]
	v_cmp_eq_u32_e64 s[40:41], 0, v39
	v_sub_u32_e32 v3, 30, v49
	v_lshlrev_b32_e32 v2, 24, v2
	v_and_b32_e32 v37, 3, v37
	v_cndmask_b32_e64 v3, v39, v3, s[40:41]
	v_and_b32_e32 v2, 0x80000000, v2
	v_cndmask_b32_e64 v37, v9, v37, s[40:41]
	v_lshl_add_u32 v2, v3, 23, v2
	v_cmp_lt_i16_e64 s[42:43], -1, v4
	v_lshl_or_b32 v2, v37, 21, v2
	v_cmp_eq_u32_e64 s[40:41], 0, v9
	v_cndmask_b32_e64 v3, v7, v0, s[42:43]
	v_add_u32_e32 v2, 0x38000000, v2
	v_cndmask_b32_e64 v3, v35, v3, s[40:41]
	v_cndmask_b32_e32 v3, v2, v3, vcc
.LBB2_3916:                             ;   in Loop: Header=BB2_3018 Depth=4
	s_or_b64 exec, exec, s[38:39]
	v_add_f32_e32 v4, v8, v3
	v_and_b32_e32 v8, 0x7f800000, v4
	v_mov_b32_e32 v9, v29
	v_cmp_ne_u64_e32 vcc, s[76:77], v[8:9]
	v_and_b32_e32 v2, 0x7fffff, v4
	v_mov_b32_e32 v3, v29
                                        ; implicit-def: $vgpr8
	s_and_saveexec_b64 s[40:41], vcc
	s_xor_b64 s[42:43], exec, s[40:41]
	s_cbranch_execz .LBB2_3930
; %bb.3917:                             ;   in Loop: Header=BB2_3018 Depth=4
	v_and_b32_e32 v8, 0x7fffffff, v4
	v_mov_b32_e32 v9, v29
	v_cmp_gt_u64_e32 vcc, s[78:79], v[8:9]
	v_and_b32_sdwa v9, v4, s96 dst_sel:DWORD dst_unused:UNUSED_PAD src0_sel:BYTE_3 src1_sel:DWORD
                                        ; implicit-def: $vgpr8
	s_and_saveexec_b64 s[40:41], vcc
	s_xor_b64 s[38:39], exec, s[40:41]
	s_cbranch_execz .LBB2_3927
; %bb.3918:                             ;   in Loop: Header=BB2_3018 Depth=4
	v_mov_b32_e32 v8, 0
	v_cmp_ne_u32_e32 vcc, 0, v4
	s_and_saveexec_b64 s[48:49], vcc
	s_cbranch_execz .LBB2_3926
; %bb.3919:                             ;   in Loop: Header=BB2_3018 Depth=4
	v_bfe_u32 v8, v4, 23, 8
	v_cmp_gt_u32_e64 s[40:41], s46, v8
	v_sub_u32_e32 v4, 0x71, v8
	v_cmp_eq_u32_e32 vcc, 0, v8
	v_cndmask_b32_e64 v4, 0, v4, s[40:41]
	v_mov_b32_e32 v37, 0x70
	v_cndmask_b32_e32 v37, v4, v37, vcc
	v_or_b32_e32 v38, 0x800000, v2
	v_add_u32_e32 v4, 21, v37
	v_cndmask_b32_e32 v2, v38, v2, vcc
	v_lshlrev_b64 v[38:39], v4, -1
	v_add_u32_e32 v4, 20, v37
	v_bfi_b32 v38, v38, 0, v2
	v_lshlrev_b64 v[40:41], v4, 1
	v_lshrrev_b64 v[2:3], v37, v[2:3]
	v_bfi_b32 v39, v39, 0, 0
	v_cmp_eq_u64_e64 s[40:41], v[38:39], v[40:41]
	v_mov_b32_e32 v4, v3
	v_mov_b32_e32 v3, v2
	s_and_saveexec_b64 s[50:51], s[40:41]
; %bb.3920:                             ;   in Loop: Header=BB2_3018 Depth=4
	v_bfe_u32 v3, v2, 21, 1
	v_add_co_u32_e64 v3, s[40:41], v2, v3
	v_add_co_u32_e64 v3, s[40:41], -1, v3
; %bb.3921:                             ;   in Loop: Header=BB2_3018 Depth=4
	s_or_b64 exec, exec, s[50:51]
	v_add_u32_e32 v4, 0xffffff81, v8
	v_cndmask_b32_e32 v4, v4, v1, vcc
	v_lshrrev_b32_e32 v8, 23, v2
	v_add3_u32 v37, v37, v4, v8
	v_add_u32_e32 v8, 14, v37
	v_and_b32_e32 v3, 0x1fffff, v3
	v_add_u32_e32 v2, v3, v2
	v_mov_b32_e32 v3, v29
	v_cmp_ne_u32_e32 vcc, 0, v8
                                        ; implicit-def: $vgpr4
	s_and_saveexec_b64 s[40:41], vcc
	s_xor_b64 s[40:41], exec, s[40:41]
; %bb.3922:                             ;   in Loop: Header=BB2_3018 Depth=4
	v_cmp_lt_u64_e32 vcc, s[88:89], v[2:3]
	v_add_u32_e32 v4, 15, v37
	v_cndmask_b32_e32 v4, v8, v4, vcc
	v_cndmask_b32_e64 v8, 0, 1, vcc
	v_lshrrev_b64 v[2:3], v8, v[2:3]
; %bb.3923:                             ;   in Loop: Header=BB2_3018 Depth=4
	s_andn2_saveexec_b64 s[40:41], s[40:41]
; %bb.3924:                             ;   in Loop: Header=BB2_3018 Depth=4
	v_bfe_u32 v4, v2, 23, 1
; %bb.3925:                             ;   in Loop: Header=BB2_3018 Depth=4
	s_or_b64 exec, exec, s[40:41]
	v_lshrrev_b64 v[2:3], 21, v[2:3]
	v_cmp_gt_i32_e32 vcc, 32, v4
	v_cndmask_b32_e32 v3, 0, v3, vcc
	v_cndmask_b32_e32 v2, 3, v2, vcc
	v_cmp_eq_u64_e64 s[40:41], 0, v[2:3]
	v_min_i32_e32 v3, 31, v4
	v_lshlrev_b32_e32 v3, 2, v3
	v_cmp_eq_u32_e32 vcc, 0, v4
	v_and_b32_e32 v3, 0xfc, v3
	v_and_or_b32 v2, v2, 3, v3
	s_and_b64 s[40:41], vcc, s[40:41]
	v_cndmask_b32_e64 v2, v2, 0, s[40:41]
	v_or_b32_e32 v8, v2, v9
.LBB2_3926:                             ;   in Loop: Header=BB2_3018 Depth=4
	s_or_b64 exec, exec, s[48:49]
                                        ; implicit-def: $vgpr9
.LBB2_3927:                             ;   in Loop: Header=BB2_3018 Depth=4
	s_andn2_saveexec_b64 s[40:41], s[38:39]
; %bb.3928:                             ;   in Loop: Header=BB2_3018 Depth=4
	v_or_b32_e32 v8, 0x7b, v9
; %bb.3929:                             ;   in Loop: Header=BB2_3018 Depth=4
	s_or_b64 exec, exec, s[40:41]
                                        ; implicit-def: $vgpr4
                                        ; implicit-def: $vgpr2_vgpr3
.LBB2_3930:                             ;   in Loop: Header=BB2_3018 Depth=4
	s_andn2_saveexec_b64 s[40:41], s[42:43]
	s_cbranch_execz .LBB2_3936
; %bb.3931:                             ;   in Loop: Header=BB2_3018 Depth=4
	v_cmp_ne_u64_e32 vcc, 0, v[2:3]
                                        ; implicit-def: $vgpr8
	s_and_saveexec_b64 s[42:43], vcc
	s_xor_b64 s[42:43], exec, s[42:43]
; %bb.3932:                             ;   in Loop: Header=BB2_3018 Depth=4
	v_or_b32_sdwa v8, v4, s47 dst_sel:DWORD dst_unused:UNUSED_PAD src0_sel:BYTE_3 src1_sel:DWORD
                                        ; implicit-def: $vgpr4
; %bb.3933:                             ;   in Loop: Header=BB2_3018 Depth=4
	s_andn2_saveexec_b64 s[42:43], s[42:43]
; %bb.3934:                             ;   in Loop: Header=BB2_3018 Depth=4
	v_cmp_lt_i32_e32 vcc, -1, v4
	v_cndmask_b32_e32 v8, v6, v22, vcc
; %bb.3935:                             ;   in Loop: Header=BB2_3018 Depth=4
	s_or_b64 exec, exec, s[42:43]
.LBB2_3936:                             ;   in Loop: Header=BB2_3018 Depth=4
	s_or_b64 exec, exec, s[40:41]
	v_and_b32_sdwa v4, v28, s87 dst_sel:DWORD dst_unused:UNUSED_PAD src0_sel:WORD_1 src1_sel:DWORD
	v_lshrrev_b32_e32 v2, 16, v28
	v_cmp_ne_u16_e32 vcc, 0, v4
	v_mov_b32_e32 v3, 0
	s_and_saveexec_b64 s[40:41], vcc
	s_cbranch_execz .LBB2_3944
; %bb.3937:                             ;   in Loop: Header=BB2_3018 Depth=4
	v_cmp_ne_u16_e32 vcc, s96, v4
	v_bfrev_b32_e32 v3, 1
	s_and_saveexec_b64 s[42:43], vcc
	s_cbranch_execz .LBB2_3943
; %bb.3938:                             ;   in Loop: Header=BB2_3018 Depth=4
	v_and_b32_e32 v3, 0x7c0000, v28
	v_bfe_u32 v4, v28, 16, 2
	v_cmp_ne_u32_e32 vcc, s44, v3
                                        ; implicit-def: $vgpr3
	s_and_saveexec_b64 s[38:39], vcc
	s_xor_b64 s[38:39], exec, s[38:39]
	s_cbranch_execz .LBB2_3940
; %bb.3939:                             ;   in Loop: Header=BB2_3018 Depth=4
	v_ffbh_u32_e32 v3, v4
	v_min_u32_e32 v37, 32, v3
	v_subrev_u32_e32 v3, 29, v37
	v_lshlrev_b64 v[2:3], v3, v[2:3]
	v_bfe_u32 v9, v28, 18, 5
	v_and_b32_e32 v2, 3, v2
	v_cmp_eq_u32_e32 vcc, 0, v9
	v_sub_u32_e32 v3, 30, v37
	v_cndmask_b32_e32 v2, v4, v2, vcc
	v_lshlrev_b32_e32 v4, 8, v28
	v_cndmask_b32_e32 v3, v9, v3, vcc
	v_and_b32_e32 v4, 0x80000000, v4
	v_lshl_add_u32 v3, v3, 23, v4
	v_lshl_or_b32 v2, v2, 21, v3
	v_add_u32_e32 v3, 0x38000000, v2
                                        ; implicit-def: $vgpr4
                                        ; implicit-def: $vgpr2
.LBB2_3940:                             ;   in Loop: Header=BB2_3018 Depth=4
	s_andn2_saveexec_b64 s[38:39], s[38:39]
; %bb.3941:                             ;   in Loop: Header=BB2_3018 Depth=4
	v_cmp_gt_i16_sdwa vcc, sext(v2), v48 src0_sel:BYTE_0 src1_sel:DWORD
	v_cndmask_b32_e32 v2, v7, v0, vcc
	v_cmp_eq_u32_e32 vcc, 0, v4
	v_cndmask_b32_e32 v3, v35, v2, vcc
; %bb.3942:                             ;   in Loop: Header=BB2_3018 Depth=4
	s_or_b64 exec, exec, s[38:39]
.LBB2_3943:                             ;   in Loop: Header=BB2_3018 Depth=4
	s_or_b64 exec, exec, s[42:43]
.LBB2_3944:                             ;   in Loop: Header=BB2_3018 Depth=4
	s_or_b64 exec, exec, s[40:41]
	v_lshrrev_b32_e32 v2, 16, v11
	v_cmp_gt_i16_sdwa s[42:43], v2, s47 src0_sel:BYTE_0 src1_sel:DWORD
	s_mov_b64 s[40:41], 0
	s_and_saveexec_b64 vcc, s[42:43]
	s_xor_b64 s[42:43], exec, vcc
	s_cbranch_execz .LBB2_4015
; %bb.3945:                             ;   in Loop: Header=BB2_3018 Depth=4
	v_cmp_eq_u16_sdwa s[38:39], v2, s96 src0_sel:BYTE_0 src1_sel:DWORD
	s_mov_b64 s[40:41], -1
	s_and_saveexec_b64 vcc, s[38:39]
; %bb.3946:                             ;   in Loop: Header=BB2_3018 Depth=4
	s_xor_b64 s[40:41], exec, -1
; %bb.3947:                             ;   in Loop: Header=BB2_3018 Depth=4
	s_or_b64 exec, exec, vcc
	s_and_b64 s[40:41], s[40:41], exec
	s_or_saveexec_b64 s[42:43], s[42:43]
	v_bfrev_b32_e32 v4, 1
	s_xor_b64 exec, exec, s[42:43]
	s_cbranch_execnz .LBB2_4016
.LBB2_3948:                             ;   in Loop: Header=BB2_3018 Depth=4
	s_or_b64 exec, exec, s[42:43]
	s_and_saveexec_b64 s[38:39], s[40:41]
	s_cbranch_execz .LBB2_3950
.LBB2_3949:                             ;   in Loop: Header=BB2_3018 Depth=4
	v_and_b32_e32 v4, 3, v2
	v_and_b32_e32 v37, 0x7c0000, v11
	v_cmp_eq_u32_e32 vcc, s44, v37
	v_ffbh_u32_e32 v37, v4
	v_min_u32_e32 v39, 32, v37
	v_subrev_u32_e32 v37, 29, v39
	v_bfe_u32 v9, v11, 18, 5
	v_lshlrev_b64 v[37:38], v37, v[2:3]
	v_cmp_eq_u32_e64 s[40:41], 0, v9
	v_sub_u32_e32 v38, 30, v39
	v_cndmask_b32_e64 v9, v9, v38, s[40:41]
	v_lshlrev_b32_e32 v38, 24, v2
	v_and_b32_e32 v37, 3, v37
	v_and_b32_e32 v38, 0x80000000, v38
	v_cndmask_b32_e64 v37, v4, v37, s[40:41]
	v_lshl_add_u32 v9, v9, 23, v38
	v_cmp_gt_i16_sdwa s[42:43], sext(v2), v48 src0_sel:BYTE_0 src1_sel:DWORD
	v_lshl_or_b32 v9, v37, 21, v9
	v_cmp_eq_u32_e64 s[40:41], 0, v4
	v_cndmask_b32_e64 v2, v7, v0, s[42:43]
	v_add_u32_e32 v9, 0x38000000, v9
	v_cndmask_b32_e64 v2, v35, v2, s[40:41]
	v_cndmask_b32_e32 v4, v9, v2, vcc
.LBB2_3950:                             ;   in Loop: Header=BB2_3018 Depth=4
	s_or_b64 exec, exec, s[38:39]
	v_add_f32_e32 v4, v3, v4
	v_and_b32_e32 v37, 0x7f800000, v4
	v_mov_b32_e32 v38, v29
	v_cmp_ne_u64_e32 vcc, s[76:77], v[37:38]
	v_and_b32_e32 v2, 0x7fffff, v4
	v_mov_b32_e32 v3, v29
                                        ; implicit-def: $vgpr9
	s_and_saveexec_b64 s[40:41], vcc
	s_xor_b64 s[42:43], exec, s[40:41]
	s_cbranch_execz .LBB2_3964
; %bb.3951:                             ;   in Loop: Header=BB2_3018 Depth=4
	v_and_b32_e32 v37, 0x7fffffff, v4
	v_mov_b32_e32 v38, v29
	v_cmp_gt_u64_e32 vcc, s[78:79], v[37:38]
	v_and_b32_sdwa v37, v4, s96 dst_sel:DWORD dst_unused:UNUSED_PAD src0_sel:BYTE_3 src1_sel:DWORD
                                        ; implicit-def: $vgpr9
	s_and_saveexec_b64 s[40:41], vcc
	s_xor_b64 s[38:39], exec, s[40:41]
	s_cbranch_execz .LBB2_3961
; %bb.3952:                             ;   in Loop: Header=BB2_3018 Depth=4
	v_mov_b32_e32 v9, 0
	v_cmp_ne_u32_e32 vcc, 0, v4
	s_and_saveexec_b64 s[48:49], vcc
	s_cbranch_execz .LBB2_3960
; %bb.3953:                             ;   in Loop: Header=BB2_3018 Depth=4
	v_bfe_u32 v9, v4, 23, 8
	v_cmp_gt_u32_e64 s[40:41], s46, v9
	v_sub_u32_e32 v4, 0x71, v9
	v_cmp_eq_u32_e32 vcc, 0, v9
	v_cndmask_b32_e64 v4, 0, v4, s[40:41]
	v_mov_b32_e32 v39, 0x70
	v_cndmask_b32_e32 v49, v4, v39, vcc
	v_or_b32_e32 v38, 0x800000, v2
	v_add_u32_e32 v4, 21, v49
	v_cndmask_b32_e32 v2, v38, v2, vcc
	v_lshlrev_b64 v[38:39], v4, -1
	v_add_u32_e32 v4, 20, v49
	v_bfi_b32 v38, v38, 0, v2
	v_lshlrev_b64 v[40:41], v4, 1
	v_lshrrev_b64 v[2:3], v49, v[2:3]
	v_bfi_b32 v39, v39, 0, 0
	v_cmp_eq_u64_e64 s[40:41], v[38:39], v[40:41]
	v_mov_b32_e32 v4, v3
	v_mov_b32_e32 v3, v2
	s_and_saveexec_b64 s[50:51], s[40:41]
; %bb.3954:                             ;   in Loop: Header=BB2_3018 Depth=4
	v_bfe_u32 v3, v2, 21, 1
	v_add_co_u32_e64 v3, s[40:41], v2, v3
	v_add_co_u32_e64 v3, s[40:41], -1, v3
; %bb.3955:                             ;   in Loop: Header=BB2_3018 Depth=4
	s_or_b64 exec, exec, s[50:51]
	v_add_u32_e32 v4, 0xffffff81, v9
	v_cndmask_b32_e32 v4, v4, v1, vcc
	v_lshrrev_b32_e32 v9, 23, v2
	v_add3_u32 v49, v49, v4, v9
	v_add_u32_e32 v9, 14, v49
	v_and_b32_e32 v3, 0x1fffff, v3
	v_add_u32_e32 v2, v3, v2
	v_mov_b32_e32 v3, v29
	v_cmp_ne_u32_e32 vcc, 0, v9
                                        ; implicit-def: $vgpr4
	s_and_saveexec_b64 s[40:41], vcc
	s_xor_b64 s[40:41], exec, s[40:41]
; %bb.3956:                             ;   in Loop: Header=BB2_3018 Depth=4
	v_cmp_lt_u64_e32 vcc, s[88:89], v[2:3]
	v_add_u32_e32 v4, 15, v49
	v_cndmask_b32_e32 v4, v9, v4, vcc
	v_cndmask_b32_e64 v9, 0, 1, vcc
	v_lshrrev_b64 v[2:3], v9, v[2:3]
; %bb.3957:                             ;   in Loop: Header=BB2_3018 Depth=4
	s_andn2_saveexec_b64 s[40:41], s[40:41]
; %bb.3958:                             ;   in Loop: Header=BB2_3018 Depth=4
	v_bfe_u32 v4, v2, 23, 1
; %bb.3959:                             ;   in Loop: Header=BB2_3018 Depth=4
	s_or_b64 exec, exec, s[40:41]
	v_lshrrev_b64 v[2:3], 21, v[2:3]
	v_cmp_gt_i32_e32 vcc, 32, v4
	v_cndmask_b32_e32 v3, 0, v3, vcc
	v_cndmask_b32_e32 v2, 3, v2, vcc
	v_cmp_eq_u64_e64 s[40:41], 0, v[2:3]
	v_min_i32_e32 v3, 31, v4
	v_lshlrev_b32_e32 v3, 2, v3
	v_cmp_eq_u32_e32 vcc, 0, v4
	v_and_b32_e32 v3, 0xfc, v3
	v_and_or_b32 v2, v2, 3, v3
	s_and_b64 s[40:41], vcc, s[40:41]
	v_cndmask_b32_e64 v2, v2, 0, s[40:41]
	v_or_b32_e32 v9, v2, v37
.LBB2_3960:                             ;   in Loop: Header=BB2_3018 Depth=4
	s_or_b64 exec, exec, s[48:49]
                                        ; implicit-def: $vgpr37
.LBB2_3961:                             ;   in Loop: Header=BB2_3018 Depth=4
	s_andn2_saveexec_b64 s[40:41], s[38:39]
; %bb.3962:                             ;   in Loop: Header=BB2_3018 Depth=4
	v_or_b32_e32 v9, 0x7b, v37
; %bb.3963:                             ;   in Loop: Header=BB2_3018 Depth=4
	s_or_b64 exec, exec, s[40:41]
                                        ; implicit-def: $vgpr4
                                        ; implicit-def: $vgpr2_vgpr3
.LBB2_3964:                             ;   in Loop: Header=BB2_3018 Depth=4
	s_andn2_saveexec_b64 s[40:41], s[42:43]
	s_cbranch_execz .LBB2_3970
; %bb.3965:                             ;   in Loop: Header=BB2_3018 Depth=4
	v_cmp_ne_u64_e32 vcc, 0, v[2:3]
                                        ; implicit-def: $vgpr9
	s_and_saveexec_b64 s[42:43], vcc
	s_xor_b64 s[42:43], exec, s[42:43]
; %bb.3966:                             ;   in Loop: Header=BB2_3018 Depth=4
	v_or_b32_sdwa v9, v4, s47 dst_sel:DWORD dst_unused:UNUSED_PAD src0_sel:BYTE_3 src1_sel:DWORD
                                        ; implicit-def: $vgpr4
; %bb.3967:                             ;   in Loop: Header=BB2_3018 Depth=4
	s_andn2_saveexec_b64 s[42:43], s[42:43]
; %bb.3968:                             ;   in Loop: Header=BB2_3018 Depth=4
	v_cmp_lt_i32_e32 vcc, -1, v4
	v_cndmask_b32_e32 v9, v6, v22, vcc
; %bb.3969:                             ;   in Loop: Header=BB2_3018 Depth=4
	s_or_b64 exec, exec, s[42:43]
.LBB2_3970:                             ;   in Loop: Header=BB2_3018 Depth=4
	s_or_b64 exec, exec, s[40:41]
	v_cmp_lt_u32_e32 vcc, s57, v28
	v_mov_b32_e32 v3, 0
	s_and_saveexec_b64 s[40:41], vcc
	s_cbranch_execz .LBB2_3978
; %bb.3971:                             ;   in Loop: Header=BB2_3018 Depth=4
	v_lshrrev_b32_e32 v2, 24, v28
	v_cmp_ne_u32_e32 vcc, s96, v2
	v_bfrev_b32_e32 v3, 1
	s_and_saveexec_b64 s[42:43], vcc
	s_cbranch_execz .LBB2_3977
; %bb.3972:                             ;   in Loop: Header=BB2_3018 Depth=4
	v_and_b32_e32 v3, 0x7c000000, v28
	v_bfe_u32 v4, v28, 24, 2
	v_cmp_ne_u32_e32 vcc, s45, v3
                                        ; implicit-def: $vgpr3
	s_and_saveexec_b64 s[38:39], vcc
	s_xor_b64 s[38:39], exec, s[38:39]
	s_cbranch_execz .LBB2_3974
; %bb.3973:                             ;   in Loop: Header=BB2_3018 Depth=4
	v_ffbh_u32_e32 v3, v4
	v_min_u32_e32 v38, 32, v3
	v_subrev_u32_e32 v3, 29, v38
	v_lshlrev_b64 v[2:3], v3, v[2:3]
	v_bfe_u32 v37, v28, 26, 5
	v_sub_u32_e32 v3, 30, v38
	v_and_b32_e32 v2, 3, v2
	v_cmp_eq_u32_e32 vcc, 0, v37
	v_cndmask_b32_e32 v3, v37, v3, vcc
	v_cndmask_b32_e32 v2, v4, v2, vcc
	v_and_b32_e32 v4, 0x80000000, v28
	v_lshl_add_u32 v3, v3, 23, v4
	v_lshl_or_b32 v2, v2, 21, v3
	v_add_u32_e32 v3, 0x38000000, v2
                                        ; implicit-def: $vgpr4
.LBB2_3974:                             ;   in Loop: Header=BB2_3018 Depth=4
	s_andn2_saveexec_b64 s[38:39], s[38:39]
; %bb.3975:                             ;   in Loop: Header=BB2_3018 Depth=4
	v_cmp_lt_i32_e32 vcc, -1, v28
	v_cndmask_b32_e32 v2, v7, v0, vcc
	v_cmp_eq_u32_e32 vcc, 0, v4
	v_cndmask_b32_e32 v3, v35, v2, vcc
; %bb.3976:                             ;   in Loop: Header=BB2_3018 Depth=4
	s_or_b64 exec, exec, s[38:39]
.LBB2_3977:                             ;   in Loop: Header=BB2_3018 Depth=4
	s_or_b64 exec, exec, s[42:43]
.LBB2_3978:                             ;   in Loop: Header=BB2_3018 Depth=4
	s_or_b64 exec, exec, s[40:41]
	v_bfe_u32 v4, v11, 24, 2
	v_and_b32_e32 v37, 0x7c000000, v11
	v_cmp_eq_u32_e32 vcc, s45, v37
	v_ffbh_u32_e32 v37, v4
	v_min_u32_e32 v39, 32, v37
	v_lshrrev_b32_e32 v2, 24, v11
	v_subrev_u32_e32 v37, 29, v39
	v_bfe_u32 v28, v11, 26, 5
	v_lshlrev_b64 v[37:38], v37, v[2:3]
	v_cmp_eq_u32_e64 s[40:41], 0, v28
	v_sub_u32_e32 v38, 30, v39
	v_and_b32_e32 v37, 3, v37
	v_cndmask_b32_e64 v28, v28, v38, s[40:41]
	v_and_b32_e32 v38, 0x80000000, v11
	v_cmp_lt_i64_e64 s[42:43], -1, v[10:11]
	v_cndmask_b32_e64 v37, v4, v37, s[40:41]
	v_lshl_add_u32 v28, v28, 23, v38
	v_lshl_or_b32 v28, v37, 21, v28
	v_cmp_eq_u32_e64 s[40:41], 0, v4
	v_cndmask_b32_e64 v4, v7, v0, s[42:43]
	v_add_u32_e32 v28, 0x38000000, v28
	v_cndmask_b32_e64 v4, v35, v4, s[40:41]
	v_cndmask_b32_e32 v4, v28, v4, vcc
	v_cmp_ne_u32_e32 vcc, s96, v2
	v_bfrev_b32_e32 v2, 1
	v_cndmask_b32_e32 v2, v2, v4, vcc
	v_cmp_lt_u64_e32 vcc, s[56:57], v[10:11]
	v_mov_b32_e32 v11, v29
	v_cndmask_b32_e32 v2, 0, v2, vcc
	v_add_f32_e32 v3, v2, v3
	v_and_b32_e32 v10, 0x7f800000, v3
	v_cmp_ne_u64_e32 vcc, s[76:77], v[10:11]
	v_and_b32_e32 v28, 0x7fffff, v3
                                        ; implicit-def: $vgpr2
	s_and_saveexec_b64 s[40:41], vcc
	s_xor_b64 s[42:43], exec, s[40:41]
	s_cbranch_execz .LBB2_3992
; %bb.3979:                             ;   in Loop: Header=BB2_3018 Depth=4
	v_and_b32_e32 v10, 0x7fffffff, v3
	v_mov_b32_e32 v11, v29
	v_cmp_gt_u64_e32 vcc, s[78:79], v[10:11]
	v_and_b32_sdwa v10, v3, s96 dst_sel:DWORD dst_unused:UNUSED_PAD src0_sel:BYTE_3 src1_sel:DWORD
                                        ; implicit-def: $vgpr2
	s_and_saveexec_b64 s[40:41], vcc
	s_xor_b64 s[38:39], exec, s[40:41]
	s_cbranch_execz .LBB2_3989
; %bb.3980:                             ;   in Loop: Header=BB2_3018 Depth=4
	v_mov_b32_e32 v2, 0
	v_cmp_ne_u32_e32 vcc, 0, v3
	s_and_saveexec_b64 s[48:49], vcc
	s_cbranch_execz .LBB2_3988
; %bb.3981:                             ;   in Loop: Header=BB2_3018 Depth=4
	v_bfe_u32 v11, v3, 23, 8
	v_cmp_gt_u32_e64 s[40:41], s46, v11
	v_sub_u32_e32 v2, 0x71, v11
	v_cmp_eq_u32_e32 vcc, 0, v11
	v_cndmask_b32_e64 v2, 0, v2, s[40:41]
	v_mov_b32_e32 v4, 0x70
	v_cndmask_b32_e32 v37, v2, v4, vcc
	v_or_b32_e32 v3, 0x800000, v28
	v_add_u32_e32 v2, 21, v37
	v_cndmask_b32_e32 v28, v3, v28, vcc
	v_lshlrev_b64 v[2:3], v2, -1
	v_add_u32_e32 v4, 20, v37
	v_lshlrev_b64 v[38:39], v4, 1
	v_bfi_b32 v3, v3, 0, 0
	v_bfi_b32 v2, v2, 0, v28
	v_cmp_eq_u64_e64 s[40:41], v[2:3], v[38:39]
	v_lshrrev_b64 v[2:3], v37, v[28:29]
	v_mov_b32_e32 v4, v3
	v_mov_b32_e32 v3, v2
	s_and_saveexec_b64 s[50:51], s[40:41]
; %bb.3982:                             ;   in Loop: Header=BB2_3018 Depth=4
	v_bfe_u32 v3, v2, 21, 1
	v_add_co_u32_e64 v3, s[40:41], v2, v3
	v_add_co_u32_e64 v3, s[40:41], -1, v3
; %bb.3983:                             ;   in Loop: Header=BB2_3018 Depth=4
	s_or_b64 exec, exec, s[50:51]
	v_add_u32_e32 v4, 0xffffff81, v11
	v_cndmask_b32_e32 v4, v4, v1, vcc
	v_lshrrev_b32_e32 v11, 23, v2
	v_add3_u32 v37, v37, v4, v11
	v_add_u32_e32 v11, 14, v37
	v_and_b32_e32 v3, 0x1fffff, v3
	v_add_u32_e32 v28, v3, v2
	v_cmp_ne_u32_e32 vcc, 0, v11
                                        ; implicit-def: $vgpr2_vgpr3
                                        ; implicit-def: $vgpr4
	s_and_saveexec_b64 s[40:41], vcc
	s_xor_b64 s[40:41], exec, s[40:41]
; %bb.3984:                             ;   in Loop: Header=BB2_3018 Depth=4
	v_cmp_lt_u64_e32 vcc, s[88:89], v[28:29]
	v_add_u32_e32 v2, 15, v37
	v_cndmask_b32_e32 v4, v11, v2, vcc
	v_cndmask_b32_e64 v2, 0, 1, vcc
	v_lshrrev_b64 v[2:3], v2, v[28:29]
; %bb.3985:                             ;   in Loop: Header=BB2_3018 Depth=4
	s_andn2_saveexec_b64 s[40:41], s[40:41]
; %bb.3986:                             ;   in Loop: Header=BB2_3018 Depth=4
	v_mov_b32_e32 v2, v28
	v_bfe_u32 v4, v28, 23, 1
	v_mov_b32_e32 v3, v29
; %bb.3987:                             ;   in Loop: Header=BB2_3018 Depth=4
	s_or_b64 exec, exec, s[40:41]
	v_lshrrev_b64 v[2:3], 21, v[2:3]
	v_cmp_gt_i32_e32 vcc, 32, v4
	v_cndmask_b32_e32 v3, 0, v3, vcc
	v_cndmask_b32_e32 v2, 3, v2, vcc
	v_cmp_eq_u64_e64 s[40:41], 0, v[2:3]
	v_min_i32_e32 v3, 31, v4
	v_lshlrev_b32_e32 v3, 2, v3
	v_cmp_eq_u32_e32 vcc, 0, v4
	v_and_b32_e32 v3, 0xfc, v3
	v_and_or_b32 v2, v2, 3, v3
	s_and_b64 s[40:41], vcc, s[40:41]
	v_cndmask_b32_e64 v2, v2, 0, s[40:41]
	v_or_b32_e32 v2, v2, v10
.LBB2_3988:                             ;   in Loop: Header=BB2_3018 Depth=4
	s_or_b64 exec, exec, s[48:49]
                                        ; implicit-def: $vgpr10
.LBB2_3989:                             ;   in Loop: Header=BB2_3018 Depth=4
	s_andn2_saveexec_b64 s[40:41], s[38:39]
; %bb.3990:                             ;   in Loop: Header=BB2_3018 Depth=4
	v_or_b32_e32 v2, 0x7b, v10
; %bb.3991:                             ;   in Loop: Header=BB2_3018 Depth=4
	s_or_b64 exec, exec, s[40:41]
                                        ; implicit-def: $vgpr3
.LBB2_3992:                             ;   in Loop: Header=BB2_3018 Depth=4
	s_andn2_saveexec_b64 s[40:41], s[42:43]
	s_cbranch_execz .LBB2_3017
; %bb.3993:                             ;   in Loop: Header=BB2_3018 Depth=4
	v_cmp_ne_u64_e32 vcc, 0, v[28:29]
                                        ; implicit-def: $vgpr2
	s_and_saveexec_b64 s[42:43], vcc
	s_xor_b64 s[42:43], exec, s[42:43]
; %bb.3994:                             ;   in Loop: Header=BB2_3018 Depth=4
	v_or_b32_sdwa v2, v3, s47 dst_sel:DWORD dst_unused:UNUSED_PAD src0_sel:BYTE_3 src1_sel:DWORD
                                        ; implicit-def: $vgpr3
; %bb.3995:                             ;   in Loop: Header=BB2_3018 Depth=4
	s_andn2_saveexec_b64 s[42:43], s[42:43]
	s_cbranch_execz .LBB2_3016
; %bb.3996:                             ;   in Loop: Header=BB2_3018 Depth=4
	v_cmp_lt_i32_e32 vcc, -1, v3
	v_cndmask_b32_e32 v2, v6, v22, vcc
	s_branch .LBB2_3016
.LBB2_3997:                             ;   in Loop: Header=BB2_3018 Depth=4
	s_or_saveexec_b64 s[42:43], s[42:43]
	v_bfrev_b32_e32 v3, 1
	s_xor_b64 exec, exec, s[42:43]
	s_cbranch_execz .LBB2_3486
.LBB2_3998:                             ;   in Loop: Header=BB2_3018 Depth=4
	v_cmp_ne_u16_sdwa vcc, v8, v29 src0_sel:BYTE_0 src1_sel:DWORD
	s_andn2_b64 s[40:41], s[40:41], exec
	s_and_b64 vcc, vcc, exec
	v_mov_b32_e32 v3, 0
	s_or_b64 s[40:41], s[40:41], vcc
	s_or_b64 exec, exec, s[42:43]
	s_and_saveexec_b64 s[38:39], s[40:41]
	s_cbranch_execnz .LBB2_3487
	s_branch .LBB2_3488
.LBB2_3999:                             ;   in Loop: Header=BB2_3018 Depth=4
	s_or_saveexec_b64 s[42:43], s[42:43]
	v_bfrev_b32_e32 v3, 1
	s_xor_b64 exec, exec, s[42:43]
	s_cbranch_execz .LBB2_3520
.LBB2_4000:                             ;   in Loop: Header=BB2_3018 Depth=4
	v_cmp_ne_u16_e32 vcc, 0, v2
	s_andn2_b64 s[40:41], s[40:41], exec
	s_and_b64 vcc, vcc, exec
	v_mov_b32_e32 v3, 0
	s_or_b64 s[40:41], s[40:41], vcc
	s_or_b64 exec, exec, s[42:43]
	s_and_saveexec_b64 s[38:39], s[40:41]
	s_cbranch_execnz .LBB2_3521
	s_branch .LBB2_3522
.LBB2_4001:                             ;   in Loop: Header=BB2_3018 Depth=4
	s_or_saveexec_b64 s[42:43], s[42:43]
	v_bfrev_b32_e32 v4, 1
	s_xor_b64 exec, exec, s[42:43]
	s_cbranch_execz .LBB2_3554
.LBB2_4002:                             ;   in Loop: Header=BB2_3018 Depth=4
	v_cmp_ne_u16_sdwa vcc, v2, v29 src0_sel:BYTE_0 src1_sel:DWORD
	s_andn2_b64 s[40:41], s[40:41], exec
	s_and_b64 vcc, vcc, exec
	v_mov_b32_e32 v4, 0
	s_or_b64 s[40:41], s[40:41], vcc
	s_or_b64 exec, exec, s[42:43]
	s_and_saveexec_b64 s[38:39], s[40:41]
	s_cbranch_execnz .LBB2_3555
	s_branch .LBB2_3556
.LBB2_4003:                             ;   in Loop: Header=BB2_3018 Depth=4
	s_or_saveexec_b64 s[42:43], s[42:43]
	v_bfrev_b32_e32 v3, 1
	s_xor_b64 exec, exec, s[42:43]
	s_cbranch_execz .LBB2_3652
.LBB2_4004:                             ;   in Loop: Header=BB2_3018 Depth=4
	v_cmp_ne_u16_e32 vcc, 0, v2
	s_andn2_b64 s[40:41], s[40:41], exec
	s_and_b64 vcc, vcc, exec
	v_mov_b32_e32 v3, 0
	s_or_b64 s[40:41], s[40:41], vcc
	s_or_b64 exec, exec, s[42:43]
	s_and_saveexec_b64 s[38:39], s[40:41]
	s_cbranch_execnz .LBB2_3653
	s_branch .LBB2_3654
.LBB2_4005:                             ;   in Loop: Header=BB2_3018 Depth=4
	s_or_saveexec_b64 s[42:43], s[42:43]
	v_bfrev_b32_e32 v4, 1
	s_xor_b64 exec, exec, s[42:43]
	s_cbranch_execz .LBB2_3686
.LBB2_4006:                             ;   in Loop: Header=BB2_3018 Depth=4
	v_cmp_ne_u16_sdwa vcc, v2, v29 src0_sel:BYTE_0 src1_sel:DWORD
	s_andn2_b64 s[40:41], s[40:41], exec
	s_and_b64 vcc, vcc, exec
	v_mov_b32_e32 v4, 0
	s_or_b64 s[40:41], s[40:41], vcc
	s_or_b64 exec, exec, s[42:43]
	s_and_saveexec_b64 s[38:39], s[40:41]
	s_cbranch_execnz .LBB2_3687
	s_branch .LBB2_3688
.LBB2_4007:                             ;   in Loop: Header=BB2_3018 Depth=4
	s_or_saveexec_b64 s[42:43], s[42:43]
	v_bfrev_b32_e32 v3, 1
	s_xor_b64 exec, exec, s[42:43]
	s_cbranch_execz .LBB2_3748
.LBB2_4008:                             ;   in Loop: Header=BB2_3018 Depth=4
	v_cmp_ne_u16_sdwa vcc, v10, v29 src0_sel:BYTE_0 src1_sel:DWORD
	s_andn2_b64 s[40:41], s[40:41], exec
	s_and_b64 vcc, vcc, exec
	v_mov_b32_e32 v3, 0
	s_or_b64 s[40:41], s[40:41], vcc
	s_or_b64 exec, exec, s[42:43]
	s_and_saveexec_b64 s[38:39], s[40:41]
	s_cbranch_execnz .LBB2_3749
	s_branch .LBB2_3750
.LBB2_4009:                             ;   in Loop: Header=BB2_3018 Depth=4
	s_or_saveexec_b64 s[42:43], s[42:43]
	v_bfrev_b32_e32 v3, 1
	s_xor_b64 exec, exec, s[42:43]
	s_cbranch_execz .LBB2_3782
.LBB2_4010:                             ;   in Loop: Header=BB2_3018 Depth=4
	v_cmp_ne_u16_e32 vcc, 0, v2
	s_andn2_b64 s[40:41], s[40:41], exec
	s_and_b64 vcc, vcc, exec
	v_mov_b32_e32 v3, 0
	s_or_b64 s[40:41], s[40:41], vcc
	s_or_b64 exec, exec, s[42:43]
	s_and_saveexec_b64 s[38:39], s[40:41]
	s_cbranch_execnz .LBB2_3783
	s_branch .LBB2_3784
.LBB2_4011:                             ;   in Loop: Header=BB2_3018 Depth=4
	s_or_saveexec_b64 s[42:43], s[42:43]
	v_bfrev_b32_e32 v4, 1
	s_xor_b64 exec, exec, s[42:43]
	s_cbranch_execz .LBB2_3816
.LBB2_4012:                             ;   in Loop: Header=BB2_3018 Depth=4
	v_cmp_ne_u16_sdwa vcc, v2, v29 src0_sel:BYTE_0 src1_sel:DWORD
	s_andn2_b64 s[40:41], s[40:41], exec
	s_and_b64 vcc, vcc, exec
	v_mov_b32_e32 v4, 0
	s_or_b64 s[40:41], s[40:41], vcc
	s_or_b64 exec, exec, s[42:43]
	s_and_saveexec_b64 s[38:39], s[40:41]
	s_cbranch_execnz .LBB2_3817
	s_branch .LBB2_3818
.LBB2_4013:                             ;   in Loop: Header=BB2_3018 Depth=4
	s_or_saveexec_b64 s[42:43], s[42:43]
	v_bfrev_b32_e32 v3, 1
	s_xor_b64 exec, exec, s[42:43]
	s_cbranch_execz .LBB2_3914
.LBB2_4014:                             ;   in Loop: Header=BB2_3018 Depth=4
	v_cmp_ne_u16_e32 vcc, 0, v2
	s_andn2_b64 s[40:41], s[40:41], exec
	s_and_b64 vcc, vcc, exec
	v_mov_b32_e32 v3, 0
	s_or_b64 s[40:41], s[40:41], vcc
	s_or_b64 exec, exec, s[42:43]
	s_and_saveexec_b64 s[38:39], s[40:41]
	s_cbranch_execnz .LBB2_3915
	s_branch .LBB2_3916
.LBB2_4015:                             ;   in Loop: Header=BB2_3018 Depth=4
	s_or_saveexec_b64 s[42:43], s[42:43]
	v_bfrev_b32_e32 v4, 1
	s_xor_b64 exec, exec, s[42:43]
	s_cbranch_execz .LBB2_3948
.LBB2_4016:                             ;   in Loop: Header=BB2_3018 Depth=4
	v_cmp_ne_u16_sdwa vcc, v2, v29 src0_sel:BYTE_0 src1_sel:DWORD
	s_andn2_b64 s[40:41], s[40:41], exec
	s_and_b64 vcc, vcc, exec
	v_mov_b32_e32 v4, 0
	s_or_b64 s[40:41], s[40:41], vcc
	s_or_b64 exec, exec, s[42:43]
	s_and_saveexec_b64 s[38:39], s[40:41]
	s_cbranch_execnz .LBB2_3949
	s_branch .LBB2_3950
.LBB2_4017:                             ;   in Loop: Header=BB2_1934 Depth=3
	s_or_b64 exec, exec, s[36:37]
	buffer_load_dword v49, off, s[0:3], s33 offset:144 ; 4-byte Folded Reload
	buffer_load_dword v38, off, s[0:3], s33 offset:176 ; 4-byte Folded Reload
	;; [unrolled: 1-line block ×7, first 2 shown]
.LBB2_4018:                             ;   in Loop: Header=BB2_1934 Depth=3
	s_or_b64 exec, exec, s[34:35]
	v_and_b32_e32 v2, 15, v16
	v_cmp_lt_i32_e32 vcc, 0, v31
	s_waitcnt vmcnt(0)
	v_sub_u32_e32 v3, v11, v2
	v_cndmask_b32_e64 v51, v11, v2, s[28:29]
	v_cndmask_b32_e32 v2, 0, v36, vcc
	v_cndmask_b32_e64 v3, 0, v3, s[28:29]
	v_sub_u32_e32 v2, v2, v31
	v_cmp_ne_u32_e32 vcc, 0, v51
	v_add3_u32 v5, v10, v8, v3
	v_lshl_add_u32 v52, v2, 6, v9
	s_and_b64 s[42:43], vcc, exec
.LBB2_4019:                             ;   in Loop: Header=BB2_1934 Depth=3
	s_or_b64 exec, exec, s[30:31]
	s_and_saveexec_b64 s[40:41], s[42:43]
	s_cbranch_execz .LBB2_4688
.LBB2_4020:                             ;   in Loop: Header=BB2_1934 Depth=3
	s_waitcnt vmcnt(0)
	v_ashrrev_i32_e32 v2, 31, v52
	v_ashrrev_i32_e32 v3, 31, v51
	v_lshrrev_b32_e32 v2, 26, v2
	v_lshrrev_b32_e32 v3, 23, v3
	v_add_u32_e32 v2, v52, v2
	v_add_u32_e32 v3, v51, v3
	v_ashrrev_i32_e32 v53, 6, v2
	v_ashrrev_i32_e32 v37, 9, v3
	v_sub_u32_e32 v23, v37, v53
	v_cmp_lt_i32_e32 vcc, 0, v23
	s_and_saveexec_b64 s[42:43], vcc
	s_cbranch_execz .LBB2_4606
; %bb.4021:                             ;   in Loop: Header=BB2_1934 Depth=3
	v_and_b32_e32 v2, 0xffffffc0, v2
	v_sub_u32_e32 v2, v52, v2
	v_lshlrev_b32_e32 v3, 9, v53
	v_add3_u32 v4, v5, v2, v3
	s_trap 2
	ds_read_b64 v[2:3], v0
	v_ashrrev_i32_e32 v14, 31, v4
	v_add_co_u32_e32 v8, vcc, v4, v54
	v_addc_co_u32_e32 v9, vcc, v14, v55, vcc
	s_waitcnt lgkmcnt(0)
	v_add_co_u32_e32 v10, vcc, v2, v4
	v_addc_co_u32_e32 v11, vcc, v3, v14, vcc
	v_add_co_u32_e32 v2, vcc, 0x1c0, v38
	v_addc_co_u32_e32 v3, vcc, 0, v39, vcc
	;; [unrolled: 2-line block ×3, first 2 shown]
	s_mov_b64 s[30:31], 0
	s_branch .LBB2_4024
.LBB2_4022:                             ;   in Loop: Header=BB2_4024 Depth=4
	s_or_b64 exec, exec, s[34:35]
.LBB2_4023:                             ;   in Loop: Header=BB2_4024 Depth=4
	s_or_b64 exec, exec, s[28:29]
	v_add_co_u32_e32 v30, vcc, 0xfffffe40, v54
	v_addc_co_u32_e32 v31, vcc, -1, v55, vcc
	flat_store_byte v[30:31], v60 glc slc
	v_add_co_u32_e32 v30, vcc, 0xfffffe80, v54
	v_addc_co_u32_e32 v31, vcc, -1, v55, vcc
	flat_store_byte v[30:31], v17 glc slc
	;; [unrolled: 3-line block ×4, first 2 shown]
	v_add_co_u32_e32 v16, vcc, 0xffffff40, v54
	v_addc_co_u32_e32 v17, vcc, -1, v55, vcc
	v_add_co_u32_e32 v14, vcc, s97, v54
	flat_store_byte v[16:17], v15 glc slc
	v_addc_co_u32_e32 v15, vcc, -1, v55, vcc
	flat_store_byte v[14:15], v18 glc slc
	v_add_co_u32_e32 v14, vcc, s68, v54
	v_addc_co_u32_e32 v15, vcc, -1, v55, vcc
	flat_store_byte v[14:15], v19 glc slc
	flat_store_byte v[54:55], v3 glc slc
	buffer_load_dword v2, off, s[0:3], s33 offset:60 ; 4-byte Folded Reload
	v_sub_u32_e32 v23, v23, v36
	s_waitcnt vmcnt(0)
	v_add_co_u32_e32 v8, vcc, v8, v2
	v_addc_co_u32_e32 v9, vcc, 0, v9, vcc
	v_add_co_u32_e32 v10, vcc, v10, v2
	v_addc_co_u32_e32 v11, vcc, 0, v11, vcc
	v_cmp_gt_i32_e32 vcc, 1, v23
	s_or_b64 s[30:31], vcc, s[30:31]
	v_add_co_u32_e32 v54, vcc, v54, v2
	v_addc_co_u32_e32 v55, vcc, 0, v55, vcc
	s_andn2_b64 exec, exec, s[30:31]
	s_cbranch_execz .LBB2_4605
.LBB2_4024:                             ;   Parent Loop BB2_47 Depth=1
                                        ;     Parent Loop BB2_1931 Depth=2
                                        ;       Parent Loop BB2_1934 Depth=3
                                        ; =>      This Inner Loop Header: Depth=4
	s_trap 2
	ds_read_b64 v[2:3], v0
	v_mov_b32_e32 v14, 0
	s_waitcnt lgkmcnt(0)
	v_cmp_eq_u32_sdwa vcc, v2, v29 src0_sel:BYTE_0 src1_sel:DWORD
	v_readfirstlane_b32 s28, v2
	v_readfirstlane_b32 s29, v3
	v_mov_b32_e32 v2, 0
	s_and_b64 vcc, exec, vcc
	s_cbranch_vccnz .LBB2_4030
; %bb.4025:                             ;   in Loop: Header=BB2_4024 Depth=4
	s_bfe_i32 s34, s28, 0x80000
	s_and_b32 vcc_lo, 0xffff, s34
	s_cmpk_eq_u32 vcc_lo, 0xff80
	v_bfrev_b32_e32 v14, 1
	s_cbranch_scc1 .LBB2_4030
; %bb.4026:                             ;   in Loop: Header=BB2_4024 Depth=4
	s_and_b32 s35, s28, 3
	s_and_b32 vcc_lo, s28, 0x7c
	s_cmpk_lg_i32 vcc_lo, 0x7c
	s_mov_b64 vcc, -1
                                        ; implicit-def: $sgpr36
	s_cbranch_scc0 .LBB2_4028
; %bb.4027:                             ;   in Loop: Header=BB2_4024 Depth=4
	s_flbit_i32_b32 vcc_hi, s35
	s_min_u32 vcc_hi, vcc_hi, 32
	s_sub_i32 s36, vcc_hi, 29
	s_bfe_u32 vcc_lo, s28, 0x50002
	s_lshl_b64 s[28:29], s[28:29], s36
	s_sub_i32 s29, 30, vcc_hi
	s_and_b32 s28, s28, 3
	s_cmp_eq_u32 vcc_lo, 0
	s_cselect_b32 s29, s29, vcc_lo
	s_sext_i32_i16 vcc_lo, s34
	s_cselect_b32 s28, s28, s35
	s_and_b32 vcc_lo, vcc_lo, 0x80000000
	s_lshl_b32 s29, s29, 23
	s_add_i32 s29, s29, vcc_lo
	s_lshl_b32 s28, s28, 21
	s_or_b32 s28, s29, s28
	s_add_i32 s36, s28, 0x38000000
	s_mov_b64 vcc, 0
.LBB2_4028:                             ;   in Loop: Header=BB2_4024 Depth=4
	s_andn2_b64 vcc, exec, vcc
	v_mov_b32_e32 v14, s36
	s_cbranch_vccnz .LBB2_4030
; %bb.4029:                             ;   in Loop: Header=BB2_4024 Depth=4
	s_cmp_eq_u32 s35, 0
	s_sext_i32_i16 s28, s34
	s_cselect_b64 vcc, -1, 0
	s_cmp_gt_i32 s28, -1
	s_cselect_b64 s[28:29], -1, 0
	v_cndmask_b32_e64 v3, v7, v0, s[28:29]
	v_cndmask_b32_e32 v14, v35, v3, vcc
.LBB2_4030:                             ;   in Loop: Header=BB2_4024 Depth=4
	flat_load_sbyte v28, v[8:9] glc slc
	s_waitcnt vmcnt(0) lgkmcnt(0)
	v_cmp_ne_u16_e32 vcc, 0, v28
	s_and_saveexec_b64 s[28:29], vcc
	s_cbranch_execz .LBB2_4038
; %bb.4031:                             ;   in Loop: Header=BB2_4024 Depth=4
	v_cmp_ne_u16_e32 vcc, s97, v28
	v_bfrev_b32_e32 v2, 1
	s_and_saveexec_b64 s[34:35], vcc
	s_cbranch_execz .LBB2_4037
; %bb.4032:                             ;   in Loop: Header=BB2_4024 Depth=4
	v_and_b32_e32 v2, 0x7c, v28
	v_and_b32_e32 v3, 3, v28
	v_cmp_ne_u32_e32 vcc, s85, v2
                                        ; implicit-def: $vgpr2
	s_and_saveexec_b64 s[36:37], vcc
	s_xor_b64 s[36:37], exec, s[36:37]
	s_cbranch_execz .LBB2_4034
; %bb.4033:                             ;   in Loop: Header=BB2_4024 Depth=4
	v_ffbh_u32_e32 v4, v3
	v_min_u32_e32 v4, 32, v4
	v_and_b32_e32 v2, 0xff, v28
	v_subrev_u32_e32 v15, 29, v4
	v_bfe_u32 v2, v2, 2, 5
	v_lshlrev_b64 v[15:16], v15, v[28:29]
	v_sub_u32_e32 v4, 30, v4
	v_cmp_eq_u32_e32 vcc, 0, v2
	v_and_b32_e32 v15, 3, v15
	v_cndmask_b32_e32 v2, v2, v4, vcc
	v_and_b32_sdwa v4, sext(v28), s86 dst_sel:DWORD dst_unused:UNUSED_PAD src0_sel:WORD_0 src1_sel:DWORD
	v_cndmask_b32_e32 v3, v3, v15, vcc
	v_lshl_add_u32 v2, v2, 23, v4
	v_lshl_or_b32 v2, v3, 21, v2
	v_add_u32_e32 v2, 0x38000000, v2
                                        ; implicit-def: $vgpr3
.LBB2_4034:                             ;   in Loop: Header=BB2_4024 Depth=4
	s_andn2_saveexec_b64 s[36:37], s[36:37]
; %bb.4035:                             ;   in Loop: Header=BB2_4024 Depth=4
	v_cmp_lt_i16_e32 vcc, -1, v28
	v_cndmask_b32_e32 v2, v7, v0, vcc
	v_cmp_eq_u32_e32 vcc, 0, v3
	v_cndmask_b32_e32 v2, v35, v2, vcc
; %bb.4036:                             ;   in Loop: Header=BB2_4024 Depth=4
	s_or_b64 exec, exec, s[36:37]
.LBB2_4037:                             ;   in Loop: Header=BB2_4024 Depth=4
	s_or_b64 exec, exec, s[34:35]
.LBB2_4038:                             ;   in Loop: Header=BB2_4024 Depth=4
	s_or_b64 exec, exec, s[28:29]
	v_mul_f32_e32 v2, v14, v2
	v_and_b32_e32 v3, 0x7f800000, v2
	v_mov_b32_e32 v4, v29
	v_cmp_ne_u64_e32 vcc, s[76:77], v[3:4]
	v_and_b32_e32 v28, 0x7fffff, v2
                                        ; implicit-def: $vgpr59
	s_and_saveexec_b64 s[28:29], vcc
	s_xor_b64 s[34:35], exec, s[28:29]
	s_cbranch_execz .LBB2_4056
; %bb.4039:                             ;   in Loop: Header=BB2_4024 Depth=4
	v_and_b32_e32 v3, 0x7fffffff, v2
	v_mov_b32_e32 v4, v29
	v_cmp_gt_u64_e32 vcc, s[78:79], v[3:4]
	v_and_b32_sdwa v15, v2, s96 dst_sel:DWORD dst_unused:UNUSED_PAD src0_sel:BYTE_3 src1_sel:DWORD
                                        ; implicit-def: $vgpr59
	s_and_saveexec_b64 s[28:29], vcc
	s_xor_b64 s[36:37], exec, s[28:29]
	s_cbranch_execz .LBB2_4053
; %bb.4040:                             ;   in Loop: Header=BB2_4024 Depth=4
	v_cmp_ne_u32_e32 vcc, 0, v2
	v_mov_b32_e32 v59, 0
	s_and_saveexec_b64 s[38:39], vcc
	s_cbranch_execz .LBB2_4052
; %bb.4041:                             ;   in Loop: Header=BB2_4024 Depth=4
	v_bfe_u32 v16, v2, 23, 8
	v_cmp_gt_u32_e64 s[28:29], s46, v16
	v_sub_u32_e32 v2, 0x71, v16
	v_cmp_eq_u32_e32 vcc, 0, v16
	v_cndmask_b32_e64 v2, 0, v2, s[28:29]
	v_mov_b32_e32 v4, 0x70
	v_cndmask_b32_e32 v17, v2, v4, vcc
	v_or_b32_e32 v3, 0x800000, v28
	v_add_u32_e32 v2, 21, v17
	v_cndmask_b32_e32 v28, v3, v28, vcc
	v_lshlrev_b64 v[2:3], v2, -1
	v_add_u32_e32 v4, 20, v17
	v_lshlrev_b64 v[18:19], v4, 1
	v_bfi_b32 v3, v3, 0, 0
	v_bfi_b32 v2, v2, 0, v28
	v_cmp_eq_u64_e64 s[28:29], v[2:3], v[18:19]
	v_lshrrev_b64 v[2:3], v17, v[28:29]
	v_mov_b32_e32 v4, v3
	v_mov_b32_e32 v3, v2
	s_and_saveexec_b64 s[48:49], s[28:29]
; %bb.4042:                             ;   in Loop: Header=BB2_4024 Depth=4
	v_bfe_u32 v3, v2, 21, 1
	v_add_co_u32_e64 v3, s[28:29], v2, v3
	v_add_co_u32_e64 v3, s[28:29], -1, v3
; %bb.4043:                             ;   in Loop: Header=BB2_4024 Depth=4
	s_or_b64 exec, exec, s[48:49]
	v_add_u32_e32 v4, 0xffffff81, v16
	v_cndmask_b32_e32 v4, v4, v1, vcc
	v_lshrrev_b32_e32 v16, 23, v2
	v_add3_u32 v17, v17, v4, v16
	v_add_u32_e32 v16, 14, v17
	v_and_b32_e32 v3, 0x1fffff, v3
	v_add_u32_e32 v28, v3, v2
	v_cmp_ne_u32_e32 vcc, 0, v16
                                        ; implicit-def: $vgpr2_vgpr3
                                        ; implicit-def: $vgpr4
	s_and_saveexec_b64 s[28:29], vcc
	s_xor_b64 s[28:29], exec, s[28:29]
; %bb.4044:                             ;   in Loop: Header=BB2_4024 Depth=4
	v_cmp_lt_u64_e32 vcc, s[88:89], v[28:29]
	v_add_u32_e32 v2, 15, v17
	v_cndmask_b32_e32 v4, v16, v2, vcc
	v_cndmask_b32_e64 v2, 0, 1, vcc
	v_lshrrev_b64 v[2:3], v2, v[28:29]
; %bb.4045:                             ;   in Loop: Header=BB2_4024 Depth=4
	s_andn2_saveexec_b64 s[28:29], s[28:29]
; %bb.4046:                             ;   in Loop: Header=BB2_4024 Depth=4
	v_mov_b32_e32 v2, v28
	v_bfe_u32 v4, v28, 23, 1
	v_mov_b32_e32 v3, v29
; %bb.4047:                             ;   in Loop: Header=BB2_4024 Depth=4
	s_or_b64 exec, exec, s[28:29]
	v_lshrrev_b64 v[2:3], 21, v[2:3]
	v_cmp_gt_i32_e32 vcc, 32, v4
	v_cndmask_b32_e32 v3, 0, v3, vcc
	v_cndmask_b32_e32 v2, 3, v2, vcc
	v_cmp_ne_u64_e32 vcc, 0, v[2:3]
	v_cmp_ne_u32_e64 s[28:29], 0, v4
	s_or_b64 s[28:29], s[28:29], vcc
                                        ; implicit-def: $vgpr59
	s_and_saveexec_b64 vcc, s[28:29]
	s_xor_b64 s[28:29], exec, vcc
; %bb.4048:                             ;   in Loop: Header=BB2_4024 Depth=4
	v_min_i32_e32 v3, 31, v4
	v_lshl_or_b32 v3, v3, 2, v15
	v_and_or_b32 v59, v2, 3, v3
                                        ; implicit-def: $vgpr15
; %bb.4049:                             ;   in Loop: Header=BB2_4024 Depth=4
	s_andn2_saveexec_b64 s[28:29], s[28:29]
; %bb.4050:                             ;   in Loop: Header=BB2_4024 Depth=4
	v_mov_b32_e32 v59, v15
; %bb.4051:                             ;   in Loop: Header=BB2_4024 Depth=4
	s_or_b64 exec, exec, s[28:29]
.LBB2_4052:                             ;   in Loop: Header=BB2_4024 Depth=4
	s_or_b64 exec, exec, s[38:39]
                                        ; implicit-def: $vgpr15
.LBB2_4053:                             ;   in Loop: Header=BB2_4024 Depth=4
	s_andn2_saveexec_b64 s[28:29], s[36:37]
; %bb.4054:                             ;   in Loop: Header=BB2_4024 Depth=4
	v_or_b32_e32 v59, 0x7b, v15
; %bb.4055:                             ;   in Loop: Header=BB2_4024 Depth=4
	s_or_b64 exec, exec, s[28:29]
                                        ; implicit-def: $vgpr2
.LBB2_4056:                             ;   in Loop: Header=BB2_4024 Depth=4
	s_andn2_saveexec_b64 s[28:29], s[34:35]
	s_cbranch_execz .LBB2_4062
; %bb.4057:                             ;   in Loop: Header=BB2_4024 Depth=4
	v_cmp_ne_u64_e32 vcc, 0, v[28:29]
                                        ; implicit-def: $vgpr59
	s_and_saveexec_b64 s[34:35], vcc
	s_xor_b64 vcc, exec, s[34:35]
; %bb.4058:                             ;   in Loop: Header=BB2_4024 Depth=4
	v_or_b32_sdwa v59, v2, s47 dst_sel:DWORD dst_unused:UNUSED_PAD src0_sel:BYTE_3 src1_sel:DWORD
                                        ; implicit-def: $vgpr2
; %bb.4059:                             ;   in Loop: Header=BB2_4024 Depth=4
	s_andn2_saveexec_b64 s[34:35], vcc
; %bb.4060:                             ;   in Loop: Header=BB2_4024 Depth=4
	v_cmp_lt_i32_e32 vcc, -1, v2
	v_cndmask_b32_e32 v59, -4, v22, vcc
; %bb.4061:                             ;   in Loop: Header=BB2_4024 Depth=4
	s_or_b64 exec, exec, s[34:35]
.LBB2_4062:                             ;   in Loop: Header=BB2_4024 Depth=4
	s_or_b64 exec, exec, s[28:29]
	flat_load_sbyte v28, v[8:9] offset:64 glc slc
	v_mov_b32_e32 v2, 0
	s_waitcnt vmcnt(0) lgkmcnt(0)
	v_cmp_ne_u16_e32 vcc, 0, v28
	s_and_saveexec_b64 s[28:29], vcc
	s_cbranch_execz .LBB2_4070
; %bb.4063:                             ;   in Loop: Header=BB2_4024 Depth=4
	v_cmp_ne_u16_e32 vcc, s97, v28
	v_bfrev_b32_e32 v2, 1
	s_and_saveexec_b64 s[34:35], vcc
	s_cbranch_execz .LBB2_4069
; %bb.4064:                             ;   in Loop: Header=BB2_4024 Depth=4
	v_and_b32_e32 v2, 0x7c, v28
	v_and_b32_e32 v3, 3, v28
	v_cmp_ne_u32_e32 vcc, s85, v2
                                        ; implicit-def: $vgpr2
	s_and_saveexec_b64 s[36:37], vcc
	s_xor_b64 s[36:37], exec, s[36:37]
	s_cbranch_execz .LBB2_4066
; %bb.4065:                             ;   in Loop: Header=BB2_4024 Depth=4
	v_ffbh_u32_e32 v4, v3
	v_min_u32_e32 v4, 32, v4
	v_and_b32_e32 v2, 0xff, v28
	v_subrev_u32_e32 v15, 29, v4
	v_bfe_u32 v2, v2, 2, 5
	v_lshlrev_b64 v[15:16], v15, v[28:29]
	v_sub_u32_e32 v4, 30, v4
	v_cmp_eq_u32_e32 vcc, 0, v2
	v_and_b32_e32 v15, 3, v15
	v_cndmask_b32_e32 v2, v2, v4, vcc
	v_and_b32_sdwa v4, sext(v28), s86 dst_sel:DWORD dst_unused:UNUSED_PAD src0_sel:WORD_0 src1_sel:DWORD
	v_cndmask_b32_e32 v3, v3, v15, vcc
	v_lshl_add_u32 v2, v2, 23, v4
	v_lshl_or_b32 v2, v3, 21, v2
	v_add_u32_e32 v2, 0x38000000, v2
                                        ; implicit-def: $vgpr3
.LBB2_4066:                             ;   in Loop: Header=BB2_4024 Depth=4
	s_andn2_saveexec_b64 s[36:37], s[36:37]
; %bb.4067:                             ;   in Loop: Header=BB2_4024 Depth=4
	v_cmp_lt_i16_e32 vcc, -1, v28
	v_cndmask_b32_e32 v2, v7, v0, vcc
	v_cmp_eq_u32_e32 vcc, 0, v3
	v_cndmask_b32_e32 v2, v35, v2, vcc
; %bb.4068:                             ;   in Loop: Header=BB2_4024 Depth=4
	s_or_b64 exec, exec, s[36:37]
.LBB2_4069:                             ;   in Loop: Header=BB2_4024 Depth=4
	s_or_b64 exec, exec, s[34:35]
.LBB2_4070:                             ;   in Loop: Header=BB2_4024 Depth=4
	s_or_b64 exec, exec, s[28:29]
	v_mul_f32_e32 v2, v14, v2
	v_and_b32_e32 v3, 0x7f800000, v2
	v_mov_b32_e32 v4, v29
	v_cmp_ne_u64_e32 vcc, s[76:77], v[3:4]
	v_and_b32_e32 v28, 0x7fffff, v2
                                        ; implicit-def: $vgpr16
	s_and_saveexec_b64 s[28:29], vcc
	s_xor_b64 s[34:35], exec, s[28:29]
	s_cbranch_execz .LBB2_4088
; %bb.4071:                             ;   in Loop: Header=BB2_4024 Depth=4
	v_and_b32_e32 v3, 0x7fffffff, v2
	v_mov_b32_e32 v4, v29
	v_cmp_gt_u64_e32 vcc, s[78:79], v[3:4]
	v_and_b32_sdwa v15, v2, s96 dst_sel:DWORD dst_unused:UNUSED_PAD src0_sel:BYTE_3 src1_sel:DWORD
                                        ; implicit-def: $vgpr16
	s_and_saveexec_b64 s[28:29], vcc
	s_xor_b64 s[36:37], exec, s[28:29]
	s_cbranch_execz .LBB2_4085
; %bb.4072:                             ;   in Loop: Header=BB2_4024 Depth=4
	v_cmp_ne_u32_e32 vcc, 0, v2
	v_mov_b32_e32 v16, 0
	s_and_saveexec_b64 s[38:39], vcc
	s_cbranch_execz .LBB2_4084
; %bb.4073:                             ;   in Loop: Header=BB2_4024 Depth=4
	v_bfe_u32 v16, v2, 23, 8
	v_cmp_gt_u32_e64 s[28:29], s46, v16
	v_sub_u32_e32 v2, 0x71, v16
	v_cmp_eq_u32_e32 vcc, 0, v16
	v_cndmask_b32_e64 v2, 0, v2, s[28:29]
	v_mov_b32_e32 v4, 0x70
	v_cndmask_b32_e32 v17, v2, v4, vcc
	v_or_b32_e32 v3, 0x800000, v28
	v_add_u32_e32 v2, 21, v17
	v_cndmask_b32_e32 v28, v3, v28, vcc
	v_lshlrev_b64 v[2:3], v2, -1
	v_add_u32_e32 v4, 20, v17
	v_lshlrev_b64 v[18:19], v4, 1
	v_bfi_b32 v3, v3, 0, 0
	v_bfi_b32 v2, v2, 0, v28
	v_cmp_eq_u64_e64 s[28:29], v[2:3], v[18:19]
	v_lshrrev_b64 v[2:3], v17, v[28:29]
	v_mov_b32_e32 v4, v3
	v_mov_b32_e32 v3, v2
	s_and_saveexec_b64 s[48:49], s[28:29]
; %bb.4074:                             ;   in Loop: Header=BB2_4024 Depth=4
	v_bfe_u32 v3, v2, 21, 1
	v_add_co_u32_e64 v3, s[28:29], v2, v3
	v_add_co_u32_e64 v3, s[28:29], -1, v3
; %bb.4075:                             ;   in Loop: Header=BB2_4024 Depth=4
	s_or_b64 exec, exec, s[48:49]
	v_add_u32_e32 v4, 0xffffff81, v16
	v_cndmask_b32_e32 v4, v4, v1, vcc
	v_lshrrev_b32_e32 v16, 23, v2
	v_add3_u32 v17, v17, v4, v16
	v_add_u32_e32 v16, 14, v17
	v_and_b32_e32 v3, 0x1fffff, v3
	v_add_u32_e32 v28, v3, v2
	v_cmp_ne_u32_e32 vcc, 0, v16
                                        ; implicit-def: $vgpr2_vgpr3
                                        ; implicit-def: $vgpr4
	s_and_saveexec_b64 s[28:29], vcc
	s_xor_b64 s[28:29], exec, s[28:29]
; %bb.4076:                             ;   in Loop: Header=BB2_4024 Depth=4
	v_cmp_lt_u64_e32 vcc, s[88:89], v[28:29]
	v_add_u32_e32 v2, 15, v17
	v_cndmask_b32_e32 v4, v16, v2, vcc
	v_cndmask_b32_e64 v2, 0, 1, vcc
	v_lshrrev_b64 v[2:3], v2, v[28:29]
; %bb.4077:                             ;   in Loop: Header=BB2_4024 Depth=4
	s_andn2_saveexec_b64 s[28:29], s[28:29]
; %bb.4078:                             ;   in Loop: Header=BB2_4024 Depth=4
	v_mov_b32_e32 v2, v28
	v_bfe_u32 v4, v28, 23, 1
	v_mov_b32_e32 v3, v29
; %bb.4079:                             ;   in Loop: Header=BB2_4024 Depth=4
	s_or_b64 exec, exec, s[28:29]
	v_lshrrev_b64 v[2:3], 21, v[2:3]
	v_cmp_gt_i32_e32 vcc, 32, v4
	v_cndmask_b32_e32 v3, 0, v3, vcc
	v_cndmask_b32_e32 v2, 3, v2, vcc
	v_cmp_ne_u64_e32 vcc, 0, v[2:3]
	v_cmp_ne_u32_e64 s[28:29], 0, v4
	s_or_b64 s[28:29], s[28:29], vcc
                                        ; implicit-def: $vgpr16
	s_and_saveexec_b64 vcc, s[28:29]
	s_xor_b64 s[28:29], exec, vcc
; %bb.4080:                             ;   in Loop: Header=BB2_4024 Depth=4
	v_min_i32_e32 v3, 31, v4
	v_lshl_or_b32 v3, v3, 2, v15
	v_and_or_b32 v16, v2, 3, v3
                                        ; implicit-def: $vgpr15
; %bb.4081:                             ;   in Loop: Header=BB2_4024 Depth=4
	s_andn2_saveexec_b64 s[28:29], s[28:29]
; %bb.4082:                             ;   in Loop: Header=BB2_4024 Depth=4
	v_mov_b32_e32 v16, v15
; %bb.4083:                             ;   in Loop: Header=BB2_4024 Depth=4
	s_or_b64 exec, exec, s[28:29]
.LBB2_4084:                             ;   in Loop: Header=BB2_4024 Depth=4
	s_or_b64 exec, exec, s[38:39]
                                        ; implicit-def: $vgpr15
.LBB2_4085:                             ;   in Loop: Header=BB2_4024 Depth=4
	s_andn2_saveexec_b64 s[28:29], s[36:37]
; %bb.4086:                             ;   in Loop: Header=BB2_4024 Depth=4
	v_or_b32_e32 v16, 0x7b, v15
; %bb.4087:                             ;   in Loop: Header=BB2_4024 Depth=4
	s_or_b64 exec, exec, s[28:29]
                                        ; implicit-def: $vgpr2
.LBB2_4088:                             ;   in Loop: Header=BB2_4024 Depth=4
	s_andn2_saveexec_b64 s[28:29], s[34:35]
	s_cbranch_execz .LBB2_4094
; %bb.4089:                             ;   in Loop: Header=BB2_4024 Depth=4
	v_cmp_ne_u64_e32 vcc, 0, v[28:29]
                                        ; implicit-def: $vgpr16
	s_and_saveexec_b64 s[34:35], vcc
	s_xor_b64 vcc, exec, s[34:35]
; %bb.4090:                             ;   in Loop: Header=BB2_4024 Depth=4
	v_or_b32_sdwa v16, v2, s47 dst_sel:DWORD dst_unused:UNUSED_PAD src0_sel:BYTE_3 src1_sel:DWORD
                                        ; implicit-def: $vgpr2
; %bb.4091:                             ;   in Loop: Header=BB2_4024 Depth=4
	s_andn2_saveexec_b64 s[34:35], vcc
; %bb.4092:                             ;   in Loop: Header=BB2_4024 Depth=4
	v_cmp_lt_i32_e32 vcc, -1, v2
	v_cndmask_b32_e32 v16, -4, v22, vcc
; %bb.4093:                             ;   in Loop: Header=BB2_4024 Depth=4
	s_or_b64 exec, exec, s[34:35]
.LBB2_4094:                             ;   in Loop: Header=BB2_4024 Depth=4
	s_or_b64 exec, exec, s[28:29]
	flat_load_sbyte v28, v[8:9] offset:128 glc slc
	v_mov_b32_e32 v2, 0
	s_waitcnt vmcnt(0) lgkmcnt(0)
	v_cmp_ne_u16_e32 vcc, 0, v28
	s_and_saveexec_b64 s[28:29], vcc
	s_cbranch_execz .LBB2_4102
; %bb.4095:                             ;   in Loop: Header=BB2_4024 Depth=4
	v_cmp_ne_u16_e32 vcc, s97, v28
	v_bfrev_b32_e32 v2, 1
	s_and_saveexec_b64 s[34:35], vcc
	s_cbranch_execz .LBB2_4101
; %bb.4096:                             ;   in Loop: Header=BB2_4024 Depth=4
	v_and_b32_e32 v2, 0x7c, v28
	v_and_b32_e32 v3, 3, v28
	v_cmp_ne_u32_e32 vcc, s85, v2
                                        ; implicit-def: $vgpr2
	s_and_saveexec_b64 s[36:37], vcc
	s_xor_b64 s[36:37], exec, s[36:37]
	s_cbranch_execz .LBB2_4098
; %bb.4097:                             ;   in Loop: Header=BB2_4024 Depth=4
	v_ffbh_u32_e32 v4, v3
	v_min_u32_e32 v4, 32, v4
	v_and_b32_e32 v2, 0xff, v28
	v_subrev_u32_e32 v15, 29, v4
	v_bfe_u32 v2, v2, 2, 5
	v_lshlrev_b64 v[17:18], v15, v[28:29]
	v_sub_u32_e32 v4, 30, v4
	v_cmp_eq_u32_e32 vcc, 0, v2
	v_and_b32_e32 v15, 3, v17
	v_cndmask_b32_e32 v2, v2, v4, vcc
	v_and_b32_sdwa v4, sext(v28), s86 dst_sel:DWORD dst_unused:UNUSED_PAD src0_sel:WORD_0 src1_sel:DWORD
	v_cndmask_b32_e32 v3, v3, v15, vcc
	v_lshl_add_u32 v2, v2, 23, v4
	v_lshl_or_b32 v2, v3, 21, v2
	v_add_u32_e32 v2, 0x38000000, v2
                                        ; implicit-def: $vgpr3
.LBB2_4098:                             ;   in Loop: Header=BB2_4024 Depth=4
	s_andn2_saveexec_b64 s[36:37], s[36:37]
; %bb.4099:                             ;   in Loop: Header=BB2_4024 Depth=4
	v_cmp_lt_i16_e32 vcc, -1, v28
	v_cndmask_b32_e32 v2, v7, v0, vcc
	v_cmp_eq_u32_e32 vcc, 0, v3
	v_cndmask_b32_e32 v2, v35, v2, vcc
; %bb.4100:                             ;   in Loop: Header=BB2_4024 Depth=4
	s_or_b64 exec, exec, s[36:37]
.LBB2_4101:                             ;   in Loop: Header=BB2_4024 Depth=4
	s_or_b64 exec, exec, s[34:35]
.LBB2_4102:                             ;   in Loop: Header=BB2_4024 Depth=4
	s_or_b64 exec, exec, s[28:29]
	v_mul_f32_e32 v2, v14, v2
	v_and_b32_e32 v3, 0x7f800000, v2
	v_mov_b32_e32 v4, v29
	v_cmp_ne_u64_e32 vcc, s[76:77], v[3:4]
	v_and_b32_e32 v28, 0x7fffff, v2
                                        ; implicit-def: $vgpr56
	s_and_saveexec_b64 s[28:29], vcc
	s_xor_b64 s[34:35], exec, s[28:29]
	s_cbranch_execz .LBB2_4120
; %bb.4103:                             ;   in Loop: Header=BB2_4024 Depth=4
	v_and_b32_e32 v3, 0x7fffffff, v2
	v_mov_b32_e32 v4, v29
	v_cmp_gt_u64_e32 vcc, s[78:79], v[3:4]
	v_and_b32_sdwa v15, v2, s96 dst_sel:DWORD dst_unused:UNUSED_PAD src0_sel:BYTE_3 src1_sel:DWORD
                                        ; implicit-def: $vgpr56
	s_and_saveexec_b64 s[28:29], vcc
	s_xor_b64 s[36:37], exec, s[28:29]
	s_cbranch_execz .LBB2_4117
; %bb.4104:                             ;   in Loop: Header=BB2_4024 Depth=4
	v_cmp_ne_u32_e32 vcc, 0, v2
	v_mov_b32_e32 v56, 0
	s_and_saveexec_b64 s[38:39], vcc
	s_cbranch_execz .LBB2_4116
; %bb.4105:                             ;   in Loop: Header=BB2_4024 Depth=4
	v_bfe_u32 v17, v2, 23, 8
	v_cmp_gt_u32_e64 s[28:29], s46, v17
	v_sub_u32_e32 v2, 0x71, v17
	v_cmp_eq_u32_e32 vcc, 0, v17
	v_cndmask_b32_e64 v2, 0, v2, s[28:29]
	v_mov_b32_e32 v4, 0x70
	v_cndmask_b32_e32 v18, v2, v4, vcc
	v_or_b32_e32 v3, 0x800000, v28
	v_add_u32_e32 v2, 21, v18
	v_cndmask_b32_e32 v28, v3, v28, vcc
	v_lshlrev_b64 v[2:3], v2, -1
	v_add_u32_e32 v4, 20, v18
	v_lshlrev_b64 v[30:31], v4, 1
	v_bfi_b32 v3, v3, 0, 0
	v_bfi_b32 v2, v2, 0, v28
	v_cmp_eq_u64_e64 s[28:29], v[2:3], v[30:31]
	v_lshrrev_b64 v[2:3], v18, v[28:29]
	v_mov_b32_e32 v4, v3
	v_mov_b32_e32 v3, v2
	s_and_saveexec_b64 s[48:49], s[28:29]
; %bb.4106:                             ;   in Loop: Header=BB2_4024 Depth=4
	v_bfe_u32 v3, v2, 21, 1
	v_add_co_u32_e64 v3, s[28:29], v2, v3
	v_add_co_u32_e64 v3, s[28:29], -1, v3
; %bb.4107:                             ;   in Loop: Header=BB2_4024 Depth=4
	s_or_b64 exec, exec, s[48:49]
	v_add_u32_e32 v4, 0xffffff81, v17
	v_cndmask_b32_e32 v4, v4, v1, vcc
	v_lshrrev_b32_e32 v17, 23, v2
	v_add3_u32 v18, v18, v4, v17
	v_add_u32_e32 v17, 14, v18
	v_and_b32_e32 v3, 0x1fffff, v3
	v_add_u32_e32 v28, v3, v2
	v_cmp_ne_u32_e32 vcc, 0, v17
                                        ; implicit-def: $vgpr2_vgpr3
                                        ; implicit-def: $vgpr4
	s_and_saveexec_b64 s[28:29], vcc
	s_xor_b64 s[28:29], exec, s[28:29]
; %bb.4108:                             ;   in Loop: Header=BB2_4024 Depth=4
	v_cmp_lt_u64_e32 vcc, s[88:89], v[28:29]
	v_add_u32_e32 v2, 15, v18
	v_cndmask_b32_e32 v4, v17, v2, vcc
	v_cndmask_b32_e64 v2, 0, 1, vcc
	v_lshrrev_b64 v[2:3], v2, v[28:29]
; %bb.4109:                             ;   in Loop: Header=BB2_4024 Depth=4
	s_andn2_saveexec_b64 s[28:29], s[28:29]
; %bb.4110:                             ;   in Loop: Header=BB2_4024 Depth=4
	v_mov_b32_e32 v2, v28
	v_bfe_u32 v4, v28, 23, 1
	v_mov_b32_e32 v3, v29
; %bb.4111:                             ;   in Loop: Header=BB2_4024 Depth=4
	s_or_b64 exec, exec, s[28:29]
	v_lshrrev_b64 v[2:3], 21, v[2:3]
	v_cmp_gt_i32_e32 vcc, 32, v4
	v_cndmask_b32_e32 v3, 0, v3, vcc
	v_cndmask_b32_e32 v2, 3, v2, vcc
	v_cmp_ne_u64_e32 vcc, 0, v[2:3]
	v_cmp_ne_u32_e64 s[28:29], 0, v4
	s_or_b64 s[28:29], s[28:29], vcc
                                        ; implicit-def: $vgpr56
	s_and_saveexec_b64 vcc, s[28:29]
	s_xor_b64 s[28:29], exec, vcc
; %bb.4112:                             ;   in Loop: Header=BB2_4024 Depth=4
	v_min_i32_e32 v3, 31, v4
	v_lshl_or_b32 v3, v3, 2, v15
	v_and_or_b32 v56, v2, 3, v3
                                        ; implicit-def: $vgpr15
; %bb.4113:                             ;   in Loop: Header=BB2_4024 Depth=4
	s_andn2_saveexec_b64 s[28:29], s[28:29]
; %bb.4114:                             ;   in Loop: Header=BB2_4024 Depth=4
	v_mov_b32_e32 v56, v15
; %bb.4115:                             ;   in Loop: Header=BB2_4024 Depth=4
	s_or_b64 exec, exec, s[28:29]
.LBB2_4116:                             ;   in Loop: Header=BB2_4024 Depth=4
	s_or_b64 exec, exec, s[38:39]
                                        ; implicit-def: $vgpr15
.LBB2_4117:                             ;   in Loop: Header=BB2_4024 Depth=4
	s_andn2_saveexec_b64 s[28:29], s[36:37]
; %bb.4118:                             ;   in Loop: Header=BB2_4024 Depth=4
	v_or_b32_e32 v56, 0x7b, v15
; %bb.4119:                             ;   in Loop: Header=BB2_4024 Depth=4
	s_or_b64 exec, exec, s[28:29]
                                        ; implicit-def: $vgpr2
.LBB2_4120:                             ;   in Loop: Header=BB2_4024 Depth=4
	s_andn2_saveexec_b64 s[28:29], s[34:35]
	s_cbranch_execz .LBB2_4126
; %bb.4121:                             ;   in Loop: Header=BB2_4024 Depth=4
	v_cmp_ne_u64_e32 vcc, 0, v[28:29]
                                        ; implicit-def: $vgpr56
	s_and_saveexec_b64 s[34:35], vcc
	s_xor_b64 vcc, exec, s[34:35]
; %bb.4122:                             ;   in Loop: Header=BB2_4024 Depth=4
	v_or_b32_sdwa v56, v2, s47 dst_sel:DWORD dst_unused:UNUSED_PAD src0_sel:BYTE_3 src1_sel:DWORD
                                        ; implicit-def: $vgpr2
; %bb.4123:                             ;   in Loop: Header=BB2_4024 Depth=4
	s_andn2_saveexec_b64 s[34:35], vcc
; %bb.4124:                             ;   in Loop: Header=BB2_4024 Depth=4
	v_cmp_lt_i32_e32 vcc, -1, v2
	v_cndmask_b32_e32 v56, -4, v22, vcc
; %bb.4125:                             ;   in Loop: Header=BB2_4024 Depth=4
	s_or_b64 exec, exec, s[34:35]
.LBB2_4126:                             ;   in Loop: Header=BB2_4024 Depth=4
	s_or_b64 exec, exec, s[28:29]
	flat_load_sbyte v28, v[8:9] offset:192 glc slc
	v_mov_b32_e32 v2, 0
	s_waitcnt vmcnt(0) lgkmcnt(0)
	v_cmp_ne_u16_e32 vcc, 0, v28
	s_and_saveexec_b64 s[28:29], vcc
	s_cbranch_execz .LBB2_4134
; %bb.4127:                             ;   in Loop: Header=BB2_4024 Depth=4
	v_cmp_ne_u16_e32 vcc, s97, v28
	v_bfrev_b32_e32 v2, 1
	s_and_saveexec_b64 s[34:35], vcc
	s_cbranch_execz .LBB2_4133
; %bb.4128:                             ;   in Loop: Header=BB2_4024 Depth=4
	v_and_b32_e32 v2, 0x7c, v28
	v_and_b32_e32 v3, 3, v28
	v_cmp_ne_u32_e32 vcc, s85, v2
                                        ; implicit-def: $vgpr2
	s_and_saveexec_b64 s[36:37], vcc
	s_xor_b64 s[36:37], exec, s[36:37]
	s_cbranch_execz .LBB2_4130
; %bb.4129:                             ;   in Loop: Header=BB2_4024 Depth=4
	v_ffbh_u32_e32 v4, v3
	v_min_u32_e32 v4, 32, v4
	v_and_b32_e32 v2, 0xff, v28
	v_subrev_u32_e32 v15, 29, v4
	v_bfe_u32 v2, v2, 2, 5
	v_lshlrev_b64 v[17:18], v15, v[28:29]
	v_sub_u32_e32 v4, 30, v4
	v_cmp_eq_u32_e32 vcc, 0, v2
	v_and_b32_e32 v15, 3, v17
	v_cndmask_b32_e32 v2, v2, v4, vcc
	v_and_b32_sdwa v4, sext(v28), s86 dst_sel:DWORD dst_unused:UNUSED_PAD src0_sel:WORD_0 src1_sel:DWORD
	v_cndmask_b32_e32 v3, v3, v15, vcc
	v_lshl_add_u32 v2, v2, 23, v4
	v_lshl_or_b32 v2, v3, 21, v2
	v_add_u32_e32 v2, 0x38000000, v2
                                        ; implicit-def: $vgpr3
.LBB2_4130:                             ;   in Loop: Header=BB2_4024 Depth=4
	s_andn2_saveexec_b64 s[36:37], s[36:37]
; %bb.4131:                             ;   in Loop: Header=BB2_4024 Depth=4
	v_cmp_lt_i16_e32 vcc, -1, v28
	v_cndmask_b32_e32 v2, v7, v0, vcc
	v_cmp_eq_u32_e32 vcc, 0, v3
	v_cndmask_b32_e32 v2, v35, v2, vcc
; %bb.4132:                             ;   in Loop: Header=BB2_4024 Depth=4
	s_or_b64 exec, exec, s[36:37]
.LBB2_4133:                             ;   in Loop: Header=BB2_4024 Depth=4
	s_or_b64 exec, exec, s[34:35]
.LBB2_4134:                             ;   in Loop: Header=BB2_4024 Depth=4
	s_or_b64 exec, exec, s[28:29]
	v_mul_f32_e32 v2, v14, v2
	v_and_b32_e32 v3, 0x7f800000, v2
	v_mov_b32_e32 v4, v29
	v_cmp_ne_u64_e32 vcc, s[76:77], v[3:4]
	v_and_b32_e32 v28, 0x7fffff, v2
                                        ; implicit-def: $vgpr46
	s_and_saveexec_b64 s[28:29], vcc
	s_xor_b64 s[34:35], exec, s[28:29]
	s_cbranch_execz .LBB2_4152
; %bb.4135:                             ;   in Loop: Header=BB2_4024 Depth=4
	v_and_b32_e32 v3, 0x7fffffff, v2
	v_mov_b32_e32 v4, v29
	v_cmp_gt_u64_e32 vcc, s[78:79], v[3:4]
	v_and_b32_sdwa v15, v2, s96 dst_sel:DWORD dst_unused:UNUSED_PAD src0_sel:BYTE_3 src1_sel:DWORD
                                        ; implicit-def: $vgpr46
	s_and_saveexec_b64 s[28:29], vcc
	s_xor_b64 s[36:37], exec, s[28:29]
	s_cbranch_execz .LBB2_4149
; %bb.4136:                             ;   in Loop: Header=BB2_4024 Depth=4
	v_cmp_ne_u32_e32 vcc, 0, v2
	v_mov_b32_e32 v46, 0
	s_and_saveexec_b64 s[38:39], vcc
	s_cbranch_execz .LBB2_4148
; %bb.4137:                             ;   in Loop: Header=BB2_4024 Depth=4
	v_bfe_u32 v17, v2, 23, 8
	v_cmp_gt_u32_e64 s[28:29], s46, v17
	v_sub_u32_e32 v2, 0x71, v17
	v_cmp_eq_u32_e32 vcc, 0, v17
	v_cndmask_b32_e64 v2, 0, v2, s[28:29]
	v_mov_b32_e32 v4, 0x70
	v_cndmask_b32_e32 v18, v2, v4, vcc
	v_or_b32_e32 v3, 0x800000, v28
	v_add_u32_e32 v2, 21, v18
	v_cndmask_b32_e32 v28, v3, v28, vcc
	v_lshlrev_b64 v[2:3], v2, -1
	v_add_u32_e32 v4, 20, v18
	v_lshlrev_b64 v[30:31], v4, 1
	v_bfi_b32 v3, v3, 0, 0
	v_bfi_b32 v2, v2, 0, v28
	v_cmp_eq_u64_e64 s[28:29], v[2:3], v[30:31]
	v_lshrrev_b64 v[2:3], v18, v[28:29]
	v_mov_b32_e32 v4, v3
	v_mov_b32_e32 v3, v2
	s_and_saveexec_b64 s[48:49], s[28:29]
; %bb.4138:                             ;   in Loop: Header=BB2_4024 Depth=4
	v_bfe_u32 v3, v2, 21, 1
	v_add_co_u32_e64 v3, s[28:29], v2, v3
	v_add_co_u32_e64 v3, s[28:29], -1, v3
; %bb.4139:                             ;   in Loop: Header=BB2_4024 Depth=4
	s_or_b64 exec, exec, s[48:49]
	v_add_u32_e32 v4, 0xffffff81, v17
	v_cndmask_b32_e32 v4, v4, v1, vcc
	v_lshrrev_b32_e32 v17, 23, v2
	v_add3_u32 v18, v18, v4, v17
	v_add_u32_e32 v17, 14, v18
	v_and_b32_e32 v3, 0x1fffff, v3
	v_add_u32_e32 v28, v3, v2
	v_cmp_ne_u32_e32 vcc, 0, v17
                                        ; implicit-def: $vgpr2_vgpr3
                                        ; implicit-def: $vgpr4
	s_and_saveexec_b64 s[28:29], vcc
	s_xor_b64 s[28:29], exec, s[28:29]
; %bb.4140:                             ;   in Loop: Header=BB2_4024 Depth=4
	v_cmp_lt_u64_e32 vcc, s[88:89], v[28:29]
	v_add_u32_e32 v2, 15, v18
	v_cndmask_b32_e32 v4, v17, v2, vcc
	v_cndmask_b32_e64 v2, 0, 1, vcc
	v_lshrrev_b64 v[2:3], v2, v[28:29]
; %bb.4141:                             ;   in Loop: Header=BB2_4024 Depth=4
	s_andn2_saveexec_b64 s[28:29], s[28:29]
; %bb.4142:                             ;   in Loop: Header=BB2_4024 Depth=4
	v_mov_b32_e32 v2, v28
	v_bfe_u32 v4, v28, 23, 1
	v_mov_b32_e32 v3, v29
; %bb.4143:                             ;   in Loop: Header=BB2_4024 Depth=4
	s_or_b64 exec, exec, s[28:29]
	v_lshrrev_b64 v[2:3], 21, v[2:3]
	v_cmp_gt_i32_e32 vcc, 32, v4
	v_cndmask_b32_e32 v3, 0, v3, vcc
	v_cndmask_b32_e32 v2, 3, v2, vcc
	v_cmp_ne_u64_e32 vcc, 0, v[2:3]
	v_cmp_ne_u32_e64 s[28:29], 0, v4
	s_or_b64 s[28:29], s[28:29], vcc
                                        ; implicit-def: $vgpr46
	s_and_saveexec_b64 vcc, s[28:29]
	s_xor_b64 s[28:29], exec, vcc
; %bb.4144:                             ;   in Loop: Header=BB2_4024 Depth=4
	v_min_i32_e32 v3, 31, v4
	v_lshl_or_b32 v3, v3, 2, v15
	v_and_or_b32 v46, v2, 3, v3
                                        ; implicit-def: $vgpr15
; %bb.4145:                             ;   in Loop: Header=BB2_4024 Depth=4
	s_andn2_saveexec_b64 s[28:29], s[28:29]
; %bb.4146:                             ;   in Loop: Header=BB2_4024 Depth=4
	v_mov_b32_e32 v46, v15
; %bb.4147:                             ;   in Loop: Header=BB2_4024 Depth=4
	s_or_b64 exec, exec, s[28:29]
.LBB2_4148:                             ;   in Loop: Header=BB2_4024 Depth=4
	s_or_b64 exec, exec, s[38:39]
                                        ; implicit-def: $vgpr15
.LBB2_4149:                             ;   in Loop: Header=BB2_4024 Depth=4
	s_andn2_saveexec_b64 s[28:29], s[36:37]
; %bb.4150:                             ;   in Loop: Header=BB2_4024 Depth=4
	v_or_b32_e32 v46, 0x7b, v15
; %bb.4151:                             ;   in Loop: Header=BB2_4024 Depth=4
	s_or_b64 exec, exec, s[28:29]
                                        ; implicit-def: $vgpr2
.LBB2_4152:                             ;   in Loop: Header=BB2_4024 Depth=4
	s_andn2_saveexec_b64 s[28:29], s[34:35]
	s_cbranch_execz .LBB2_4158
; %bb.4153:                             ;   in Loop: Header=BB2_4024 Depth=4
	v_cmp_ne_u64_e32 vcc, 0, v[28:29]
                                        ; implicit-def: $vgpr46
	s_and_saveexec_b64 s[34:35], vcc
	s_xor_b64 vcc, exec, s[34:35]
; %bb.4154:                             ;   in Loop: Header=BB2_4024 Depth=4
	v_or_b32_sdwa v46, v2, s47 dst_sel:DWORD dst_unused:UNUSED_PAD src0_sel:BYTE_3 src1_sel:DWORD
                                        ; implicit-def: $vgpr2
; %bb.4155:                             ;   in Loop: Header=BB2_4024 Depth=4
	s_andn2_saveexec_b64 s[34:35], vcc
; %bb.4156:                             ;   in Loop: Header=BB2_4024 Depth=4
	v_cmp_lt_i32_e32 vcc, -1, v2
	v_cndmask_b32_e32 v46, -4, v22, vcc
; %bb.4157:                             ;   in Loop: Header=BB2_4024 Depth=4
	s_or_b64 exec, exec, s[34:35]
.LBB2_4158:                             ;   in Loop: Header=BB2_4024 Depth=4
	s_or_b64 exec, exec, s[28:29]
	flat_load_sbyte v28, v[8:9] offset:256 glc slc
	v_mov_b32_e32 v2, 0
	s_waitcnt vmcnt(0) lgkmcnt(0)
	v_cmp_ne_u16_e32 vcc, 0, v28
	s_and_saveexec_b64 s[28:29], vcc
	s_cbranch_execz .LBB2_4166
; %bb.4159:                             ;   in Loop: Header=BB2_4024 Depth=4
	v_cmp_ne_u16_e32 vcc, s97, v28
	v_bfrev_b32_e32 v2, 1
	s_and_saveexec_b64 s[34:35], vcc
	s_cbranch_execz .LBB2_4165
; %bb.4160:                             ;   in Loop: Header=BB2_4024 Depth=4
	v_and_b32_e32 v2, 0x7c, v28
	v_and_b32_e32 v3, 3, v28
	v_cmp_ne_u32_e32 vcc, s85, v2
                                        ; implicit-def: $vgpr2
	s_and_saveexec_b64 s[36:37], vcc
	s_xor_b64 s[36:37], exec, s[36:37]
	s_cbranch_execz .LBB2_4162
; %bb.4161:                             ;   in Loop: Header=BB2_4024 Depth=4
	v_ffbh_u32_e32 v4, v3
	v_min_u32_e32 v4, 32, v4
	v_and_b32_e32 v2, 0xff, v28
	v_subrev_u32_e32 v15, 29, v4
	v_bfe_u32 v2, v2, 2, 5
	v_lshlrev_b64 v[17:18], v15, v[28:29]
	v_sub_u32_e32 v4, 30, v4
	v_cmp_eq_u32_e32 vcc, 0, v2
	v_and_b32_e32 v15, 3, v17
	v_cndmask_b32_e32 v2, v2, v4, vcc
	v_and_b32_sdwa v4, sext(v28), s86 dst_sel:DWORD dst_unused:UNUSED_PAD src0_sel:WORD_0 src1_sel:DWORD
	v_cndmask_b32_e32 v3, v3, v15, vcc
	v_lshl_add_u32 v2, v2, 23, v4
	v_lshl_or_b32 v2, v3, 21, v2
	v_add_u32_e32 v2, 0x38000000, v2
                                        ; implicit-def: $vgpr3
.LBB2_4162:                             ;   in Loop: Header=BB2_4024 Depth=4
	s_andn2_saveexec_b64 s[36:37], s[36:37]
; %bb.4163:                             ;   in Loop: Header=BB2_4024 Depth=4
	v_cmp_lt_i16_e32 vcc, -1, v28
	v_cndmask_b32_e32 v2, v7, v0, vcc
	v_cmp_eq_u32_e32 vcc, 0, v3
	v_cndmask_b32_e32 v2, v35, v2, vcc
; %bb.4164:                             ;   in Loop: Header=BB2_4024 Depth=4
	s_or_b64 exec, exec, s[36:37]
.LBB2_4165:                             ;   in Loop: Header=BB2_4024 Depth=4
	s_or_b64 exec, exec, s[34:35]
.LBB2_4166:                             ;   in Loop: Header=BB2_4024 Depth=4
	s_or_b64 exec, exec, s[28:29]
	v_mul_f32_e32 v2, v14, v2
	v_and_b32_e32 v3, 0x7f800000, v2
	v_mov_b32_e32 v4, v29
	v_cmp_ne_u64_e32 vcc, s[76:77], v[3:4]
	v_and_b32_e32 v28, 0x7fffff, v2
                                        ; implicit-def: $vgpr45
	s_and_saveexec_b64 s[28:29], vcc
	s_xor_b64 s[34:35], exec, s[28:29]
	s_cbranch_execz .LBB2_4184
; %bb.4167:                             ;   in Loop: Header=BB2_4024 Depth=4
	v_and_b32_e32 v3, 0x7fffffff, v2
	v_mov_b32_e32 v4, v29
	v_cmp_gt_u64_e32 vcc, s[78:79], v[3:4]
	v_and_b32_sdwa v15, v2, s96 dst_sel:DWORD dst_unused:UNUSED_PAD src0_sel:BYTE_3 src1_sel:DWORD
                                        ; implicit-def: $vgpr45
	s_and_saveexec_b64 s[28:29], vcc
	s_xor_b64 s[36:37], exec, s[28:29]
	s_cbranch_execz .LBB2_4181
; %bb.4168:                             ;   in Loop: Header=BB2_4024 Depth=4
	v_cmp_ne_u32_e32 vcc, 0, v2
	v_mov_b32_e32 v45, 0
	s_and_saveexec_b64 s[38:39], vcc
	s_cbranch_execz .LBB2_4180
; %bb.4169:                             ;   in Loop: Header=BB2_4024 Depth=4
	v_bfe_u32 v17, v2, 23, 8
	v_cmp_gt_u32_e64 s[28:29], s46, v17
	v_sub_u32_e32 v2, 0x71, v17
	v_cmp_eq_u32_e32 vcc, 0, v17
	v_cndmask_b32_e64 v2, 0, v2, s[28:29]
	v_mov_b32_e32 v4, 0x70
	v_cndmask_b32_e32 v18, v2, v4, vcc
	v_or_b32_e32 v3, 0x800000, v28
	v_add_u32_e32 v2, 21, v18
	v_cndmask_b32_e32 v28, v3, v28, vcc
	v_lshlrev_b64 v[2:3], v2, -1
	v_add_u32_e32 v4, 20, v18
	v_lshlrev_b64 v[30:31], v4, 1
	v_bfi_b32 v3, v3, 0, 0
	v_bfi_b32 v2, v2, 0, v28
	v_cmp_eq_u64_e64 s[28:29], v[2:3], v[30:31]
	v_lshrrev_b64 v[2:3], v18, v[28:29]
	v_mov_b32_e32 v4, v3
	v_mov_b32_e32 v3, v2
	s_and_saveexec_b64 s[48:49], s[28:29]
; %bb.4170:                             ;   in Loop: Header=BB2_4024 Depth=4
	v_bfe_u32 v3, v2, 21, 1
	v_add_co_u32_e64 v3, s[28:29], v2, v3
	v_add_co_u32_e64 v3, s[28:29], -1, v3
; %bb.4171:                             ;   in Loop: Header=BB2_4024 Depth=4
	s_or_b64 exec, exec, s[48:49]
	v_add_u32_e32 v4, 0xffffff81, v17
	v_cndmask_b32_e32 v4, v4, v1, vcc
	v_lshrrev_b32_e32 v17, 23, v2
	v_add3_u32 v18, v18, v4, v17
	v_add_u32_e32 v17, 14, v18
	v_and_b32_e32 v3, 0x1fffff, v3
	v_add_u32_e32 v28, v3, v2
	v_cmp_ne_u32_e32 vcc, 0, v17
                                        ; implicit-def: $vgpr2_vgpr3
                                        ; implicit-def: $vgpr4
	s_and_saveexec_b64 s[28:29], vcc
	s_xor_b64 s[28:29], exec, s[28:29]
; %bb.4172:                             ;   in Loop: Header=BB2_4024 Depth=4
	v_cmp_lt_u64_e32 vcc, s[88:89], v[28:29]
	v_add_u32_e32 v2, 15, v18
	v_cndmask_b32_e32 v4, v17, v2, vcc
	v_cndmask_b32_e64 v2, 0, 1, vcc
	v_lshrrev_b64 v[2:3], v2, v[28:29]
; %bb.4173:                             ;   in Loop: Header=BB2_4024 Depth=4
	s_andn2_saveexec_b64 s[28:29], s[28:29]
; %bb.4174:                             ;   in Loop: Header=BB2_4024 Depth=4
	v_mov_b32_e32 v2, v28
	v_bfe_u32 v4, v28, 23, 1
	v_mov_b32_e32 v3, v29
; %bb.4175:                             ;   in Loop: Header=BB2_4024 Depth=4
	s_or_b64 exec, exec, s[28:29]
	v_lshrrev_b64 v[2:3], 21, v[2:3]
	v_cmp_gt_i32_e32 vcc, 32, v4
	v_cndmask_b32_e32 v3, 0, v3, vcc
	v_cndmask_b32_e32 v2, 3, v2, vcc
	v_cmp_ne_u64_e32 vcc, 0, v[2:3]
	v_cmp_ne_u32_e64 s[28:29], 0, v4
	s_or_b64 s[28:29], s[28:29], vcc
                                        ; implicit-def: $vgpr45
	s_and_saveexec_b64 vcc, s[28:29]
	s_xor_b64 s[28:29], exec, vcc
; %bb.4176:                             ;   in Loop: Header=BB2_4024 Depth=4
	v_min_i32_e32 v3, 31, v4
	v_lshl_or_b32 v3, v3, 2, v15
	v_and_or_b32 v45, v2, 3, v3
                                        ; implicit-def: $vgpr15
; %bb.4177:                             ;   in Loop: Header=BB2_4024 Depth=4
	s_andn2_saveexec_b64 s[28:29], s[28:29]
; %bb.4178:                             ;   in Loop: Header=BB2_4024 Depth=4
	v_mov_b32_e32 v45, v15
; %bb.4179:                             ;   in Loop: Header=BB2_4024 Depth=4
	s_or_b64 exec, exec, s[28:29]
.LBB2_4180:                             ;   in Loop: Header=BB2_4024 Depth=4
	s_or_b64 exec, exec, s[38:39]
                                        ; implicit-def: $vgpr15
.LBB2_4181:                             ;   in Loop: Header=BB2_4024 Depth=4
	s_andn2_saveexec_b64 s[28:29], s[36:37]
; %bb.4182:                             ;   in Loop: Header=BB2_4024 Depth=4
	v_or_b32_e32 v45, 0x7b, v15
; %bb.4183:                             ;   in Loop: Header=BB2_4024 Depth=4
	s_or_b64 exec, exec, s[28:29]
                                        ; implicit-def: $vgpr2
.LBB2_4184:                             ;   in Loop: Header=BB2_4024 Depth=4
	s_andn2_saveexec_b64 s[28:29], s[34:35]
	s_cbranch_execz .LBB2_4190
; %bb.4185:                             ;   in Loop: Header=BB2_4024 Depth=4
	v_cmp_ne_u64_e32 vcc, 0, v[28:29]
                                        ; implicit-def: $vgpr45
	s_and_saveexec_b64 s[34:35], vcc
	s_xor_b64 vcc, exec, s[34:35]
; %bb.4186:                             ;   in Loop: Header=BB2_4024 Depth=4
	v_or_b32_sdwa v45, v2, s47 dst_sel:DWORD dst_unused:UNUSED_PAD src0_sel:BYTE_3 src1_sel:DWORD
                                        ; implicit-def: $vgpr2
; %bb.4187:                             ;   in Loop: Header=BB2_4024 Depth=4
	s_andn2_saveexec_b64 s[34:35], vcc
; %bb.4188:                             ;   in Loop: Header=BB2_4024 Depth=4
	v_cmp_lt_i32_e32 vcc, -1, v2
	v_cndmask_b32_e32 v45, -4, v22, vcc
; %bb.4189:                             ;   in Loop: Header=BB2_4024 Depth=4
	s_or_b64 exec, exec, s[34:35]
.LBB2_4190:                             ;   in Loop: Header=BB2_4024 Depth=4
	s_or_b64 exec, exec, s[28:29]
	flat_load_sbyte v28, v[8:9] offset:320 glc slc
	v_mov_b32_e32 v2, 0
	s_waitcnt vmcnt(0) lgkmcnt(0)
	v_cmp_ne_u16_e32 vcc, 0, v28
	s_and_saveexec_b64 s[28:29], vcc
	s_cbranch_execz .LBB2_4198
; %bb.4191:                             ;   in Loop: Header=BB2_4024 Depth=4
	v_cmp_ne_u16_e32 vcc, s97, v28
	v_bfrev_b32_e32 v2, 1
	s_and_saveexec_b64 s[34:35], vcc
	s_cbranch_execz .LBB2_4197
; %bb.4192:                             ;   in Loop: Header=BB2_4024 Depth=4
	v_and_b32_e32 v2, 0x7c, v28
	v_and_b32_e32 v3, 3, v28
	v_cmp_ne_u32_e32 vcc, s85, v2
                                        ; implicit-def: $vgpr2
	s_and_saveexec_b64 s[36:37], vcc
	s_xor_b64 s[36:37], exec, s[36:37]
	s_cbranch_execz .LBB2_4194
; %bb.4193:                             ;   in Loop: Header=BB2_4024 Depth=4
	v_ffbh_u32_e32 v4, v3
	v_min_u32_e32 v4, 32, v4
	v_and_b32_e32 v2, 0xff, v28
	v_subrev_u32_e32 v15, 29, v4
	v_bfe_u32 v2, v2, 2, 5
	v_lshlrev_b64 v[17:18], v15, v[28:29]
	v_sub_u32_e32 v4, 30, v4
	v_cmp_eq_u32_e32 vcc, 0, v2
	v_and_b32_e32 v15, 3, v17
	v_cndmask_b32_e32 v2, v2, v4, vcc
	v_and_b32_sdwa v4, sext(v28), s86 dst_sel:DWORD dst_unused:UNUSED_PAD src0_sel:WORD_0 src1_sel:DWORD
	v_cndmask_b32_e32 v3, v3, v15, vcc
	v_lshl_add_u32 v2, v2, 23, v4
	v_lshl_or_b32 v2, v3, 21, v2
	v_add_u32_e32 v2, 0x38000000, v2
                                        ; implicit-def: $vgpr3
.LBB2_4194:                             ;   in Loop: Header=BB2_4024 Depth=4
	s_andn2_saveexec_b64 s[36:37], s[36:37]
; %bb.4195:                             ;   in Loop: Header=BB2_4024 Depth=4
	v_cmp_lt_i16_e32 vcc, -1, v28
	v_cndmask_b32_e32 v2, v7, v0, vcc
	v_cmp_eq_u32_e32 vcc, 0, v3
	v_cndmask_b32_e32 v2, v35, v2, vcc
; %bb.4196:                             ;   in Loop: Header=BB2_4024 Depth=4
	s_or_b64 exec, exec, s[36:37]
.LBB2_4197:                             ;   in Loop: Header=BB2_4024 Depth=4
	s_or_b64 exec, exec, s[34:35]
.LBB2_4198:                             ;   in Loop: Header=BB2_4024 Depth=4
	s_or_b64 exec, exec, s[28:29]
	v_mul_f32_e32 v2, v14, v2
	v_and_b32_e32 v3, 0x7f800000, v2
	v_mov_b32_e32 v4, v29
	v_cmp_ne_u64_e32 vcc, s[76:77], v[3:4]
	v_and_b32_e32 v28, 0x7fffff, v2
                                        ; implicit-def: $vgpr44
	s_and_saveexec_b64 s[28:29], vcc
	s_xor_b64 s[34:35], exec, s[28:29]
	s_cbranch_execz .LBB2_4216
; %bb.4199:                             ;   in Loop: Header=BB2_4024 Depth=4
	v_and_b32_e32 v3, 0x7fffffff, v2
	v_mov_b32_e32 v4, v29
	v_cmp_gt_u64_e32 vcc, s[78:79], v[3:4]
	v_and_b32_sdwa v15, v2, s96 dst_sel:DWORD dst_unused:UNUSED_PAD src0_sel:BYTE_3 src1_sel:DWORD
                                        ; implicit-def: $vgpr44
	s_and_saveexec_b64 s[28:29], vcc
	s_xor_b64 s[36:37], exec, s[28:29]
	s_cbranch_execz .LBB2_4213
; %bb.4200:                             ;   in Loop: Header=BB2_4024 Depth=4
	v_cmp_ne_u32_e32 vcc, 0, v2
	v_mov_b32_e32 v44, 0
	s_and_saveexec_b64 s[38:39], vcc
	s_cbranch_execz .LBB2_4212
; %bb.4201:                             ;   in Loop: Header=BB2_4024 Depth=4
	v_bfe_u32 v17, v2, 23, 8
	v_cmp_gt_u32_e64 s[28:29], s46, v17
	v_sub_u32_e32 v2, 0x71, v17
	v_cmp_eq_u32_e32 vcc, 0, v17
	v_cndmask_b32_e64 v2, 0, v2, s[28:29]
	v_mov_b32_e32 v4, 0x70
	v_cndmask_b32_e32 v18, v2, v4, vcc
	v_or_b32_e32 v3, 0x800000, v28
	v_add_u32_e32 v2, 21, v18
	v_cndmask_b32_e32 v28, v3, v28, vcc
	v_lshlrev_b64 v[2:3], v2, -1
	v_add_u32_e32 v4, 20, v18
	v_lshlrev_b64 v[30:31], v4, 1
	v_bfi_b32 v3, v3, 0, 0
	v_bfi_b32 v2, v2, 0, v28
	v_cmp_eq_u64_e64 s[28:29], v[2:3], v[30:31]
	v_lshrrev_b64 v[2:3], v18, v[28:29]
	v_mov_b32_e32 v4, v3
	v_mov_b32_e32 v3, v2
	s_and_saveexec_b64 s[48:49], s[28:29]
; %bb.4202:                             ;   in Loop: Header=BB2_4024 Depth=4
	v_bfe_u32 v3, v2, 21, 1
	v_add_co_u32_e64 v3, s[28:29], v2, v3
	v_add_co_u32_e64 v3, s[28:29], -1, v3
; %bb.4203:                             ;   in Loop: Header=BB2_4024 Depth=4
	s_or_b64 exec, exec, s[48:49]
	v_add_u32_e32 v4, 0xffffff81, v17
	v_cndmask_b32_e32 v4, v4, v1, vcc
	v_lshrrev_b32_e32 v17, 23, v2
	v_add3_u32 v18, v18, v4, v17
	v_add_u32_e32 v17, 14, v18
	v_and_b32_e32 v3, 0x1fffff, v3
	v_add_u32_e32 v28, v3, v2
	v_cmp_ne_u32_e32 vcc, 0, v17
                                        ; implicit-def: $vgpr2_vgpr3
                                        ; implicit-def: $vgpr4
	s_and_saveexec_b64 s[28:29], vcc
	s_xor_b64 s[28:29], exec, s[28:29]
; %bb.4204:                             ;   in Loop: Header=BB2_4024 Depth=4
	v_cmp_lt_u64_e32 vcc, s[88:89], v[28:29]
	v_add_u32_e32 v2, 15, v18
	v_cndmask_b32_e32 v4, v17, v2, vcc
	v_cndmask_b32_e64 v2, 0, 1, vcc
	v_lshrrev_b64 v[2:3], v2, v[28:29]
; %bb.4205:                             ;   in Loop: Header=BB2_4024 Depth=4
	s_andn2_saveexec_b64 s[28:29], s[28:29]
; %bb.4206:                             ;   in Loop: Header=BB2_4024 Depth=4
	v_mov_b32_e32 v2, v28
	v_bfe_u32 v4, v28, 23, 1
	v_mov_b32_e32 v3, v29
; %bb.4207:                             ;   in Loop: Header=BB2_4024 Depth=4
	s_or_b64 exec, exec, s[28:29]
	v_lshrrev_b64 v[2:3], 21, v[2:3]
	v_cmp_gt_i32_e32 vcc, 32, v4
	v_cndmask_b32_e32 v3, 0, v3, vcc
	v_cndmask_b32_e32 v2, 3, v2, vcc
	v_cmp_ne_u64_e32 vcc, 0, v[2:3]
	v_cmp_ne_u32_e64 s[28:29], 0, v4
	s_or_b64 s[28:29], s[28:29], vcc
                                        ; implicit-def: $vgpr44
	s_and_saveexec_b64 vcc, s[28:29]
	s_xor_b64 s[28:29], exec, vcc
; %bb.4208:                             ;   in Loop: Header=BB2_4024 Depth=4
	v_min_i32_e32 v3, 31, v4
	v_lshl_or_b32 v3, v3, 2, v15
	v_and_or_b32 v44, v2, 3, v3
                                        ; implicit-def: $vgpr15
; %bb.4209:                             ;   in Loop: Header=BB2_4024 Depth=4
	s_andn2_saveexec_b64 s[28:29], s[28:29]
; %bb.4210:                             ;   in Loop: Header=BB2_4024 Depth=4
	v_mov_b32_e32 v44, v15
; %bb.4211:                             ;   in Loop: Header=BB2_4024 Depth=4
	s_or_b64 exec, exec, s[28:29]
.LBB2_4212:                             ;   in Loop: Header=BB2_4024 Depth=4
	s_or_b64 exec, exec, s[38:39]
                                        ; implicit-def: $vgpr15
.LBB2_4213:                             ;   in Loop: Header=BB2_4024 Depth=4
	s_andn2_saveexec_b64 s[28:29], s[36:37]
; %bb.4214:                             ;   in Loop: Header=BB2_4024 Depth=4
	v_or_b32_e32 v44, 0x7b, v15
; %bb.4215:                             ;   in Loop: Header=BB2_4024 Depth=4
	s_or_b64 exec, exec, s[28:29]
                                        ; implicit-def: $vgpr2
.LBB2_4216:                             ;   in Loop: Header=BB2_4024 Depth=4
	s_andn2_saveexec_b64 s[28:29], s[34:35]
	s_cbranch_execz .LBB2_4222
; %bb.4217:                             ;   in Loop: Header=BB2_4024 Depth=4
	v_cmp_ne_u64_e32 vcc, 0, v[28:29]
                                        ; implicit-def: $vgpr44
	s_and_saveexec_b64 s[34:35], vcc
	s_xor_b64 vcc, exec, s[34:35]
; %bb.4218:                             ;   in Loop: Header=BB2_4024 Depth=4
	v_or_b32_sdwa v44, v2, s47 dst_sel:DWORD dst_unused:UNUSED_PAD src0_sel:BYTE_3 src1_sel:DWORD
                                        ; implicit-def: $vgpr2
; %bb.4219:                             ;   in Loop: Header=BB2_4024 Depth=4
	s_andn2_saveexec_b64 s[34:35], vcc
; %bb.4220:                             ;   in Loop: Header=BB2_4024 Depth=4
	v_cmp_lt_i32_e32 vcc, -1, v2
	v_cndmask_b32_e32 v44, -4, v22, vcc
; %bb.4221:                             ;   in Loop: Header=BB2_4024 Depth=4
	s_or_b64 exec, exec, s[34:35]
.LBB2_4222:                             ;   in Loop: Header=BB2_4024 Depth=4
	s_or_b64 exec, exec, s[28:29]
	flat_load_sbyte v28, v[8:9] offset:384 glc slc
	v_mov_b32_e32 v2, 0
	s_waitcnt vmcnt(0) lgkmcnt(0)
	v_cmp_ne_u16_e32 vcc, 0, v28
	s_and_saveexec_b64 s[28:29], vcc
	s_cbranch_execz .LBB2_4230
; %bb.4223:                             ;   in Loop: Header=BB2_4024 Depth=4
	v_cmp_ne_u16_e32 vcc, s97, v28
	v_bfrev_b32_e32 v2, 1
	s_and_saveexec_b64 s[34:35], vcc
	s_cbranch_execz .LBB2_4229
; %bb.4224:                             ;   in Loop: Header=BB2_4024 Depth=4
	v_and_b32_e32 v2, 0x7c, v28
	v_and_b32_e32 v3, 3, v28
	v_cmp_ne_u32_e32 vcc, s85, v2
                                        ; implicit-def: $vgpr2
	s_and_saveexec_b64 s[36:37], vcc
	s_xor_b64 s[36:37], exec, s[36:37]
	s_cbranch_execz .LBB2_4226
; %bb.4225:                             ;   in Loop: Header=BB2_4024 Depth=4
	v_ffbh_u32_e32 v4, v3
	v_min_u32_e32 v4, 32, v4
	v_and_b32_e32 v2, 0xff, v28
	v_subrev_u32_e32 v15, 29, v4
	v_bfe_u32 v2, v2, 2, 5
	v_lshlrev_b64 v[17:18], v15, v[28:29]
	v_sub_u32_e32 v4, 30, v4
	v_cmp_eq_u32_e32 vcc, 0, v2
	v_and_b32_e32 v15, 3, v17
	v_cndmask_b32_e32 v2, v2, v4, vcc
	v_and_b32_sdwa v4, sext(v28), s86 dst_sel:DWORD dst_unused:UNUSED_PAD src0_sel:WORD_0 src1_sel:DWORD
	v_cndmask_b32_e32 v3, v3, v15, vcc
	v_lshl_add_u32 v2, v2, 23, v4
	v_lshl_or_b32 v2, v3, 21, v2
	v_add_u32_e32 v2, 0x38000000, v2
                                        ; implicit-def: $vgpr3
.LBB2_4226:                             ;   in Loop: Header=BB2_4024 Depth=4
	s_andn2_saveexec_b64 s[36:37], s[36:37]
; %bb.4227:                             ;   in Loop: Header=BB2_4024 Depth=4
	v_cmp_lt_i16_e32 vcc, -1, v28
	v_cndmask_b32_e32 v2, v7, v0, vcc
	v_cmp_eq_u32_e32 vcc, 0, v3
	v_cndmask_b32_e32 v2, v35, v2, vcc
; %bb.4228:                             ;   in Loop: Header=BB2_4024 Depth=4
	s_or_b64 exec, exec, s[36:37]
.LBB2_4229:                             ;   in Loop: Header=BB2_4024 Depth=4
	s_or_b64 exec, exec, s[34:35]
.LBB2_4230:                             ;   in Loop: Header=BB2_4024 Depth=4
	s_or_b64 exec, exec, s[28:29]
	v_mul_f32_e32 v2, v14, v2
	v_and_b32_e32 v3, 0x7f800000, v2
	v_mov_b32_e32 v4, v29
	v_cmp_ne_u64_e32 vcc, s[76:77], v[3:4]
	v_and_b32_e32 v28, 0x7fffff, v2
                                        ; implicit-def: $vgpr43
	s_and_saveexec_b64 s[28:29], vcc
	s_xor_b64 s[34:35], exec, s[28:29]
	s_cbranch_execz .LBB2_4248
; %bb.4231:                             ;   in Loop: Header=BB2_4024 Depth=4
	v_and_b32_e32 v3, 0x7fffffff, v2
	v_mov_b32_e32 v4, v29
	v_cmp_gt_u64_e32 vcc, s[78:79], v[3:4]
	v_and_b32_sdwa v15, v2, s96 dst_sel:DWORD dst_unused:UNUSED_PAD src0_sel:BYTE_3 src1_sel:DWORD
                                        ; implicit-def: $vgpr43
	s_and_saveexec_b64 s[28:29], vcc
	s_xor_b64 s[36:37], exec, s[28:29]
	s_cbranch_execz .LBB2_4245
; %bb.4232:                             ;   in Loop: Header=BB2_4024 Depth=4
	v_cmp_ne_u32_e32 vcc, 0, v2
	v_mov_b32_e32 v43, 0
	s_and_saveexec_b64 s[38:39], vcc
	s_cbranch_execz .LBB2_4244
; %bb.4233:                             ;   in Loop: Header=BB2_4024 Depth=4
	v_bfe_u32 v17, v2, 23, 8
	v_cmp_gt_u32_e64 s[28:29], s46, v17
	v_sub_u32_e32 v2, 0x71, v17
	v_cmp_eq_u32_e32 vcc, 0, v17
	v_cndmask_b32_e64 v2, 0, v2, s[28:29]
	v_mov_b32_e32 v4, 0x70
	v_cndmask_b32_e32 v18, v2, v4, vcc
	v_or_b32_e32 v3, 0x800000, v28
	v_add_u32_e32 v2, 21, v18
	v_cndmask_b32_e32 v28, v3, v28, vcc
	v_lshlrev_b64 v[2:3], v2, -1
	v_add_u32_e32 v4, 20, v18
	v_lshlrev_b64 v[30:31], v4, 1
	v_bfi_b32 v3, v3, 0, 0
	v_bfi_b32 v2, v2, 0, v28
	v_cmp_eq_u64_e64 s[28:29], v[2:3], v[30:31]
	v_lshrrev_b64 v[2:3], v18, v[28:29]
	v_mov_b32_e32 v4, v3
	v_mov_b32_e32 v3, v2
	s_and_saveexec_b64 s[48:49], s[28:29]
; %bb.4234:                             ;   in Loop: Header=BB2_4024 Depth=4
	v_bfe_u32 v3, v2, 21, 1
	v_add_co_u32_e64 v3, s[28:29], v2, v3
	v_add_co_u32_e64 v3, s[28:29], -1, v3
; %bb.4235:                             ;   in Loop: Header=BB2_4024 Depth=4
	s_or_b64 exec, exec, s[48:49]
	v_add_u32_e32 v4, 0xffffff81, v17
	v_cndmask_b32_e32 v4, v4, v1, vcc
	v_lshrrev_b32_e32 v17, 23, v2
	v_add3_u32 v18, v18, v4, v17
	v_add_u32_e32 v17, 14, v18
	v_and_b32_e32 v3, 0x1fffff, v3
	v_add_u32_e32 v28, v3, v2
	v_cmp_ne_u32_e32 vcc, 0, v17
                                        ; implicit-def: $vgpr2_vgpr3
                                        ; implicit-def: $vgpr4
	s_and_saveexec_b64 s[28:29], vcc
	s_xor_b64 s[28:29], exec, s[28:29]
; %bb.4236:                             ;   in Loop: Header=BB2_4024 Depth=4
	v_cmp_lt_u64_e32 vcc, s[88:89], v[28:29]
	v_add_u32_e32 v2, 15, v18
	v_cndmask_b32_e32 v4, v17, v2, vcc
	v_cndmask_b32_e64 v2, 0, 1, vcc
	v_lshrrev_b64 v[2:3], v2, v[28:29]
; %bb.4237:                             ;   in Loop: Header=BB2_4024 Depth=4
	s_andn2_saveexec_b64 s[28:29], s[28:29]
; %bb.4238:                             ;   in Loop: Header=BB2_4024 Depth=4
	v_mov_b32_e32 v2, v28
	v_bfe_u32 v4, v28, 23, 1
	v_mov_b32_e32 v3, v29
; %bb.4239:                             ;   in Loop: Header=BB2_4024 Depth=4
	s_or_b64 exec, exec, s[28:29]
	v_lshrrev_b64 v[2:3], 21, v[2:3]
	v_cmp_gt_i32_e32 vcc, 32, v4
	v_cndmask_b32_e32 v3, 0, v3, vcc
	v_cndmask_b32_e32 v2, 3, v2, vcc
	v_cmp_ne_u64_e32 vcc, 0, v[2:3]
	v_cmp_ne_u32_e64 s[28:29], 0, v4
	s_or_b64 s[28:29], s[28:29], vcc
                                        ; implicit-def: $vgpr43
	s_and_saveexec_b64 vcc, s[28:29]
	s_xor_b64 s[28:29], exec, vcc
; %bb.4240:                             ;   in Loop: Header=BB2_4024 Depth=4
	v_min_i32_e32 v3, 31, v4
	v_lshl_or_b32 v3, v3, 2, v15
	v_and_or_b32 v43, v2, 3, v3
                                        ; implicit-def: $vgpr15
; %bb.4241:                             ;   in Loop: Header=BB2_4024 Depth=4
	s_andn2_saveexec_b64 s[28:29], s[28:29]
; %bb.4242:                             ;   in Loop: Header=BB2_4024 Depth=4
	v_mov_b32_e32 v43, v15
; %bb.4243:                             ;   in Loop: Header=BB2_4024 Depth=4
	s_or_b64 exec, exec, s[28:29]
.LBB2_4244:                             ;   in Loop: Header=BB2_4024 Depth=4
	s_or_b64 exec, exec, s[38:39]
                                        ; implicit-def: $vgpr15
.LBB2_4245:                             ;   in Loop: Header=BB2_4024 Depth=4
	s_andn2_saveexec_b64 s[28:29], s[36:37]
; %bb.4246:                             ;   in Loop: Header=BB2_4024 Depth=4
	v_or_b32_e32 v43, 0x7b, v15
; %bb.4247:                             ;   in Loop: Header=BB2_4024 Depth=4
	s_or_b64 exec, exec, s[28:29]
                                        ; implicit-def: $vgpr2
.LBB2_4248:                             ;   in Loop: Header=BB2_4024 Depth=4
	s_andn2_saveexec_b64 s[28:29], s[34:35]
	s_cbranch_execz .LBB2_4254
; %bb.4249:                             ;   in Loop: Header=BB2_4024 Depth=4
	v_cmp_ne_u64_e32 vcc, 0, v[28:29]
                                        ; implicit-def: $vgpr43
	s_and_saveexec_b64 s[34:35], vcc
	s_xor_b64 vcc, exec, s[34:35]
; %bb.4250:                             ;   in Loop: Header=BB2_4024 Depth=4
	v_or_b32_sdwa v43, v2, s47 dst_sel:DWORD dst_unused:UNUSED_PAD src0_sel:BYTE_3 src1_sel:DWORD
                                        ; implicit-def: $vgpr2
; %bb.4251:                             ;   in Loop: Header=BB2_4024 Depth=4
	s_andn2_saveexec_b64 s[34:35], vcc
; %bb.4252:                             ;   in Loop: Header=BB2_4024 Depth=4
	v_cmp_lt_i32_e32 vcc, -1, v2
	v_cndmask_b32_e32 v43, -4, v22, vcc
; %bb.4253:                             ;   in Loop: Header=BB2_4024 Depth=4
	s_or_b64 exec, exec, s[34:35]
.LBB2_4254:                             ;   in Loop: Header=BB2_4024 Depth=4
	s_or_b64 exec, exec, s[28:29]
	flat_load_sbyte v28, v[8:9] offset:448 glc slc
	v_mov_b32_e32 v2, 0
	s_waitcnt vmcnt(0) lgkmcnt(0)
	v_cmp_ne_u16_e32 vcc, 0, v28
	s_and_saveexec_b64 s[28:29], vcc
	s_cbranch_execz .LBB2_4262
; %bb.4255:                             ;   in Loop: Header=BB2_4024 Depth=4
	v_cmp_ne_u16_e32 vcc, s97, v28
	v_bfrev_b32_e32 v2, 1
	s_and_saveexec_b64 s[34:35], vcc
	s_cbranch_execz .LBB2_4261
; %bb.4256:                             ;   in Loop: Header=BB2_4024 Depth=4
	v_and_b32_e32 v2, 0x7c, v28
	v_and_b32_e32 v3, 3, v28
	v_cmp_ne_u32_e32 vcc, s85, v2
                                        ; implicit-def: $vgpr2
	s_and_saveexec_b64 s[36:37], vcc
	s_xor_b64 s[36:37], exec, s[36:37]
	s_cbranch_execz .LBB2_4258
; %bb.4257:                             ;   in Loop: Header=BB2_4024 Depth=4
	v_ffbh_u32_e32 v4, v3
	v_min_u32_e32 v4, 32, v4
	v_and_b32_e32 v2, 0xff, v28
	v_subrev_u32_e32 v15, 29, v4
	v_bfe_u32 v2, v2, 2, 5
	v_lshlrev_b64 v[17:18], v15, v[28:29]
	v_sub_u32_e32 v4, 30, v4
	v_cmp_eq_u32_e32 vcc, 0, v2
	v_and_b32_e32 v15, 3, v17
	v_cndmask_b32_e32 v2, v2, v4, vcc
	v_and_b32_sdwa v4, sext(v28), s86 dst_sel:DWORD dst_unused:UNUSED_PAD src0_sel:WORD_0 src1_sel:DWORD
	v_cndmask_b32_e32 v3, v3, v15, vcc
	v_lshl_add_u32 v2, v2, 23, v4
	v_lshl_or_b32 v2, v3, 21, v2
	v_add_u32_e32 v2, 0x38000000, v2
                                        ; implicit-def: $vgpr3
.LBB2_4258:                             ;   in Loop: Header=BB2_4024 Depth=4
	s_andn2_saveexec_b64 s[36:37], s[36:37]
; %bb.4259:                             ;   in Loop: Header=BB2_4024 Depth=4
	v_cmp_lt_i16_e32 vcc, -1, v28
	v_cndmask_b32_e32 v2, v7, v0, vcc
	v_cmp_eq_u32_e32 vcc, 0, v3
	v_cndmask_b32_e32 v2, v35, v2, vcc
; %bb.4260:                             ;   in Loop: Header=BB2_4024 Depth=4
	s_or_b64 exec, exec, s[36:37]
.LBB2_4261:                             ;   in Loop: Header=BB2_4024 Depth=4
	s_or_b64 exec, exec, s[34:35]
.LBB2_4262:                             ;   in Loop: Header=BB2_4024 Depth=4
	s_or_b64 exec, exec, s[28:29]
	v_mul_f32_e32 v2, v14, v2
	v_and_b32_e32 v3, 0x7f800000, v2
	v_mov_b32_e32 v4, v29
	v_cmp_ne_u64_e32 vcc, s[76:77], v[3:4]
	v_and_b32_e32 v28, 0x7fffff, v2
                                        ; implicit-def: $vgpr40
	s_and_saveexec_b64 s[28:29], vcc
	s_xor_b64 s[34:35], exec, s[28:29]
	s_cbranch_execz .LBB2_4280
; %bb.4263:                             ;   in Loop: Header=BB2_4024 Depth=4
	v_and_b32_e32 v3, 0x7fffffff, v2
	v_mov_b32_e32 v4, v29
	v_cmp_gt_u64_e32 vcc, s[78:79], v[3:4]
	v_and_b32_sdwa v14, v2, s96 dst_sel:DWORD dst_unused:UNUSED_PAD src0_sel:BYTE_3 src1_sel:DWORD
                                        ; implicit-def: $vgpr40
	s_and_saveexec_b64 s[28:29], vcc
	s_xor_b64 s[36:37], exec, s[28:29]
	s_cbranch_execz .LBB2_4277
; %bb.4264:                             ;   in Loop: Header=BB2_4024 Depth=4
	v_cmp_ne_u32_e32 vcc, 0, v2
	v_mov_b32_e32 v40, 0
	s_and_saveexec_b64 s[38:39], vcc
	s_cbranch_execz .LBB2_4276
; %bb.4265:                             ;   in Loop: Header=BB2_4024 Depth=4
	v_bfe_u32 v15, v2, 23, 8
	v_cmp_gt_u32_e64 s[28:29], s46, v15
	v_sub_u32_e32 v2, 0x71, v15
	v_cmp_eq_u32_e32 vcc, 0, v15
	v_cndmask_b32_e64 v2, 0, v2, s[28:29]
	v_mov_b32_e32 v4, 0x70
	v_cndmask_b32_e32 v17, v2, v4, vcc
	v_or_b32_e32 v3, 0x800000, v28
	v_add_u32_e32 v2, 21, v17
	v_cndmask_b32_e32 v28, v3, v28, vcc
	v_lshlrev_b64 v[2:3], v2, -1
	v_add_u32_e32 v4, 20, v17
	v_lshlrev_b64 v[18:19], v4, 1
	v_bfi_b32 v3, v3, 0, 0
	v_bfi_b32 v2, v2, 0, v28
	v_cmp_eq_u64_e64 s[28:29], v[2:3], v[18:19]
	v_lshrrev_b64 v[2:3], v17, v[28:29]
	v_mov_b32_e32 v4, v3
	v_mov_b32_e32 v3, v2
	s_and_saveexec_b64 s[48:49], s[28:29]
; %bb.4266:                             ;   in Loop: Header=BB2_4024 Depth=4
	v_bfe_u32 v3, v2, 21, 1
	v_add_co_u32_e64 v3, s[28:29], v2, v3
	v_add_co_u32_e64 v3, s[28:29], -1, v3
; %bb.4267:                             ;   in Loop: Header=BB2_4024 Depth=4
	s_or_b64 exec, exec, s[48:49]
	v_add_u32_e32 v4, 0xffffff81, v15
	v_cndmask_b32_e32 v4, v4, v1, vcc
	v_lshrrev_b32_e32 v15, 23, v2
	v_add3_u32 v17, v17, v4, v15
	v_add_u32_e32 v15, 14, v17
	v_and_b32_e32 v3, 0x1fffff, v3
	v_add_u32_e32 v28, v3, v2
	v_cmp_ne_u32_e32 vcc, 0, v15
                                        ; implicit-def: $vgpr2_vgpr3
                                        ; implicit-def: $vgpr4
	s_and_saveexec_b64 s[28:29], vcc
	s_xor_b64 s[28:29], exec, s[28:29]
; %bb.4268:                             ;   in Loop: Header=BB2_4024 Depth=4
	v_cmp_lt_u64_e32 vcc, s[88:89], v[28:29]
	v_add_u32_e32 v2, 15, v17
	v_cndmask_b32_e32 v4, v15, v2, vcc
	v_cndmask_b32_e64 v2, 0, 1, vcc
	v_lshrrev_b64 v[2:3], v2, v[28:29]
; %bb.4269:                             ;   in Loop: Header=BB2_4024 Depth=4
	s_andn2_saveexec_b64 s[28:29], s[28:29]
; %bb.4270:                             ;   in Loop: Header=BB2_4024 Depth=4
	v_mov_b32_e32 v2, v28
	v_bfe_u32 v4, v28, 23, 1
	v_mov_b32_e32 v3, v29
; %bb.4271:                             ;   in Loop: Header=BB2_4024 Depth=4
	s_or_b64 exec, exec, s[28:29]
	v_lshrrev_b64 v[2:3], 21, v[2:3]
	v_cmp_gt_i32_e32 vcc, 32, v4
	v_cndmask_b32_e32 v3, 0, v3, vcc
	v_cndmask_b32_e32 v2, 3, v2, vcc
	v_cmp_ne_u64_e32 vcc, 0, v[2:3]
	v_cmp_ne_u32_e64 s[28:29], 0, v4
	s_or_b64 s[28:29], s[28:29], vcc
                                        ; implicit-def: $vgpr40
	s_and_saveexec_b64 vcc, s[28:29]
	s_xor_b64 s[28:29], exec, vcc
; %bb.4272:                             ;   in Loop: Header=BB2_4024 Depth=4
	v_min_i32_e32 v3, 31, v4
	v_lshl_or_b32 v3, v3, 2, v14
	v_and_or_b32 v40, v2, 3, v3
                                        ; implicit-def: $vgpr14
; %bb.4273:                             ;   in Loop: Header=BB2_4024 Depth=4
	s_andn2_saveexec_b64 s[28:29], s[28:29]
; %bb.4274:                             ;   in Loop: Header=BB2_4024 Depth=4
	v_mov_b32_e32 v40, v14
; %bb.4275:                             ;   in Loop: Header=BB2_4024 Depth=4
	s_or_b64 exec, exec, s[28:29]
.LBB2_4276:                             ;   in Loop: Header=BB2_4024 Depth=4
	s_or_b64 exec, exec, s[38:39]
                                        ; implicit-def: $vgpr14
.LBB2_4277:                             ;   in Loop: Header=BB2_4024 Depth=4
	s_andn2_saveexec_b64 s[28:29], s[36:37]
; %bb.4278:                             ;   in Loop: Header=BB2_4024 Depth=4
	v_or_b32_e32 v40, 0x7b, v14
; %bb.4279:                             ;   in Loop: Header=BB2_4024 Depth=4
	s_or_b64 exec, exec, s[28:29]
                                        ; implicit-def: $vgpr2
.LBB2_4280:                             ;   in Loop: Header=BB2_4024 Depth=4
	s_andn2_saveexec_b64 s[28:29], s[34:35]
	s_cbranch_execz .LBB2_4286
; %bb.4281:                             ;   in Loop: Header=BB2_4024 Depth=4
	v_cmp_ne_u64_e32 vcc, 0, v[28:29]
                                        ; implicit-def: $vgpr40
	s_and_saveexec_b64 s[34:35], vcc
	s_xor_b64 vcc, exec, s[34:35]
; %bb.4282:                             ;   in Loop: Header=BB2_4024 Depth=4
	v_or_b32_sdwa v40, v2, s47 dst_sel:DWORD dst_unused:UNUSED_PAD src0_sel:BYTE_3 src1_sel:DWORD
                                        ; implicit-def: $vgpr2
; %bb.4283:                             ;   in Loop: Header=BB2_4024 Depth=4
	s_andn2_saveexec_b64 s[34:35], vcc
; %bb.4284:                             ;   in Loop: Header=BB2_4024 Depth=4
	v_cmp_lt_i32_e32 vcc, -1, v2
	v_cndmask_b32_e32 v40, -4, v22, vcc
; %bb.4285:                             ;   in Loop: Header=BB2_4024 Depth=4
	s_or_b64 exec, exec, s[34:35]
.LBB2_4286:                             ;   in Loop: Header=BB2_4024 Depth=4
	s_or_b64 exec, exec, s[28:29]
	flat_load_sbyte v28, v[10:11] glc slc
	flat_load_sbyte v31, v[10:11] offset:64 glc slc
	flat_load_sbyte v15, v[10:11] offset:128 glc slc
	;; [unrolled: 1-line block ×7, first 2 shown]
	v_and_b32_e32 v17, 0xff, v59
	v_cmp_ne_u16_e32 vcc, 0, v17
	v_mov_b32_e32 v2, 0
	v_mov_b32_e32 v3, 0
	s_and_saveexec_b64 s[28:29], vcc
	s_cbranch_execz .LBB2_4294
; %bb.4287:                             ;   in Loop: Header=BB2_4024 Depth=4
	v_cmp_ne_u16_e32 vcc, s96, v17
	v_bfrev_b32_e32 v3, 1
	s_and_saveexec_b64 s[34:35], vcc
	s_cbranch_execz .LBB2_4293
; %bb.4288:                             ;   in Loop: Header=BB2_4024 Depth=4
	v_and_b32_e32 v3, 0x7c, v59
	v_and_b32_e32 v4, 3, v59
	v_cmp_ne_u32_e32 vcc, s85, v3
                                        ; implicit-def: $vgpr3
	s_and_saveexec_b64 s[36:37], vcc
	s_xor_b64 s[36:37], exec, s[36:37]
	s_cbranch_execz .LBB2_4290
; %bb.4289:                             ;   in Loop: Header=BB2_4024 Depth=4
	v_bfe_u32 v3, v17, 2, 5
	v_ffbh_u32_e32 v17, v4
	v_min_u32_e32 v17, 32, v17
	v_mov_b32_e32 v60, v29
	v_subrev_u32_e32 v19, 29, v17
	v_lshlrev_b64 v[38:39], v19, v[59:60]
	v_sub_u32_e32 v17, 30, v17
	v_cmp_eq_u32_e32 vcc, 0, v3
	v_cndmask_b32_e32 v3, v3, v17, vcc
	v_lshlrev_b32_e32 v17, 24, v59
	v_and_b32_e32 v19, 3, v38
	v_and_b32_e32 v17, 0x80000000, v17
	v_cndmask_b32_e32 v4, v4, v19, vcc
	v_lshl_add_u32 v3, v3, 23, v17
	v_lshl_or_b32 v3, v4, 21, v3
	v_add_u32_e32 v3, 0x38000000, v3
                                        ; implicit-def: $vgpr4
                                        ; implicit-def: $vgpr59
.LBB2_4290:                             ;   in Loop: Header=BB2_4024 Depth=4
	s_andn2_saveexec_b64 s[36:37], s[36:37]
; %bb.4291:                             ;   in Loop: Header=BB2_4024 Depth=4
	v_cmp_gt_i16_sdwa vcc, sext(v59), v48 src0_sel:BYTE_0 src1_sel:DWORD
	v_cndmask_b32_e32 v3, v7, v0, vcc
	v_cmp_eq_u32_e32 vcc, 0, v4
	v_cndmask_b32_e32 v3, v35, v3, vcc
; %bb.4292:                             ;   in Loop: Header=BB2_4024 Depth=4
	s_or_b64 exec, exec, s[36:37]
.LBB2_4293:                             ;   in Loop: Header=BB2_4024 Depth=4
	s_or_b64 exec, exec, s[34:35]
.LBB2_4294:                             ;   in Loop: Header=BB2_4024 Depth=4
	s_or_b64 exec, exec, s[28:29]
	s_waitcnt vmcnt(0) lgkmcnt(0)
	v_cmp_ne_u16_e32 vcc, 0, v28
	s_and_saveexec_b64 s[28:29], vcc
	s_cbranch_execz .LBB2_4302
; %bb.4295:                             ;   in Loop: Header=BB2_4024 Depth=4
	v_cmp_ne_u16_e32 vcc, s97, v28
	v_bfrev_b32_e32 v2, 1
	s_and_saveexec_b64 s[34:35], vcc
	s_cbranch_execz .LBB2_4301
; %bb.4296:                             ;   in Loop: Header=BB2_4024 Depth=4
	v_and_b32_e32 v2, 0x7c, v28
	v_and_b32_e32 v4, 3, v28
	v_cmp_ne_u32_e32 vcc, s85, v2
                                        ; implicit-def: $vgpr2
	s_and_saveexec_b64 s[36:37], vcc
	s_xor_b64 s[36:37], exec, s[36:37]
	s_cbranch_execz .LBB2_4298
; %bb.4297:                             ;   in Loop: Header=BB2_4024 Depth=4
	v_ffbh_u32_e32 v17, v4
	v_min_u32_e32 v17, 32, v17
	v_and_b32_e32 v2, 0xff, v28
	v_subrev_u32_e32 v19, 29, v17
	v_bfe_u32 v2, v2, 2, 5
	v_lshlrev_b64 v[38:39], v19, v[28:29]
	v_sub_u32_e32 v17, 30, v17
	v_cmp_eq_u32_e32 vcc, 0, v2
	v_and_b32_e32 v19, 3, v38
	v_cndmask_b32_e32 v2, v2, v17, vcc
	v_and_b32_sdwa v17, sext(v28), s86 dst_sel:DWORD dst_unused:UNUSED_PAD src0_sel:WORD_0 src1_sel:DWORD
	v_cndmask_b32_e32 v4, v4, v19, vcc
	v_lshl_add_u32 v2, v2, 23, v17
	v_lshl_or_b32 v2, v4, 21, v2
	v_add_u32_e32 v2, 0x38000000, v2
                                        ; implicit-def: $vgpr4
.LBB2_4298:                             ;   in Loop: Header=BB2_4024 Depth=4
	s_andn2_saveexec_b64 s[36:37], s[36:37]
; %bb.4299:                             ;   in Loop: Header=BB2_4024 Depth=4
	v_cmp_lt_i16_e32 vcc, -1, v28
	v_cndmask_b32_e32 v2, v7, v0, vcc
	v_cmp_eq_u32_e32 vcc, 0, v4
	v_cndmask_b32_e32 v2, v35, v2, vcc
; %bb.4300:                             ;   in Loop: Header=BB2_4024 Depth=4
	s_or_b64 exec, exec, s[36:37]
.LBB2_4301:                             ;   in Loop: Header=BB2_4024 Depth=4
	s_or_b64 exec, exec, s[34:35]
.LBB2_4302:                             ;   in Loop: Header=BB2_4024 Depth=4
	s_or_b64 exec, exec, s[28:29]
	v_add_f32_e32 v2, v3, v2
	v_and_b32_e32 v3, 0x7f800000, v2
	v_mov_b32_e32 v4, v29
	v_cmp_ne_u64_e32 vcc, s[76:77], v[3:4]
	v_and_b32_e32 v28, 0x7fffff, v2
                                        ; implicit-def: $vgpr60
	s_and_saveexec_b64 s[28:29], vcc
	s_xor_b64 s[34:35], exec, s[28:29]
	s_cbranch_execz .LBB2_4320
; %bb.4303:                             ;   in Loop: Header=BB2_4024 Depth=4
	v_and_b32_e32 v3, 0x7fffffff, v2
	v_mov_b32_e32 v4, v29
	v_cmp_gt_u64_e32 vcc, s[78:79], v[3:4]
	v_and_b32_sdwa v17, v2, s96 dst_sel:DWORD dst_unused:UNUSED_PAD src0_sel:BYTE_3 src1_sel:DWORD
                                        ; implicit-def: $vgpr60
	s_and_saveexec_b64 s[28:29], vcc
	s_xor_b64 s[36:37], exec, s[28:29]
	s_cbranch_execz .LBB2_4317
; %bb.4304:                             ;   in Loop: Header=BB2_4024 Depth=4
	v_cmp_ne_u32_e32 vcc, 0, v2
	v_mov_b32_e32 v60, 0
	s_and_saveexec_b64 s[38:39], vcc
	s_cbranch_execz .LBB2_4316
; %bb.4305:                             ;   in Loop: Header=BB2_4024 Depth=4
	v_bfe_u32 v19, v2, 23, 8
	v_cmp_gt_u32_e64 s[28:29], s46, v19
	v_sub_u32_e32 v2, 0x71, v19
	v_cmp_eq_u32_e32 vcc, 0, v19
	v_cndmask_b32_e64 v2, 0, v2, s[28:29]
	v_mov_b32_e32 v4, 0x70
	v_cndmask_b32_e32 v32, v2, v4, vcc
	v_or_b32_e32 v3, 0x800000, v28
	v_add_u32_e32 v2, 21, v32
	v_cndmask_b32_e32 v28, v3, v28, vcc
	v_lshlrev_b64 v[2:3], v2, -1
	v_add_u32_e32 v4, 20, v32
	v_lshlrev_b64 v[38:39], v4, 1
	v_bfi_b32 v3, v3, 0, 0
	v_bfi_b32 v2, v2, 0, v28
	v_cmp_eq_u64_e64 s[28:29], v[2:3], v[38:39]
	v_lshrrev_b64 v[2:3], v32, v[28:29]
	v_mov_b32_e32 v4, v3
	v_mov_b32_e32 v3, v2
	s_and_saveexec_b64 s[48:49], s[28:29]
; %bb.4306:                             ;   in Loop: Header=BB2_4024 Depth=4
	v_bfe_u32 v3, v2, 21, 1
	v_add_co_u32_e64 v3, s[28:29], v2, v3
	v_add_co_u32_e64 v3, s[28:29], -1, v3
; %bb.4307:                             ;   in Loop: Header=BB2_4024 Depth=4
	s_or_b64 exec, exec, s[48:49]
	v_add_u32_e32 v4, 0xffffff81, v19
	v_cndmask_b32_e32 v4, v4, v1, vcc
	v_lshrrev_b32_e32 v19, 23, v2
	v_add3_u32 v32, v32, v4, v19
	v_add_u32_e32 v19, 14, v32
	v_and_b32_e32 v3, 0x1fffff, v3
	v_add_u32_e32 v28, v3, v2
	v_cmp_ne_u32_e32 vcc, 0, v19
                                        ; implicit-def: $vgpr2_vgpr3
                                        ; implicit-def: $vgpr4
	s_and_saveexec_b64 s[28:29], vcc
	s_xor_b64 s[28:29], exec, s[28:29]
; %bb.4308:                             ;   in Loop: Header=BB2_4024 Depth=4
	v_cmp_lt_u64_e32 vcc, s[88:89], v[28:29]
	v_add_u32_e32 v2, 15, v32
	v_cndmask_b32_e32 v4, v19, v2, vcc
	v_cndmask_b32_e64 v2, 0, 1, vcc
	v_lshrrev_b64 v[2:3], v2, v[28:29]
; %bb.4309:                             ;   in Loop: Header=BB2_4024 Depth=4
	s_andn2_saveexec_b64 s[28:29], s[28:29]
; %bb.4310:                             ;   in Loop: Header=BB2_4024 Depth=4
	v_mov_b32_e32 v2, v28
	v_bfe_u32 v4, v28, 23, 1
	v_mov_b32_e32 v3, v29
; %bb.4311:                             ;   in Loop: Header=BB2_4024 Depth=4
	s_or_b64 exec, exec, s[28:29]
	v_lshrrev_b64 v[2:3], 21, v[2:3]
	v_cmp_gt_i32_e32 vcc, 32, v4
	v_cndmask_b32_e32 v3, 0, v3, vcc
	v_cndmask_b32_e32 v2, 3, v2, vcc
	v_cmp_ne_u64_e32 vcc, 0, v[2:3]
	v_cmp_ne_u32_e64 s[28:29], 0, v4
	s_or_b64 s[28:29], s[28:29], vcc
                                        ; implicit-def: $vgpr60
	s_and_saveexec_b64 vcc, s[28:29]
	s_xor_b64 s[28:29], exec, vcc
; %bb.4312:                             ;   in Loop: Header=BB2_4024 Depth=4
	v_min_i32_e32 v3, 31, v4
	v_lshl_or_b32 v3, v3, 2, v17
	v_and_or_b32 v60, v2, 3, v3
                                        ; implicit-def: $vgpr17
; %bb.4313:                             ;   in Loop: Header=BB2_4024 Depth=4
	s_andn2_saveexec_b64 s[28:29], s[28:29]
; %bb.4314:                             ;   in Loop: Header=BB2_4024 Depth=4
	v_mov_b32_e32 v60, v17
; %bb.4315:                             ;   in Loop: Header=BB2_4024 Depth=4
	s_or_b64 exec, exec, s[28:29]
.LBB2_4316:                             ;   in Loop: Header=BB2_4024 Depth=4
	s_or_b64 exec, exec, s[38:39]
                                        ; implicit-def: $vgpr17
.LBB2_4317:                             ;   in Loop: Header=BB2_4024 Depth=4
	s_andn2_saveexec_b64 s[28:29], s[36:37]
; %bb.4318:                             ;   in Loop: Header=BB2_4024 Depth=4
	v_or_b32_e32 v60, 0x7b, v17
; %bb.4319:                             ;   in Loop: Header=BB2_4024 Depth=4
	s_or_b64 exec, exec, s[28:29]
                                        ; implicit-def: $vgpr2
.LBB2_4320:                             ;   in Loop: Header=BB2_4024 Depth=4
	s_andn2_saveexec_b64 s[28:29], s[34:35]
	s_cbranch_execz .LBB2_4326
; %bb.4321:                             ;   in Loop: Header=BB2_4024 Depth=4
	v_cmp_ne_u64_e32 vcc, 0, v[28:29]
                                        ; implicit-def: $vgpr60
	s_and_saveexec_b64 s[34:35], vcc
	s_xor_b64 vcc, exec, s[34:35]
; %bb.4322:                             ;   in Loop: Header=BB2_4024 Depth=4
	v_or_b32_sdwa v60, v2, s47 dst_sel:DWORD dst_unused:UNUSED_PAD src0_sel:BYTE_3 src1_sel:DWORD
                                        ; implicit-def: $vgpr2
; %bb.4323:                             ;   in Loop: Header=BB2_4024 Depth=4
	s_andn2_saveexec_b64 s[34:35], vcc
; %bb.4324:                             ;   in Loop: Header=BB2_4024 Depth=4
	v_cmp_lt_i32_e32 vcc, -1, v2
	v_cndmask_b32_e32 v60, -4, v22, vcc
; %bb.4325:                             ;   in Loop: Header=BB2_4024 Depth=4
	s_or_b64 exec, exec, s[34:35]
.LBB2_4326:                             ;   in Loop: Header=BB2_4024 Depth=4
	s_or_b64 exec, exec, s[28:29]
	v_and_b32_e32 v19, 0xff, v16
	v_cmp_ne_u16_e32 vcc, 0, v19
	v_mov_b32_e32 v2, 0
	v_mov_b32_e32 v3, 0
	s_and_saveexec_b64 s[28:29], vcc
	s_cbranch_execz .LBB2_4334
; %bb.4327:                             ;   in Loop: Header=BB2_4024 Depth=4
	v_cmp_ne_u16_e32 vcc, s96, v19
	v_bfrev_b32_e32 v3, 1
	s_and_saveexec_b64 s[34:35], vcc
	s_cbranch_execz .LBB2_4333
; %bb.4328:                             ;   in Loop: Header=BB2_4024 Depth=4
	v_and_b32_e32 v3, 0x7c, v16
	v_and_b32_e32 v4, 3, v16
	v_cmp_ne_u32_e32 vcc, s85, v3
                                        ; implicit-def: $vgpr3
	s_and_saveexec_b64 s[36:37], vcc
	s_xor_b64 s[36:37], exec, s[36:37]
	s_cbranch_execz .LBB2_4330
; %bb.4329:                             ;   in Loop: Header=BB2_4024 Depth=4
	v_bfe_u32 v3, v19, 2, 5
	v_ffbh_u32_e32 v19, v4
	v_min_u32_e32 v19, 32, v19
	v_mov_b32_e32 v17, v29
	v_subrev_u32_e32 v28, 29, v19
	v_lshlrev_b64 v[38:39], v28, v[16:17]
	v_sub_u32_e32 v17, 30, v19
	v_cmp_eq_u32_e32 vcc, 0, v3
	v_lshlrev_b32_e32 v16, 24, v16
	v_and_b32_e32 v19, 3, v38
	v_cndmask_b32_e32 v3, v3, v17, vcc
	v_and_b32_e32 v16, 0x80000000, v16
	v_cndmask_b32_e32 v4, v4, v19, vcc
	v_lshl_add_u32 v3, v3, 23, v16
	v_lshl_or_b32 v3, v4, 21, v3
	v_add_u32_e32 v3, 0x38000000, v3
                                        ; implicit-def: $vgpr4
                                        ; implicit-def: $vgpr16
.LBB2_4330:                             ;   in Loop: Header=BB2_4024 Depth=4
	s_andn2_saveexec_b64 s[36:37], s[36:37]
; %bb.4331:                             ;   in Loop: Header=BB2_4024 Depth=4
	v_cmp_gt_i16_sdwa vcc, sext(v16), v48 src0_sel:BYTE_0 src1_sel:DWORD
	v_cndmask_b32_e32 v3, v7, v0, vcc
	v_cmp_eq_u32_e32 vcc, 0, v4
	v_cndmask_b32_e32 v3, v35, v3, vcc
; %bb.4332:                             ;   in Loop: Header=BB2_4024 Depth=4
	s_or_b64 exec, exec, s[36:37]
.LBB2_4333:                             ;   in Loop: Header=BB2_4024 Depth=4
	s_or_b64 exec, exec, s[34:35]
.LBB2_4334:                             ;   in Loop: Header=BB2_4024 Depth=4
	s_or_b64 exec, exec, s[28:29]
	v_cmp_ne_u16_e32 vcc, 0, v31
	s_and_saveexec_b64 s[28:29], vcc
	s_cbranch_execz .LBB2_4342
; %bb.4335:                             ;   in Loop: Header=BB2_4024 Depth=4
	v_cmp_ne_u16_e32 vcc, s97, v31
	v_bfrev_b32_e32 v2, 1
	s_and_saveexec_b64 s[34:35], vcc
	s_cbranch_execz .LBB2_4341
; %bb.4336:                             ;   in Loop: Header=BB2_4024 Depth=4
	v_and_b32_e32 v2, 0x7c, v31
	v_and_b32_e32 v4, 3, v31
	v_cmp_ne_u32_e32 vcc, s85, v2
                                        ; implicit-def: $vgpr2
	s_and_saveexec_b64 s[36:37], vcc
	s_xor_b64 s[36:37], exec, s[36:37]
	s_cbranch_execz .LBB2_4338
; %bb.4337:                             ;   in Loop: Header=BB2_4024 Depth=4
	v_ffbh_u32_e32 v16, v4
	v_min_u32_e32 v19, 32, v16
	v_mov_b32_e32 v32, v29
	v_subrev_u32_e32 v16, 29, v19
	v_and_b32_e32 v2, 0xff, v31
	v_lshlrev_b64 v[16:17], v16, v[31:32]
	v_bfe_u32 v2, v2, 2, 5
	v_sub_u32_e32 v17, 30, v19
	v_and_b32_e32 v16, 3, v16
	v_cmp_eq_u32_e32 vcc, 0, v2
	v_cndmask_b32_e32 v2, v2, v17, vcc
	v_cndmask_b32_e32 v4, v4, v16, vcc
	v_and_b32_sdwa v16, sext(v31), s86 dst_sel:DWORD dst_unused:UNUSED_PAD src0_sel:WORD_0 src1_sel:DWORD
	v_lshl_add_u32 v2, v2, 23, v16
	v_lshl_or_b32 v2, v4, 21, v2
	v_add_u32_e32 v2, 0x38000000, v2
                                        ; implicit-def: $vgpr4
                                        ; implicit-def: $vgpr31
.LBB2_4338:                             ;   in Loop: Header=BB2_4024 Depth=4
	s_andn2_saveexec_b64 s[36:37], s[36:37]
; %bb.4339:                             ;   in Loop: Header=BB2_4024 Depth=4
	v_cmp_lt_i16_e32 vcc, -1, v31
	v_cndmask_b32_e32 v2, v7, v0, vcc
	v_cmp_eq_u32_e32 vcc, 0, v4
	v_cndmask_b32_e32 v2, v35, v2, vcc
; %bb.4340:                             ;   in Loop: Header=BB2_4024 Depth=4
	s_or_b64 exec, exec, s[36:37]
.LBB2_4341:                             ;   in Loop: Header=BB2_4024 Depth=4
	s_or_b64 exec, exec, s[34:35]
.LBB2_4342:                             ;   in Loop: Header=BB2_4024 Depth=4
	s_or_b64 exec, exec, s[28:29]
	v_add_f32_e32 v2, v3, v2
	v_and_b32_e32 v3, 0x7f800000, v2
	v_mov_b32_e32 v4, v29
	v_cmp_ne_u64_e32 vcc, s[76:77], v[3:4]
	v_and_b32_e32 v28, 0x7fffff, v2
                                        ; implicit-def: $vgpr17
	s_and_saveexec_b64 s[28:29], vcc
	s_xor_b64 s[34:35], exec, s[28:29]
	s_cbranch_execz .LBB2_4360
; %bb.4343:                             ;   in Loop: Header=BB2_4024 Depth=4
	v_and_b32_e32 v3, 0x7fffffff, v2
	v_mov_b32_e32 v4, v29
	v_cmp_gt_u64_e32 vcc, s[78:79], v[3:4]
	v_and_b32_sdwa v16, v2, s96 dst_sel:DWORD dst_unused:UNUSED_PAD src0_sel:BYTE_3 src1_sel:DWORD
                                        ; implicit-def: $vgpr17
	s_and_saveexec_b64 s[28:29], vcc
	s_xor_b64 s[36:37], exec, s[28:29]
	s_cbranch_execz .LBB2_4357
; %bb.4344:                             ;   in Loop: Header=BB2_4024 Depth=4
	v_cmp_ne_u32_e32 vcc, 0, v2
	v_mov_b32_e32 v17, 0
	s_and_saveexec_b64 s[38:39], vcc
	s_cbranch_execz .LBB2_4356
; %bb.4345:                             ;   in Loop: Header=BB2_4024 Depth=4
	v_bfe_u32 v17, v2, 23, 8
	v_cmp_gt_u32_e64 s[28:29], s46, v17
	v_sub_u32_e32 v2, 0x71, v17
	v_cmp_eq_u32_e32 vcc, 0, v17
	v_cndmask_b32_e64 v2, 0, v2, s[28:29]
	v_mov_b32_e32 v4, 0x70
	v_cndmask_b32_e32 v19, v2, v4, vcc
	v_or_b32_e32 v3, 0x800000, v28
	v_add_u32_e32 v2, 21, v19
	v_cndmask_b32_e32 v28, v3, v28, vcc
	v_lshlrev_b64 v[2:3], v2, -1
	v_add_u32_e32 v4, 20, v19
	v_lshlrev_b64 v[31:32], v4, 1
	v_bfi_b32 v3, v3, 0, 0
	v_bfi_b32 v2, v2, 0, v28
	v_cmp_eq_u64_e64 s[28:29], v[2:3], v[31:32]
	v_lshrrev_b64 v[2:3], v19, v[28:29]
	v_mov_b32_e32 v4, v3
	v_mov_b32_e32 v3, v2
	s_and_saveexec_b64 s[48:49], s[28:29]
; %bb.4346:                             ;   in Loop: Header=BB2_4024 Depth=4
	v_bfe_u32 v3, v2, 21, 1
	v_add_co_u32_e64 v3, s[28:29], v2, v3
	v_add_co_u32_e64 v3, s[28:29], -1, v3
; %bb.4347:                             ;   in Loop: Header=BB2_4024 Depth=4
	s_or_b64 exec, exec, s[48:49]
	v_add_u32_e32 v4, 0xffffff81, v17
	v_cndmask_b32_e32 v4, v4, v1, vcc
	v_lshrrev_b32_e32 v17, 23, v2
	v_add3_u32 v19, v19, v4, v17
	v_add_u32_e32 v17, 14, v19
	v_and_b32_e32 v3, 0x1fffff, v3
	v_add_u32_e32 v28, v3, v2
	v_cmp_ne_u32_e32 vcc, 0, v17
                                        ; implicit-def: $vgpr2_vgpr3
                                        ; implicit-def: $vgpr4
	s_and_saveexec_b64 s[28:29], vcc
	s_xor_b64 s[28:29], exec, s[28:29]
; %bb.4348:                             ;   in Loop: Header=BB2_4024 Depth=4
	v_cmp_lt_u64_e32 vcc, s[88:89], v[28:29]
	v_add_u32_e32 v2, 15, v19
	v_cndmask_b32_e32 v4, v17, v2, vcc
	v_cndmask_b32_e64 v2, 0, 1, vcc
	v_lshrrev_b64 v[2:3], v2, v[28:29]
; %bb.4349:                             ;   in Loop: Header=BB2_4024 Depth=4
	s_andn2_saveexec_b64 s[28:29], s[28:29]
; %bb.4350:                             ;   in Loop: Header=BB2_4024 Depth=4
	v_mov_b32_e32 v2, v28
	v_bfe_u32 v4, v28, 23, 1
	v_mov_b32_e32 v3, v29
; %bb.4351:                             ;   in Loop: Header=BB2_4024 Depth=4
	s_or_b64 exec, exec, s[28:29]
	v_lshrrev_b64 v[2:3], 21, v[2:3]
	v_cmp_gt_i32_e32 vcc, 32, v4
	v_cndmask_b32_e32 v3, 0, v3, vcc
	v_cndmask_b32_e32 v2, 3, v2, vcc
	v_cmp_ne_u64_e32 vcc, 0, v[2:3]
	v_cmp_ne_u32_e64 s[28:29], 0, v4
	s_or_b64 s[28:29], s[28:29], vcc
                                        ; implicit-def: $vgpr17
	s_and_saveexec_b64 vcc, s[28:29]
	s_xor_b64 s[28:29], exec, vcc
; %bb.4352:                             ;   in Loop: Header=BB2_4024 Depth=4
	v_min_i32_e32 v3, 31, v4
	v_lshl_or_b32 v3, v3, 2, v16
	v_and_or_b32 v17, v2, 3, v3
                                        ; implicit-def: $vgpr16
; %bb.4353:                             ;   in Loop: Header=BB2_4024 Depth=4
	s_andn2_saveexec_b64 s[28:29], s[28:29]
; %bb.4354:                             ;   in Loop: Header=BB2_4024 Depth=4
	v_mov_b32_e32 v17, v16
; %bb.4355:                             ;   in Loop: Header=BB2_4024 Depth=4
	s_or_b64 exec, exec, s[28:29]
.LBB2_4356:                             ;   in Loop: Header=BB2_4024 Depth=4
	s_or_b64 exec, exec, s[38:39]
                                        ; implicit-def: $vgpr16
.LBB2_4357:                             ;   in Loop: Header=BB2_4024 Depth=4
	s_andn2_saveexec_b64 s[28:29], s[36:37]
; %bb.4358:                             ;   in Loop: Header=BB2_4024 Depth=4
	v_or_b32_e32 v17, 0x7b, v16
; %bb.4359:                             ;   in Loop: Header=BB2_4024 Depth=4
	s_or_b64 exec, exec, s[28:29]
                                        ; implicit-def: $vgpr2
.LBB2_4360:                             ;   in Loop: Header=BB2_4024 Depth=4
	s_andn2_saveexec_b64 s[28:29], s[34:35]
	s_cbranch_execz .LBB2_4366
; %bb.4361:                             ;   in Loop: Header=BB2_4024 Depth=4
	v_cmp_ne_u64_e32 vcc, 0, v[28:29]
                                        ; implicit-def: $vgpr17
	s_and_saveexec_b64 s[34:35], vcc
	s_xor_b64 vcc, exec, s[34:35]
; %bb.4362:                             ;   in Loop: Header=BB2_4024 Depth=4
	v_or_b32_sdwa v17, v2, s47 dst_sel:DWORD dst_unused:UNUSED_PAD src0_sel:BYTE_3 src1_sel:DWORD
                                        ; implicit-def: $vgpr2
; %bb.4363:                             ;   in Loop: Header=BB2_4024 Depth=4
	s_andn2_saveexec_b64 s[34:35], vcc
; %bb.4364:                             ;   in Loop: Header=BB2_4024 Depth=4
	v_cmp_lt_i32_e32 vcc, -1, v2
	v_cndmask_b32_e32 v17, -4, v22, vcc
; %bb.4365:                             ;   in Loop: Header=BB2_4024 Depth=4
	s_or_b64 exec, exec, s[34:35]
.LBB2_4366:                             ;   in Loop: Header=BB2_4024 Depth=4
	s_or_b64 exec, exec, s[28:29]
	v_and_b32_e32 v16, 0xff, v56
	v_cmp_ne_u16_e32 vcc, 0, v16
	v_mov_b32_e32 v2, 0
	v_mov_b32_e32 v3, 0
	s_and_saveexec_b64 s[28:29], vcc
	s_cbranch_execz .LBB2_4374
; %bb.4367:                             ;   in Loop: Header=BB2_4024 Depth=4
	v_cmp_ne_u16_e32 vcc, s96, v16
	v_bfrev_b32_e32 v3, 1
	s_and_saveexec_b64 s[34:35], vcc
	s_cbranch_execz .LBB2_4373
; %bb.4368:                             ;   in Loop: Header=BB2_4024 Depth=4
	v_and_b32_e32 v3, 0x7c, v56
	v_and_b32_e32 v4, 3, v56
	v_cmp_ne_u32_e32 vcc, s85, v3
                                        ; implicit-def: $vgpr3
	s_and_saveexec_b64 s[36:37], vcc
	s_xor_b64 s[36:37], exec, s[36:37]
	s_cbranch_execz .LBB2_4370
; %bb.4369:                             ;   in Loop: Header=BB2_4024 Depth=4
	v_bfe_u32 v3, v16, 2, 5
	v_ffbh_u32_e32 v16, v4
	v_min_u32_e32 v16, 32, v16
	v_mov_b32_e32 v57, v29
	v_subrev_u32_e32 v19, 29, v16
	v_lshlrev_b64 v[31:32], v19, v[56:57]
	v_sub_u32_e32 v16, 30, v16
	v_cmp_eq_u32_e32 vcc, 0, v3
	v_cndmask_b32_e32 v3, v3, v16, vcc
	v_lshlrev_b32_e32 v16, 24, v56
	v_and_b32_e32 v19, 3, v31
	v_and_b32_e32 v16, 0x80000000, v16
	v_cndmask_b32_e32 v4, v4, v19, vcc
	v_lshl_add_u32 v3, v3, 23, v16
	v_lshl_or_b32 v3, v4, 21, v3
	v_add_u32_e32 v3, 0x38000000, v3
                                        ; implicit-def: $vgpr4
                                        ; implicit-def: $vgpr56
.LBB2_4370:                             ;   in Loop: Header=BB2_4024 Depth=4
	s_andn2_saveexec_b64 s[36:37], s[36:37]
; %bb.4371:                             ;   in Loop: Header=BB2_4024 Depth=4
	v_cmp_gt_i16_sdwa vcc, sext(v56), v48 src0_sel:BYTE_0 src1_sel:DWORD
	v_cndmask_b32_e32 v3, v7, v0, vcc
	v_cmp_eq_u32_e32 vcc, 0, v4
	v_cndmask_b32_e32 v3, v35, v3, vcc
; %bb.4372:                             ;   in Loop: Header=BB2_4024 Depth=4
	s_or_b64 exec, exec, s[36:37]
.LBB2_4373:                             ;   in Loop: Header=BB2_4024 Depth=4
	s_or_b64 exec, exec, s[34:35]
.LBB2_4374:                             ;   in Loop: Header=BB2_4024 Depth=4
	s_or_b64 exec, exec, s[28:29]
	v_cmp_ne_u16_e32 vcc, 0, v15
	s_and_saveexec_b64 s[28:29], vcc
	s_cbranch_execz .LBB2_4382
; %bb.4375:                             ;   in Loop: Header=BB2_4024 Depth=4
	v_cmp_ne_u16_e32 vcc, s97, v15
	v_bfrev_b32_e32 v2, 1
	s_and_saveexec_b64 s[34:35], vcc
	s_cbranch_execz .LBB2_4381
; %bb.4376:                             ;   in Loop: Header=BB2_4024 Depth=4
	v_and_b32_e32 v2, 0x7c, v15
	v_and_b32_e32 v4, 3, v15
	v_cmp_ne_u32_e32 vcc, s85, v2
                                        ; implicit-def: $vgpr2
	s_and_saveexec_b64 s[36:37], vcc
	s_xor_b64 s[36:37], exec, s[36:37]
	s_cbranch_execz .LBB2_4378
; %bb.4377:                             ;   in Loop: Header=BB2_4024 Depth=4
	v_ffbh_u32_e32 v19, v4
	v_min_u32_e32 v19, 32, v19
	v_and_b32_e32 v2, 0xff, v15
	v_mov_b32_e32 v16, v29
	v_subrev_u32_e32 v28, 29, v19
	v_bfe_u32 v2, v2, 2, 5
	v_lshlrev_b64 v[31:32], v28, v[15:16]
	v_sub_u32_e32 v16, 30, v19
	v_cmp_eq_u32_e32 vcc, 0, v2
	v_and_b32_e32 v19, 3, v31
	v_cndmask_b32_e32 v2, v2, v16, vcc
	v_and_b32_sdwa v15, sext(v15), s86 dst_sel:DWORD dst_unused:UNUSED_PAD src0_sel:WORD_0 src1_sel:DWORD
	v_cndmask_b32_e32 v4, v4, v19, vcc
	v_lshl_add_u32 v2, v2, 23, v15
	v_lshl_or_b32 v2, v4, 21, v2
	v_add_u32_e32 v2, 0x38000000, v2
                                        ; implicit-def: $vgpr4
                                        ; implicit-def: $vgpr15
.LBB2_4378:                             ;   in Loop: Header=BB2_4024 Depth=4
	s_andn2_saveexec_b64 s[36:37], s[36:37]
; %bb.4379:                             ;   in Loop: Header=BB2_4024 Depth=4
	v_cmp_lt_i16_e32 vcc, -1, v15
	v_cndmask_b32_e32 v2, v7, v0, vcc
	v_cmp_eq_u32_e32 vcc, 0, v4
	v_cndmask_b32_e32 v2, v35, v2, vcc
; %bb.4380:                             ;   in Loop: Header=BB2_4024 Depth=4
	s_or_b64 exec, exec, s[36:37]
.LBB2_4381:                             ;   in Loop: Header=BB2_4024 Depth=4
	s_or_b64 exec, exec, s[34:35]
.LBB2_4382:                             ;   in Loop: Header=BB2_4024 Depth=4
	s_or_b64 exec, exec, s[28:29]
	v_add_f32_e32 v2, v3, v2
	v_and_b32_e32 v3, 0x7f800000, v2
	v_mov_b32_e32 v4, v29
	v_cmp_ne_u64_e32 vcc, s[76:77], v[3:4]
	v_and_b32_e32 v28, 0x7fffff, v2
                                        ; implicit-def: $vgpr16
	s_and_saveexec_b64 s[28:29], vcc
	s_xor_b64 s[34:35], exec, s[28:29]
	s_cbranch_execz .LBB2_4400
; %bb.4383:                             ;   in Loop: Header=BB2_4024 Depth=4
	v_and_b32_e32 v3, 0x7fffffff, v2
	v_mov_b32_e32 v4, v29
	v_cmp_gt_u64_e32 vcc, s[78:79], v[3:4]
	v_and_b32_sdwa v15, v2, s96 dst_sel:DWORD dst_unused:UNUSED_PAD src0_sel:BYTE_3 src1_sel:DWORD
                                        ; implicit-def: $vgpr16
	s_and_saveexec_b64 s[28:29], vcc
	s_xor_b64 s[36:37], exec, s[28:29]
	s_cbranch_execz .LBB2_4397
; %bb.4384:                             ;   in Loop: Header=BB2_4024 Depth=4
	v_cmp_ne_u32_e32 vcc, 0, v2
	v_mov_b32_e32 v16, 0
	s_and_saveexec_b64 s[38:39], vcc
	s_cbranch_execz .LBB2_4396
; %bb.4385:                             ;   in Loop: Header=BB2_4024 Depth=4
	v_bfe_u32 v16, v2, 23, 8
	v_cmp_gt_u32_e64 s[28:29], s46, v16
	v_sub_u32_e32 v2, 0x71, v16
	v_cmp_eq_u32_e32 vcc, 0, v16
	v_cndmask_b32_e64 v2, 0, v2, s[28:29]
	v_mov_b32_e32 v4, 0x70
	v_cndmask_b32_e32 v19, v2, v4, vcc
	v_or_b32_e32 v3, 0x800000, v28
	v_add_u32_e32 v2, 21, v19
	v_cndmask_b32_e32 v28, v3, v28, vcc
	v_lshlrev_b64 v[2:3], v2, -1
	v_add_u32_e32 v4, 20, v19
	v_lshlrev_b64 v[31:32], v4, 1
	v_bfi_b32 v3, v3, 0, 0
	v_bfi_b32 v2, v2, 0, v28
	v_cmp_eq_u64_e64 s[28:29], v[2:3], v[31:32]
	v_lshrrev_b64 v[2:3], v19, v[28:29]
	v_mov_b32_e32 v4, v3
	v_mov_b32_e32 v3, v2
	s_and_saveexec_b64 s[48:49], s[28:29]
; %bb.4386:                             ;   in Loop: Header=BB2_4024 Depth=4
	v_bfe_u32 v3, v2, 21, 1
	v_add_co_u32_e64 v3, s[28:29], v2, v3
	v_add_co_u32_e64 v3, s[28:29], -1, v3
; %bb.4387:                             ;   in Loop: Header=BB2_4024 Depth=4
	s_or_b64 exec, exec, s[48:49]
	v_add_u32_e32 v4, 0xffffff81, v16
	v_cndmask_b32_e32 v4, v4, v1, vcc
	v_lshrrev_b32_e32 v16, 23, v2
	v_add3_u32 v19, v19, v4, v16
	v_add_u32_e32 v16, 14, v19
	v_and_b32_e32 v3, 0x1fffff, v3
	v_add_u32_e32 v28, v3, v2
	v_cmp_ne_u32_e32 vcc, 0, v16
                                        ; implicit-def: $vgpr2_vgpr3
                                        ; implicit-def: $vgpr4
	s_and_saveexec_b64 s[28:29], vcc
	s_xor_b64 s[28:29], exec, s[28:29]
; %bb.4388:                             ;   in Loop: Header=BB2_4024 Depth=4
	v_cmp_lt_u64_e32 vcc, s[88:89], v[28:29]
	v_add_u32_e32 v2, 15, v19
	v_cndmask_b32_e32 v4, v16, v2, vcc
	v_cndmask_b32_e64 v2, 0, 1, vcc
	v_lshrrev_b64 v[2:3], v2, v[28:29]
; %bb.4389:                             ;   in Loop: Header=BB2_4024 Depth=4
	s_andn2_saveexec_b64 s[28:29], s[28:29]
; %bb.4390:                             ;   in Loop: Header=BB2_4024 Depth=4
	v_mov_b32_e32 v2, v28
	v_bfe_u32 v4, v28, 23, 1
	v_mov_b32_e32 v3, v29
; %bb.4391:                             ;   in Loop: Header=BB2_4024 Depth=4
	s_or_b64 exec, exec, s[28:29]
	v_lshrrev_b64 v[2:3], 21, v[2:3]
	v_cmp_gt_i32_e32 vcc, 32, v4
	v_cndmask_b32_e32 v3, 0, v3, vcc
	v_cndmask_b32_e32 v2, 3, v2, vcc
	v_cmp_ne_u64_e32 vcc, 0, v[2:3]
	v_cmp_ne_u32_e64 s[28:29], 0, v4
	s_or_b64 s[28:29], s[28:29], vcc
                                        ; implicit-def: $vgpr16
	s_and_saveexec_b64 vcc, s[28:29]
	s_xor_b64 s[28:29], exec, vcc
; %bb.4392:                             ;   in Loop: Header=BB2_4024 Depth=4
	v_min_i32_e32 v3, 31, v4
	v_lshl_or_b32 v3, v3, 2, v15
	v_and_or_b32 v16, v2, 3, v3
                                        ; implicit-def: $vgpr15
; %bb.4393:                             ;   in Loop: Header=BB2_4024 Depth=4
	s_andn2_saveexec_b64 s[28:29], s[28:29]
; %bb.4394:                             ;   in Loop: Header=BB2_4024 Depth=4
	v_mov_b32_e32 v16, v15
; %bb.4395:                             ;   in Loop: Header=BB2_4024 Depth=4
	s_or_b64 exec, exec, s[28:29]
.LBB2_4396:                             ;   in Loop: Header=BB2_4024 Depth=4
	s_or_b64 exec, exec, s[38:39]
                                        ; implicit-def: $vgpr15
.LBB2_4397:                             ;   in Loop: Header=BB2_4024 Depth=4
	s_andn2_saveexec_b64 s[28:29], s[36:37]
; %bb.4398:                             ;   in Loop: Header=BB2_4024 Depth=4
	v_or_b32_e32 v16, 0x7b, v15
; %bb.4399:                             ;   in Loop: Header=BB2_4024 Depth=4
	s_or_b64 exec, exec, s[28:29]
                                        ; implicit-def: $vgpr2
.LBB2_4400:                             ;   in Loop: Header=BB2_4024 Depth=4
	s_andn2_saveexec_b64 s[28:29], s[34:35]
	s_cbranch_execz .LBB2_4406
; %bb.4401:                             ;   in Loop: Header=BB2_4024 Depth=4
	v_cmp_ne_u64_e32 vcc, 0, v[28:29]
                                        ; implicit-def: $vgpr16
	s_and_saveexec_b64 s[34:35], vcc
	s_xor_b64 vcc, exec, s[34:35]
; %bb.4402:                             ;   in Loop: Header=BB2_4024 Depth=4
	v_or_b32_sdwa v16, v2, s47 dst_sel:DWORD dst_unused:UNUSED_PAD src0_sel:BYTE_3 src1_sel:DWORD
                                        ; implicit-def: $vgpr2
; %bb.4403:                             ;   in Loop: Header=BB2_4024 Depth=4
	s_andn2_saveexec_b64 s[34:35], vcc
; %bb.4404:                             ;   in Loop: Header=BB2_4024 Depth=4
	v_cmp_lt_i32_e32 vcc, -1, v2
	v_cndmask_b32_e32 v16, -4, v22, vcc
; %bb.4405:                             ;   in Loop: Header=BB2_4024 Depth=4
	s_or_b64 exec, exec, s[34:35]
.LBB2_4406:                             ;   in Loop: Header=BB2_4024 Depth=4
	s_or_b64 exec, exec, s[28:29]
	v_and_b32_e32 v15, 0xff, v46
	v_cmp_ne_u16_e32 vcc, 0, v15
	v_mov_b32_e32 v2, 0
	v_mov_b32_e32 v3, 0
	s_and_saveexec_b64 s[28:29], vcc
	s_cbranch_execz .LBB2_4414
; %bb.4407:                             ;   in Loop: Header=BB2_4024 Depth=4
	v_cmp_ne_u16_e32 vcc, s96, v15
	v_bfrev_b32_e32 v3, 1
	s_and_saveexec_b64 s[34:35], vcc
	s_cbranch_execz .LBB2_4413
; %bb.4408:                             ;   in Loop: Header=BB2_4024 Depth=4
	v_and_b32_e32 v3, 0x7c, v46
	v_and_b32_e32 v4, 3, v46
	v_cmp_ne_u32_e32 vcc, s85, v3
                                        ; implicit-def: $vgpr3
	s_and_saveexec_b64 s[36:37], vcc
	s_xor_b64 s[36:37], exec, s[36:37]
	s_cbranch_execz .LBB2_4410
; %bb.4409:                             ;   in Loop: Header=BB2_4024 Depth=4
	buffer_load_dword v49, off, s[0:3], s33 offset:144 ; 4-byte Folded Reload
	v_bfe_u32 v3, v15, 2, 5
	v_ffbh_u32_e32 v15, v4
	v_min_u32_e32 v15, 32, v15
	v_mov_b32_e32 v47, v29
	v_subrev_u32_e32 v19, 29, v15
	v_lshlrev_b64 v[31:32], v19, v[46:47]
	v_sub_u32_e32 v15, 30, v15
	v_cmp_eq_u32_e32 vcc, 0, v3
	v_cndmask_b32_e32 v3, v3, v15, vcc
	v_lshlrev_b32_e32 v15, 24, v46
	v_and_b32_e32 v19, 3, v31
	v_and_b32_e32 v15, 0x80000000, v15
	v_cndmask_b32_e32 v4, v4, v19, vcc
	v_lshl_add_u32 v3, v3, 23, v15
	v_lshl_or_b32 v3, v4, 21, v3
	v_add_u32_e32 v3, 0x38000000, v3
                                        ; implicit-def: $vgpr4
                                        ; implicit-def: $vgpr46
.LBB2_4410:                             ;   in Loop: Header=BB2_4024 Depth=4
	s_andn2_saveexec_b64 s[36:37], s[36:37]
; %bb.4411:                             ;   in Loop: Header=BB2_4024 Depth=4
	v_cmp_gt_i16_sdwa vcc, sext(v46), v48 src0_sel:BYTE_0 src1_sel:DWORD
	v_cndmask_b32_e32 v3, v7, v0, vcc
	v_cmp_eq_u32_e32 vcc, 0, v4
	v_cndmask_b32_e32 v3, v35, v3, vcc
; %bb.4412:                             ;   in Loop: Header=BB2_4024 Depth=4
	s_or_b64 exec, exec, s[36:37]
.LBB2_4413:                             ;   in Loop: Header=BB2_4024 Depth=4
	s_or_b64 exec, exec, s[34:35]
.LBB2_4414:                             ;   in Loop: Header=BB2_4024 Depth=4
	s_or_b64 exec, exec, s[28:29]
	v_cmp_ne_u16_e32 vcc, 0, v14
	s_and_saveexec_b64 s[28:29], vcc
	s_cbranch_execz .LBB2_4422
; %bb.4415:                             ;   in Loop: Header=BB2_4024 Depth=4
	v_cmp_ne_u16_e32 vcc, s97, v14
	v_bfrev_b32_e32 v2, 1
	s_and_saveexec_b64 s[34:35], vcc
	s_cbranch_execz .LBB2_4421
; %bb.4416:                             ;   in Loop: Header=BB2_4024 Depth=4
	v_and_b32_e32 v2, 0x7c, v14
	v_and_b32_e32 v4, 3, v14
	v_cmp_ne_u32_e32 vcc, s85, v2
                                        ; implicit-def: $vgpr2
	s_and_saveexec_b64 s[36:37], vcc
	s_xor_b64 s[36:37], exec, s[36:37]
	s_cbranch_execz .LBB2_4418
; %bb.4417:                             ;   in Loop: Header=BB2_4024 Depth=4
	v_ffbh_u32_e32 v19, v4
	v_min_u32_e32 v19, 32, v19
	v_and_b32_e32 v2, 0xff, v14
	v_mov_b32_e32 v15, v29
	v_subrev_u32_e32 v28, 29, v19
	v_bfe_u32 v2, v2, 2, 5
	v_lshlrev_b64 v[31:32], v28, v[14:15]
	v_sub_u32_e32 v15, 30, v19
	v_cmp_eq_u32_e32 vcc, 0, v2
	v_and_b32_e32 v19, 3, v31
	v_cndmask_b32_e32 v2, v2, v15, vcc
	v_and_b32_sdwa v14, sext(v14), s86 dst_sel:DWORD dst_unused:UNUSED_PAD src0_sel:WORD_0 src1_sel:DWORD
	v_cndmask_b32_e32 v4, v4, v19, vcc
	v_lshl_add_u32 v2, v2, 23, v14
	v_lshl_or_b32 v2, v4, 21, v2
	v_add_u32_e32 v2, 0x38000000, v2
                                        ; implicit-def: $vgpr4
                                        ; implicit-def: $vgpr14
.LBB2_4418:                             ;   in Loop: Header=BB2_4024 Depth=4
	s_andn2_saveexec_b64 s[36:37], s[36:37]
; %bb.4419:                             ;   in Loop: Header=BB2_4024 Depth=4
	v_cmp_lt_i16_e32 vcc, -1, v14
	v_cndmask_b32_e32 v2, v7, v0, vcc
	v_cmp_eq_u32_e32 vcc, 0, v4
	v_cndmask_b32_e32 v2, v35, v2, vcc
; %bb.4420:                             ;   in Loop: Header=BB2_4024 Depth=4
	s_or_b64 exec, exec, s[36:37]
.LBB2_4421:                             ;   in Loop: Header=BB2_4024 Depth=4
	s_or_b64 exec, exec, s[34:35]
.LBB2_4422:                             ;   in Loop: Header=BB2_4024 Depth=4
	s_or_b64 exec, exec, s[28:29]
	v_add_f32_e32 v2, v3, v2
	v_and_b32_e32 v3, 0x7f800000, v2
	v_mov_b32_e32 v4, v29
	v_cmp_ne_u64_e32 vcc, s[76:77], v[3:4]
	v_and_b32_e32 v28, 0x7fffff, v2
                                        ; implicit-def: $vgpr14
	s_and_saveexec_b64 s[28:29], vcc
	s_xor_b64 s[34:35], exec, s[28:29]
	s_cbranch_execz .LBB2_4440
; %bb.4423:                             ;   in Loop: Header=BB2_4024 Depth=4
	v_and_b32_e32 v3, 0x7fffffff, v2
	v_mov_b32_e32 v4, v29
	v_cmp_gt_u64_e32 vcc, s[78:79], v[3:4]
	v_and_b32_sdwa v15, v2, s96 dst_sel:DWORD dst_unused:UNUSED_PAD src0_sel:BYTE_3 src1_sel:DWORD
                                        ; implicit-def: $vgpr14
	s_and_saveexec_b64 s[28:29], vcc
	s_xor_b64 s[36:37], exec, s[28:29]
	s_cbranch_execz .LBB2_4437
; %bb.4424:                             ;   in Loop: Header=BB2_4024 Depth=4
	v_cmp_ne_u32_e32 vcc, 0, v2
	v_mov_b32_e32 v14, 0
	s_and_saveexec_b64 s[38:39], vcc
	s_cbranch_execz .LBB2_4436
; %bb.4425:                             ;   in Loop: Header=BB2_4024 Depth=4
	v_bfe_u32 v14, v2, 23, 8
	v_cmp_gt_u32_e64 s[28:29], s46, v14
	v_sub_u32_e32 v2, 0x71, v14
	v_cmp_eq_u32_e32 vcc, 0, v14
	v_cndmask_b32_e64 v2, 0, v2, s[28:29]
	v_mov_b32_e32 v4, 0x70
	v_cndmask_b32_e32 v19, v2, v4, vcc
	v_or_b32_e32 v3, 0x800000, v28
	v_add_u32_e32 v2, 21, v19
	v_cndmask_b32_e32 v28, v3, v28, vcc
	v_lshlrev_b64 v[2:3], v2, -1
	v_add_u32_e32 v4, 20, v19
	v_lshlrev_b64 v[31:32], v4, 1
	v_bfi_b32 v3, v3, 0, 0
	v_bfi_b32 v2, v2, 0, v28
	v_cmp_eq_u64_e64 s[28:29], v[2:3], v[31:32]
	v_lshrrev_b64 v[2:3], v19, v[28:29]
	v_mov_b32_e32 v4, v3
	v_mov_b32_e32 v3, v2
	s_and_saveexec_b64 s[48:49], s[28:29]
; %bb.4426:                             ;   in Loop: Header=BB2_4024 Depth=4
	v_bfe_u32 v3, v2, 21, 1
	v_add_co_u32_e64 v3, s[28:29], v2, v3
	v_add_co_u32_e64 v3, s[28:29], -1, v3
; %bb.4427:                             ;   in Loop: Header=BB2_4024 Depth=4
	s_or_b64 exec, exec, s[48:49]
	v_add_u32_e32 v4, 0xffffff81, v14
	v_cndmask_b32_e32 v4, v4, v1, vcc
	v_lshrrev_b32_e32 v14, 23, v2
	v_add3_u32 v19, v19, v4, v14
	v_add_u32_e32 v14, 14, v19
	v_and_b32_e32 v3, 0x1fffff, v3
	v_add_u32_e32 v28, v3, v2
	v_cmp_ne_u32_e32 vcc, 0, v14
                                        ; implicit-def: $vgpr2_vgpr3
                                        ; implicit-def: $vgpr4
	s_and_saveexec_b64 s[28:29], vcc
	s_xor_b64 s[28:29], exec, s[28:29]
; %bb.4428:                             ;   in Loop: Header=BB2_4024 Depth=4
	v_cmp_lt_u64_e32 vcc, s[88:89], v[28:29]
	v_add_u32_e32 v2, 15, v19
	v_cndmask_b32_e32 v4, v14, v2, vcc
	v_cndmask_b32_e64 v2, 0, 1, vcc
	v_lshrrev_b64 v[2:3], v2, v[28:29]
; %bb.4429:                             ;   in Loop: Header=BB2_4024 Depth=4
	s_andn2_saveexec_b64 s[28:29], s[28:29]
; %bb.4430:                             ;   in Loop: Header=BB2_4024 Depth=4
	v_mov_b32_e32 v2, v28
	v_bfe_u32 v4, v28, 23, 1
	v_mov_b32_e32 v3, v29
; %bb.4431:                             ;   in Loop: Header=BB2_4024 Depth=4
	s_or_b64 exec, exec, s[28:29]
	v_lshrrev_b64 v[2:3], 21, v[2:3]
	v_cmp_gt_i32_e32 vcc, 32, v4
	v_cndmask_b32_e32 v3, 0, v3, vcc
	v_cndmask_b32_e32 v2, 3, v2, vcc
	v_cmp_ne_u64_e32 vcc, 0, v[2:3]
	v_cmp_ne_u32_e64 s[28:29], 0, v4
	s_or_b64 s[28:29], s[28:29], vcc
                                        ; implicit-def: $vgpr14
	s_and_saveexec_b64 vcc, s[28:29]
	s_xor_b64 s[28:29], exec, vcc
; %bb.4432:                             ;   in Loop: Header=BB2_4024 Depth=4
	v_min_i32_e32 v3, 31, v4
	v_lshl_or_b32 v3, v3, 2, v15
	v_and_or_b32 v14, v2, 3, v3
                                        ; implicit-def: $vgpr15
; %bb.4433:                             ;   in Loop: Header=BB2_4024 Depth=4
	s_andn2_saveexec_b64 s[28:29], s[28:29]
; %bb.4434:                             ;   in Loop: Header=BB2_4024 Depth=4
	v_mov_b32_e32 v14, v15
; %bb.4435:                             ;   in Loop: Header=BB2_4024 Depth=4
	s_or_b64 exec, exec, s[28:29]
.LBB2_4436:                             ;   in Loop: Header=BB2_4024 Depth=4
	s_or_b64 exec, exec, s[38:39]
                                        ; implicit-def: $vgpr15
.LBB2_4437:                             ;   in Loop: Header=BB2_4024 Depth=4
	s_andn2_saveexec_b64 s[28:29], s[36:37]
; %bb.4438:                             ;   in Loop: Header=BB2_4024 Depth=4
	v_or_b32_e32 v14, 0x7b, v15
; %bb.4439:                             ;   in Loop: Header=BB2_4024 Depth=4
	s_or_b64 exec, exec, s[28:29]
                                        ; implicit-def: $vgpr2
.LBB2_4440:                             ;   in Loop: Header=BB2_4024 Depth=4
	s_andn2_saveexec_b64 s[28:29], s[34:35]
	s_cbranch_execz .LBB2_4446
; %bb.4441:                             ;   in Loop: Header=BB2_4024 Depth=4
	v_cmp_ne_u64_e32 vcc, 0, v[28:29]
                                        ; implicit-def: $vgpr14
	s_and_saveexec_b64 s[34:35], vcc
	s_xor_b64 vcc, exec, s[34:35]
; %bb.4442:                             ;   in Loop: Header=BB2_4024 Depth=4
	v_or_b32_sdwa v14, v2, s47 dst_sel:DWORD dst_unused:UNUSED_PAD src0_sel:BYTE_3 src1_sel:DWORD
                                        ; implicit-def: $vgpr2
; %bb.4443:                             ;   in Loop: Header=BB2_4024 Depth=4
	s_andn2_saveexec_b64 s[34:35], vcc
; %bb.4444:                             ;   in Loop: Header=BB2_4024 Depth=4
	v_cmp_lt_i32_e32 vcc, -1, v2
	v_cndmask_b32_e32 v14, -4, v22, vcc
; %bb.4445:                             ;   in Loop: Header=BB2_4024 Depth=4
	s_or_b64 exec, exec, s[34:35]
.LBB2_4446:                             ;   in Loop: Header=BB2_4024 Depth=4
	s_or_b64 exec, exec, s[28:29]
	v_and_b32_e32 v15, 0xff, v45
	v_cmp_ne_u16_e32 vcc, 0, v15
	v_mov_b32_e32 v2, 0
	v_mov_b32_e32 v3, 0
	s_and_saveexec_b64 s[28:29], vcc
	s_cbranch_execz .LBB2_4454
; %bb.4447:                             ;   in Loop: Header=BB2_4024 Depth=4
	v_cmp_ne_u16_e32 vcc, s96, v15
	v_bfrev_b32_e32 v3, 1
	s_and_saveexec_b64 s[34:35], vcc
	s_cbranch_execz .LBB2_4453
; %bb.4448:                             ;   in Loop: Header=BB2_4024 Depth=4
	v_and_b32_e32 v3, 0x7c, v45
	v_and_b32_e32 v4, 3, v45
	v_cmp_ne_u32_e32 vcc, s85, v3
                                        ; implicit-def: $vgpr3
	s_and_saveexec_b64 s[36:37], vcc
	s_xor_b64 s[36:37], exec, s[36:37]
	s_cbranch_execz .LBB2_4450
; %bb.4449:                             ;   in Loop: Header=BB2_4024 Depth=4
	v_bfe_u32 v3, v15, 2, 5
	v_ffbh_u32_e32 v15, v4
	v_min_u32_e32 v15, 32, v15
	v_mov_b32_e32 v46, v29
	v_subrev_u32_e32 v19, 29, v15
	v_lshlrev_b64 v[31:32], v19, v[45:46]
	v_sub_u32_e32 v15, 30, v15
	v_cmp_eq_u32_e32 vcc, 0, v3
	v_cndmask_b32_e32 v3, v3, v15, vcc
	v_lshlrev_b32_e32 v15, 24, v45
	v_and_b32_e32 v19, 3, v31
	v_and_b32_e32 v15, 0x80000000, v15
	v_cndmask_b32_e32 v4, v4, v19, vcc
	v_lshl_add_u32 v3, v3, 23, v15
	v_lshl_or_b32 v3, v4, 21, v3
	v_add_u32_e32 v3, 0x38000000, v3
                                        ; implicit-def: $vgpr4
                                        ; implicit-def: $vgpr45
.LBB2_4450:                             ;   in Loop: Header=BB2_4024 Depth=4
	s_andn2_saveexec_b64 s[36:37], s[36:37]
; %bb.4451:                             ;   in Loop: Header=BB2_4024 Depth=4
	v_cmp_gt_i16_sdwa vcc, sext(v45), v48 src0_sel:BYTE_0 src1_sel:DWORD
	v_cndmask_b32_e32 v3, v7, v0, vcc
	v_cmp_eq_u32_e32 vcc, 0, v4
	v_cndmask_b32_e32 v3, v35, v3, vcc
; %bb.4452:                             ;   in Loop: Header=BB2_4024 Depth=4
	s_or_b64 exec, exec, s[36:37]
.LBB2_4453:                             ;   in Loop: Header=BB2_4024 Depth=4
	s_or_b64 exec, exec, s[34:35]
.LBB2_4454:                             ;   in Loop: Header=BB2_4024 Depth=4
	s_or_b64 exec, exec, s[28:29]
	v_cmp_ne_u16_e32 vcc, 0, v30
	s_and_saveexec_b64 s[28:29], vcc
	s_cbranch_execz .LBB2_4462
; %bb.4455:                             ;   in Loop: Header=BB2_4024 Depth=4
	v_cmp_ne_u16_e32 vcc, s97, v30
	v_bfrev_b32_e32 v2, 1
	s_and_saveexec_b64 s[34:35], vcc
	s_cbranch_execz .LBB2_4461
; %bb.4456:                             ;   in Loop: Header=BB2_4024 Depth=4
	v_and_b32_e32 v2, 0x7c, v30
	v_and_b32_e32 v4, 3, v30
	v_cmp_ne_u32_e32 vcc, s85, v2
                                        ; implicit-def: $vgpr2
	s_and_saveexec_b64 s[36:37], vcc
	s_xor_b64 s[36:37], exec, s[36:37]
	s_cbranch_execz .LBB2_4458
; %bb.4457:                             ;   in Loop: Header=BB2_4024 Depth=4
	v_ffbh_u32_e32 v15, v4
	v_min_u32_e32 v15, 32, v15
	v_and_b32_e32 v2, 0xff, v30
	v_mov_b32_e32 v31, v29
	v_subrev_u32_e32 v19, 29, v15
	v_bfe_u32 v2, v2, 2, 5
	v_lshlrev_b64 v[31:32], v19, v[30:31]
	v_sub_u32_e32 v15, 30, v15
	v_cmp_eq_u32_e32 vcc, 0, v2
	v_and_b32_e32 v19, 3, v31
	v_cndmask_b32_e32 v2, v2, v15, vcc
	v_and_b32_sdwa v15, sext(v30), s86 dst_sel:DWORD dst_unused:UNUSED_PAD src0_sel:WORD_0 src1_sel:DWORD
	v_cndmask_b32_e32 v4, v4, v19, vcc
	v_lshl_add_u32 v2, v2, 23, v15
	v_lshl_or_b32 v2, v4, 21, v2
	v_add_u32_e32 v2, 0x38000000, v2
                                        ; implicit-def: $vgpr4
                                        ; implicit-def: $vgpr30
.LBB2_4458:                             ;   in Loop: Header=BB2_4024 Depth=4
	s_andn2_saveexec_b64 s[36:37], s[36:37]
; %bb.4459:                             ;   in Loop: Header=BB2_4024 Depth=4
	v_cmp_lt_i16_e32 vcc, -1, v30
	v_cndmask_b32_e32 v2, v7, v0, vcc
	v_cmp_eq_u32_e32 vcc, 0, v4
	v_cndmask_b32_e32 v2, v35, v2, vcc
; %bb.4460:                             ;   in Loop: Header=BB2_4024 Depth=4
	s_or_b64 exec, exec, s[36:37]
.LBB2_4461:                             ;   in Loop: Header=BB2_4024 Depth=4
	s_or_b64 exec, exec, s[34:35]
.LBB2_4462:                             ;   in Loop: Header=BB2_4024 Depth=4
	s_or_b64 exec, exec, s[28:29]
	v_add_f32_e32 v2, v3, v2
	v_and_b32_e32 v3, 0x7f800000, v2
	v_mov_b32_e32 v4, v29
	v_cmp_ne_u64_e32 vcc, s[76:77], v[3:4]
	v_and_b32_e32 v28, 0x7fffff, v2
                                        ; implicit-def: $vgpr15
	s_and_saveexec_b64 s[28:29], vcc
	s_xor_b64 s[34:35], exec, s[28:29]
	s_cbranch_execz .LBB2_4480
; %bb.4463:                             ;   in Loop: Header=BB2_4024 Depth=4
	v_and_b32_e32 v3, 0x7fffffff, v2
	v_mov_b32_e32 v4, v29
	v_cmp_gt_u64_e32 vcc, s[78:79], v[3:4]
	v_and_b32_sdwa v19, v2, s96 dst_sel:DWORD dst_unused:UNUSED_PAD src0_sel:BYTE_3 src1_sel:DWORD
                                        ; implicit-def: $vgpr15
	s_and_saveexec_b64 s[28:29], vcc
	s_xor_b64 s[36:37], exec, s[28:29]
	s_cbranch_execz .LBB2_4477
; %bb.4464:                             ;   in Loop: Header=BB2_4024 Depth=4
	v_cmp_ne_u32_e32 vcc, 0, v2
	v_mov_b32_e32 v15, 0
	s_and_saveexec_b64 s[38:39], vcc
	s_cbranch_execz .LBB2_4476
; %bb.4465:                             ;   in Loop: Header=BB2_4024 Depth=4
	v_bfe_u32 v15, v2, 23, 8
	v_cmp_gt_u32_e64 s[28:29], s46, v15
	v_sub_u32_e32 v2, 0x71, v15
	v_cmp_eq_u32_e32 vcc, 0, v15
	v_cndmask_b32_e64 v2, 0, v2, s[28:29]
	v_mov_b32_e32 v4, 0x70
	v_cndmask_b32_e32 v30, v2, v4, vcc
	v_or_b32_e32 v3, 0x800000, v28
	v_add_u32_e32 v2, 21, v30
	v_cndmask_b32_e32 v28, v3, v28, vcc
	v_lshlrev_b64 v[2:3], v2, -1
	v_add_u32_e32 v4, 20, v30
	v_lshlrev_b64 v[31:32], v4, 1
	v_bfi_b32 v3, v3, 0, 0
	v_bfi_b32 v2, v2, 0, v28
	v_cmp_eq_u64_e64 s[28:29], v[2:3], v[31:32]
	v_lshrrev_b64 v[2:3], v30, v[28:29]
	v_mov_b32_e32 v4, v3
	v_mov_b32_e32 v3, v2
	s_and_saveexec_b64 s[48:49], s[28:29]
; %bb.4466:                             ;   in Loop: Header=BB2_4024 Depth=4
	v_bfe_u32 v3, v2, 21, 1
	v_add_co_u32_e64 v3, s[28:29], v2, v3
	v_add_co_u32_e64 v3, s[28:29], -1, v3
; %bb.4467:                             ;   in Loop: Header=BB2_4024 Depth=4
	s_or_b64 exec, exec, s[48:49]
	v_add_u32_e32 v4, 0xffffff81, v15
	v_cndmask_b32_e32 v4, v4, v1, vcc
	v_lshrrev_b32_e32 v15, 23, v2
	v_add3_u32 v30, v30, v4, v15
	v_add_u32_e32 v15, 14, v30
	v_and_b32_e32 v3, 0x1fffff, v3
	v_add_u32_e32 v28, v3, v2
	v_cmp_ne_u32_e32 vcc, 0, v15
                                        ; implicit-def: $vgpr2_vgpr3
                                        ; implicit-def: $vgpr4
	s_and_saveexec_b64 s[28:29], vcc
	s_xor_b64 s[28:29], exec, s[28:29]
; %bb.4468:                             ;   in Loop: Header=BB2_4024 Depth=4
	v_cmp_lt_u64_e32 vcc, s[88:89], v[28:29]
	v_add_u32_e32 v2, 15, v30
	v_cndmask_b32_e32 v4, v15, v2, vcc
	v_cndmask_b32_e64 v2, 0, 1, vcc
	v_lshrrev_b64 v[2:3], v2, v[28:29]
; %bb.4469:                             ;   in Loop: Header=BB2_4024 Depth=4
	s_andn2_saveexec_b64 s[28:29], s[28:29]
; %bb.4470:                             ;   in Loop: Header=BB2_4024 Depth=4
	v_mov_b32_e32 v2, v28
	v_bfe_u32 v4, v28, 23, 1
	v_mov_b32_e32 v3, v29
; %bb.4471:                             ;   in Loop: Header=BB2_4024 Depth=4
	s_or_b64 exec, exec, s[28:29]
	v_lshrrev_b64 v[2:3], 21, v[2:3]
	v_cmp_gt_i32_e32 vcc, 32, v4
	v_cndmask_b32_e32 v3, 0, v3, vcc
	v_cndmask_b32_e32 v2, 3, v2, vcc
	v_cmp_ne_u64_e32 vcc, 0, v[2:3]
	v_cmp_ne_u32_e64 s[28:29], 0, v4
	s_or_b64 s[28:29], s[28:29], vcc
                                        ; implicit-def: $vgpr15
	s_and_saveexec_b64 vcc, s[28:29]
	s_xor_b64 s[28:29], exec, vcc
; %bb.4472:                             ;   in Loop: Header=BB2_4024 Depth=4
	v_min_i32_e32 v3, 31, v4
	v_lshl_or_b32 v3, v3, 2, v19
	v_and_or_b32 v15, v2, 3, v3
                                        ; implicit-def: $vgpr19
; %bb.4473:                             ;   in Loop: Header=BB2_4024 Depth=4
	s_andn2_saveexec_b64 s[28:29], s[28:29]
; %bb.4474:                             ;   in Loop: Header=BB2_4024 Depth=4
	v_mov_b32_e32 v15, v19
; %bb.4475:                             ;   in Loop: Header=BB2_4024 Depth=4
	s_or_b64 exec, exec, s[28:29]
.LBB2_4476:                             ;   in Loop: Header=BB2_4024 Depth=4
	s_or_b64 exec, exec, s[38:39]
                                        ; implicit-def: $vgpr19
.LBB2_4477:                             ;   in Loop: Header=BB2_4024 Depth=4
	s_andn2_saveexec_b64 s[28:29], s[36:37]
; %bb.4478:                             ;   in Loop: Header=BB2_4024 Depth=4
	v_or_b32_e32 v15, 0x7b, v19
; %bb.4479:                             ;   in Loop: Header=BB2_4024 Depth=4
	s_or_b64 exec, exec, s[28:29]
                                        ; implicit-def: $vgpr2
.LBB2_4480:                             ;   in Loop: Header=BB2_4024 Depth=4
	s_andn2_saveexec_b64 s[28:29], s[34:35]
	s_cbranch_execz .LBB2_4486
; %bb.4481:                             ;   in Loop: Header=BB2_4024 Depth=4
	v_cmp_ne_u64_e32 vcc, 0, v[28:29]
                                        ; implicit-def: $vgpr15
	s_and_saveexec_b64 s[34:35], vcc
	s_xor_b64 vcc, exec, s[34:35]
; %bb.4482:                             ;   in Loop: Header=BB2_4024 Depth=4
	v_or_b32_sdwa v15, v2, s47 dst_sel:DWORD dst_unused:UNUSED_PAD src0_sel:BYTE_3 src1_sel:DWORD
                                        ; implicit-def: $vgpr2
; %bb.4483:                             ;   in Loop: Header=BB2_4024 Depth=4
	s_andn2_saveexec_b64 s[34:35], vcc
; %bb.4484:                             ;   in Loop: Header=BB2_4024 Depth=4
	v_cmp_lt_i32_e32 vcc, -1, v2
	v_cndmask_b32_e32 v15, -4, v22, vcc
; %bb.4485:                             ;   in Loop: Header=BB2_4024 Depth=4
	s_or_b64 exec, exec, s[34:35]
.LBB2_4486:                             ;   in Loop: Header=BB2_4024 Depth=4
	s_or_b64 exec, exec, s[28:29]
	v_and_b32_e32 v19, 0xff, v44
	v_cmp_ne_u16_e32 vcc, 0, v19
	v_mov_b32_e32 v2, 0
	v_mov_b32_e32 v3, 0
	s_and_saveexec_b64 s[28:29], vcc
	s_cbranch_execz .LBB2_4494
; %bb.4487:                             ;   in Loop: Header=BB2_4024 Depth=4
	v_cmp_ne_u16_e32 vcc, s96, v19
	v_bfrev_b32_e32 v3, 1
	s_and_saveexec_b64 s[34:35], vcc
	s_cbranch_execz .LBB2_4493
; %bb.4488:                             ;   in Loop: Header=BB2_4024 Depth=4
	v_and_b32_e32 v3, 0x7c, v44
	v_and_b32_e32 v4, 3, v44
	v_cmp_ne_u32_e32 vcc, s85, v3
                                        ; implicit-def: $vgpr3
	s_and_saveexec_b64 s[36:37], vcc
	s_xor_b64 s[36:37], exec, s[36:37]
	s_cbranch_execz .LBB2_4490
; %bb.4489:                             ;   in Loop: Header=BB2_4024 Depth=4
	v_bfe_u32 v3, v19, 2, 5
	v_ffbh_u32_e32 v19, v4
	v_min_u32_e32 v19, 32, v19
	v_mov_b32_e32 v45, v29
	v_subrev_u32_e32 v28, 29, v19
	v_lshlrev_b64 v[30:31], v28, v[44:45]
	v_sub_u32_e32 v19, 30, v19
	v_cmp_eq_u32_e32 vcc, 0, v3
	v_cndmask_b32_e32 v3, v3, v19, vcc
	v_lshlrev_b32_e32 v19, 24, v44
	v_and_b32_e32 v28, 3, v30
	v_and_b32_e32 v19, 0x80000000, v19
	v_cndmask_b32_e32 v4, v4, v28, vcc
	v_lshl_add_u32 v3, v3, 23, v19
	v_lshl_or_b32 v3, v4, 21, v3
	v_add_u32_e32 v3, 0x38000000, v3
                                        ; implicit-def: $vgpr4
                                        ; implicit-def: $vgpr44
.LBB2_4490:                             ;   in Loop: Header=BB2_4024 Depth=4
	s_andn2_saveexec_b64 s[36:37], s[36:37]
; %bb.4491:                             ;   in Loop: Header=BB2_4024 Depth=4
	v_cmp_gt_i16_sdwa vcc, sext(v44), v48 src0_sel:BYTE_0 src1_sel:DWORD
	v_cndmask_b32_e32 v3, v7, v0, vcc
	v_cmp_eq_u32_e32 vcc, 0, v4
	v_cndmask_b32_e32 v3, v35, v3, vcc
; %bb.4492:                             ;   in Loop: Header=BB2_4024 Depth=4
	s_or_b64 exec, exec, s[36:37]
.LBB2_4493:                             ;   in Loop: Header=BB2_4024 Depth=4
	s_or_b64 exec, exec, s[34:35]
.LBB2_4494:                             ;   in Loop: Header=BB2_4024 Depth=4
	s_or_b64 exec, exec, s[28:29]
	v_cmp_ne_u16_e32 vcc, 0, v18
	s_and_saveexec_b64 s[28:29], vcc
	s_cbranch_execz .LBB2_4502
; %bb.4495:                             ;   in Loop: Header=BB2_4024 Depth=4
	v_cmp_ne_u16_e32 vcc, s97, v18
	v_bfrev_b32_e32 v2, 1
	s_and_saveexec_b64 s[34:35], vcc
	s_cbranch_execz .LBB2_4501
; %bb.4496:                             ;   in Loop: Header=BB2_4024 Depth=4
	v_and_b32_e32 v2, 0x7c, v18
	v_and_b32_e32 v4, 3, v18
	v_cmp_ne_u32_e32 vcc, s85, v2
                                        ; implicit-def: $vgpr2
	s_and_saveexec_b64 s[36:37], vcc
	s_xor_b64 s[36:37], exec, s[36:37]
	s_cbranch_execz .LBB2_4498
; %bb.4497:                             ;   in Loop: Header=BB2_4024 Depth=4
	v_ffbh_u32_e32 v28, v4
	v_min_u32_e32 v28, 32, v28
	v_and_b32_e32 v2, 0xff, v18
	v_mov_b32_e32 v19, v29
	v_subrev_u32_e32 v30, 29, v28
	v_bfe_u32 v2, v2, 2, 5
	v_lshlrev_b64 v[30:31], v30, v[18:19]
	v_sub_u32_e32 v19, 30, v28
	v_cmp_eq_u32_e32 vcc, 0, v2
	v_and_b32_e32 v28, 3, v30
	v_cndmask_b32_e32 v2, v2, v19, vcc
	v_and_b32_sdwa v18, sext(v18), s86 dst_sel:DWORD dst_unused:UNUSED_PAD src0_sel:WORD_0 src1_sel:DWORD
	v_cndmask_b32_e32 v4, v4, v28, vcc
	v_lshl_add_u32 v2, v2, 23, v18
	v_lshl_or_b32 v2, v4, 21, v2
	v_add_u32_e32 v2, 0x38000000, v2
                                        ; implicit-def: $vgpr4
                                        ; implicit-def: $vgpr18
.LBB2_4498:                             ;   in Loop: Header=BB2_4024 Depth=4
	s_andn2_saveexec_b64 s[36:37], s[36:37]
; %bb.4499:                             ;   in Loop: Header=BB2_4024 Depth=4
	v_cmp_lt_i16_e32 vcc, -1, v18
	v_cndmask_b32_e32 v2, v7, v0, vcc
	v_cmp_eq_u32_e32 vcc, 0, v4
	v_cndmask_b32_e32 v2, v35, v2, vcc
; %bb.4500:                             ;   in Loop: Header=BB2_4024 Depth=4
	s_or_b64 exec, exec, s[36:37]
.LBB2_4501:                             ;   in Loop: Header=BB2_4024 Depth=4
	s_or_b64 exec, exec, s[34:35]
.LBB2_4502:                             ;   in Loop: Header=BB2_4024 Depth=4
	s_or_b64 exec, exec, s[28:29]
	v_add_f32_e32 v2, v3, v2
	v_and_b32_e32 v3, 0x7f800000, v2
	v_mov_b32_e32 v4, v29
	v_cmp_ne_u64_e32 vcc, s[76:77], v[3:4]
	v_and_b32_e32 v28, 0x7fffff, v2
                                        ; implicit-def: $vgpr18
	s_and_saveexec_b64 s[28:29], vcc
	s_xor_b64 s[34:35], exec, s[28:29]
	s_cbranch_execz .LBB2_4520
; %bb.4503:                             ;   in Loop: Header=BB2_4024 Depth=4
	v_and_b32_e32 v3, 0x7fffffff, v2
	v_mov_b32_e32 v4, v29
	v_cmp_gt_u64_e32 vcc, s[78:79], v[3:4]
	v_and_b32_sdwa v19, v2, s96 dst_sel:DWORD dst_unused:UNUSED_PAD src0_sel:BYTE_3 src1_sel:DWORD
                                        ; implicit-def: $vgpr18
	s_and_saveexec_b64 s[28:29], vcc
	s_xor_b64 s[36:37], exec, s[28:29]
	s_cbranch_execz .LBB2_4517
; %bb.4504:                             ;   in Loop: Header=BB2_4024 Depth=4
	v_cmp_ne_u32_e32 vcc, 0, v2
	v_mov_b32_e32 v18, 0
	s_and_saveexec_b64 s[38:39], vcc
	s_cbranch_execz .LBB2_4516
; %bb.4505:                             ;   in Loop: Header=BB2_4024 Depth=4
	v_bfe_u32 v18, v2, 23, 8
	v_cmp_gt_u32_e64 s[28:29], s46, v18
	v_sub_u32_e32 v2, 0x71, v18
	v_cmp_eq_u32_e32 vcc, 0, v18
	v_cndmask_b32_e64 v2, 0, v2, s[28:29]
	v_mov_b32_e32 v4, 0x70
	v_cndmask_b32_e32 v30, v2, v4, vcc
	v_or_b32_e32 v3, 0x800000, v28
	v_add_u32_e32 v2, 21, v30
	v_cndmask_b32_e32 v28, v3, v28, vcc
	v_lshlrev_b64 v[2:3], v2, -1
	v_add_u32_e32 v4, 20, v30
	v_lshlrev_b64 v[31:32], v4, 1
	v_bfi_b32 v3, v3, 0, 0
	v_bfi_b32 v2, v2, 0, v28
	v_cmp_eq_u64_e64 s[28:29], v[2:3], v[31:32]
	v_lshrrev_b64 v[2:3], v30, v[28:29]
	v_mov_b32_e32 v4, v3
	v_mov_b32_e32 v3, v2
	s_and_saveexec_b64 s[48:49], s[28:29]
; %bb.4506:                             ;   in Loop: Header=BB2_4024 Depth=4
	v_bfe_u32 v3, v2, 21, 1
	v_add_co_u32_e64 v3, s[28:29], v2, v3
	v_add_co_u32_e64 v3, s[28:29], -1, v3
; %bb.4507:                             ;   in Loop: Header=BB2_4024 Depth=4
	s_or_b64 exec, exec, s[48:49]
	v_add_u32_e32 v4, 0xffffff81, v18
	v_cndmask_b32_e32 v4, v4, v1, vcc
	v_lshrrev_b32_e32 v18, 23, v2
	v_add3_u32 v30, v30, v4, v18
	v_add_u32_e32 v18, 14, v30
	v_and_b32_e32 v3, 0x1fffff, v3
	v_add_u32_e32 v28, v3, v2
	v_cmp_ne_u32_e32 vcc, 0, v18
                                        ; implicit-def: $vgpr2_vgpr3
                                        ; implicit-def: $vgpr4
	s_and_saveexec_b64 s[28:29], vcc
	s_xor_b64 s[28:29], exec, s[28:29]
; %bb.4508:                             ;   in Loop: Header=BB2_4024 Depth=4
	v_cmp_lt_u64_e32 vcc, s[88:89], v[28:29]
	v_add_u32_e32 v2, 15, v30
	v_cndmask_b32_e32 v4, v18, v2, vcc
	v_cndmask_b32_e64 v2, 0, 1, vcc
	v_lshrrev_b64 v[2:3], v2, v[28:29]
; %bb.4509:                             ;   in Loop: Header=BB2_4024 Depth=4
	s_andn2_saveexec_b64 s[28:29], s[28:29]
; %bb.4510:                             ;   in Loop: Header=BB2_4024 Depth=4
	v_mov_b32_e32 v2, v28
	v_bfe_u32 v4, v28, 23, 1
	v_mov_b32_e32 v3, v29
; %bb.4511:                             ;   in Loop: Header=BB2_4024 Depth=4
	s_or_b64 exec, exec, s[28:29]
	v_lshrrev_b64 v[2:3], 21, v[2:3]
	v_cmp_gt_i32_e32 vcc, 32, v4
	v_cndmask_b32_e32 v3, 0, v3, vcc
	v_cndmask_b32_e32 v2, 3, v2, vcc
	v_cmp_ne_u64_e32 vcc, 0, v[2:3]
	v_cmp_ne_u32_e64 s[28:29], 0, v4
	s_or_b64 s[28:29], s[28:29], vcc
                                        ; implicit-def: $vgpr18
	s_and_saveexec_b64 vcc, s[28:29]
	s_xor_b64 s[28:29], exec, vcc
; %bb.4512:                             ;   in Loop: Header=BB2_4024 Depth=4
	v_min_i32_e32 v3, 31, v4
	v_lshl_or_b32 v3, v3, 2, v19
	v_and_or_b32 v18, v2, 3, v3
                                        ; implicit-def: $vgpr19
; %bb.4513:                             ;   in Loop: Header=BB2_4024 Depth=4
	s_andn2_saveexec_b64 s[28:29], s[28:29]
; %bb.4514:                             ;   in Loop: Header=BB2_4024 Depth=4
	v_mov_b32_e32 v18, v19
; %bb.4515:                             ;   in Loop: Header=BB2_4024 Depth=4
	s_or_b64 exec, exec, s[28:29]
.LBB2_4516:                             ;   in Loop: Header=BB2_4024 Depth=4
	s_or_b64 exec, exec, s[38:39]
                                        ; implicit-def: $vgpr19
.LBB2_4517:                             ;   in Loop: Header=BB2_4024 Depth=4
	s_andn2_saveexec_b64 s[28:29], s[36:37]
; %bb.4518:                             ;   in Loop: Header=BB2_4024 Depth=4
	v_or_b32_e32 v18, 0x7b, v19
; %bb.4519:                             ;   in Loop: Header=BB2_4024 Depth=4
	s_or_b64 exec, exec, s[28:29]
                                        ; implicit-def: $vgpr2
.LBB2_4520:                             ;   in Loop: Header=BB2_4024 Depth=4
	s_andn2_saveexec_b64 s[28:29], s[34:35]
	s_cbranch_execz .LBB2_4526
; %bb.4521:                             ;   in Loop: Header=BB2_4024 Depth=4
	v_cmp_ne_u64_e32 vcc, 0, v[28:29]
                                        ; implicit-def: $vgpr18
	s_and_saveexec_b64 s[34:35], vcc
	s_xor_b64 vcc, exec, s[34:35]
; %bb.4522:                             ;   in Loop: Header=BB2_4024 Depth=4
	v_or_b32_sdwa v18, v2, s47 dst_sel:DWORD dst_unused:UNUSED_PAD src0_sel:BYTE_3 src1_sel:DWORD
                                        ; implicit-def: $vgpr2
; %bb.4523:                             ;   in Loop: Header=BB2_4024 Depth=4
	s_andn2_saveexec_b64 s[34:35], vcc
; %bb.4524:                             ;   in Loop: Header=BB2_4024 Depth=4
	v_cmp_lt_i32_e32 vcc, -1, v2
	v_cndmask_b32_e32 v18, -4, v22, vcc
; %bb.4525:                             ;   in Loop: Header=BB2_4024 Depth=4
	s_or_b64 exec, exec, s[34:35]
.LBB2_4526:                             ;   in Loop: Header=BB2_4024 Depth=4
	s_or_b64 exec, exec, s[28:29]
	v_and_b32_e32 v19, 0xff, v43
	v_cmp_ne_u16_e32 vcc, 0, v19
	v_mov_b32_e32 v2, 0
	v_mov_b32_e32 v3, 0
	s_and_saveexec_b64 s[28:29], vcc
	s_cbranch_execz .LBB2_4534
; %bb.4527:                             ;   in Loop: Header=BB2_4024 Depth=4
	v_cmp_ne_u16_e32 vcc, s96, v19
	v_bfrev_b32_e32 v3, 1
	s_and_saveexec_b64 s[34:35], vcc
	s_cbranch_execz .LBB2_4533
; %bb.4528:                             ;   in Loop: Header=BB2_4024 Depth=4
	v_and_b32_e32 v3, 0x7c, v43
	v_and_b32_e32 v4, 3, v43
	v_cmp_ne_u32_e32 vcc, s85, v3
                                        ; implicit-def: $vgpr3
	s_and_saveexec_b64 s[36:37], vcc
	s_xor_b64 s[36:37], exec, s[36:37]
	s_cbranch_execz .LBB2_4530
; %bb.4529:                             ;   in Loop: Header=BB2_4024 Depth=4
	v_bfe_u32 v3, v19, 2, 5
	v_ffbh_u32_e32 v19, v4
	v_min_u32_e32 v19, 32, v19
	v_mov_b32_e32 v44, v29
	v_subrev_u32_e32 v28, 29, v19
	v_lshlrev_b64 v[30:31], v28, v[43:44]
	v_sub_u32_e32 v19, 30, v19
	v_cmp_eq_u32_e32 vcc, 0, v3
	v_cndmask_b32_e32 v3, v3, v19, vcc
	v_lshlrev_b32_e32 v19, 24, v43
	v_and_b32_e32 v28, 3, v30
	v_and_b32_e32 v19, 0x80000000, v19
	v_cndmask_b32_e32 v4, v4, v28, vcc
	v_lshl_add_u32 v3, v3, 23, v19
	v_lshl_or_b32 v3, v4, 21, v3
	v_add_u32_e32 v3, 0x38000000, v3
                                        ; implicit-def: $vgpr4
                                        ; implicit-def: $vgpr43
.LBB2_4530:                             ;   in Loop: Header=BB2_4024 Depth=4
	s_andn2_saveexec_b64 s[36:37], s[36:37]
; %bb.4531:                             ;   in Loop: Header=BB2_4024 Depth=4
	v_cmp_gt_i16_sdwa vcc, sext(v43), v48 src0_sel:BYTE_0 src1_sel:DWORD
	v_cndmask_b32_e32 v3, v7, v0, vcc
	v_cmp_eq_u32_e32 vcc, 0, v4
	v_cndmask_b32_e32 v3, v35, v3, vcc
; %bb.4532:                             ;   in Loop: Header=BB2_4024 Depth=4
	s_or_b64 exec, exec, s[36:37]
.LBB2_4533:                             ;   in Loop: Header=BB2_4024 Depth=4
	s_or_b64 exec, exec, s[34:35]
.LBB2_4534:                             ;   in Loop: Header=BB2_4024 Depth=4
	s_or_b64 exec, exec, s[28:29]
	v_cmp_ne_u16_e32 vcc, 0, v58
	s_and_saveexec_b64 s[28:29], vcc
	s_cbranch_execz .LBB2_4542
; %bb.4535:                             ;   in Loop: Header=BB2_4024 Depth=4
	v_cmp_ne_u16_e32 vcc, s97, v58
	v_bfrev_b32_e32 v2, 1
	s_and_saveexec_b64 s[34:35], vcc
	s_cbranch_execz .LBB2_4541
; %bb.4536:                             ;   in Loop: Header=BB2_4024 Depth=4
	v_and_b32_e32 v2, 0x7c, v58
	v_and_b32_e32 v4, 3, v58
	v_cmp_ne_u32_e32 vcc, s85, v2
                                        ; implicit-def: $vgpr2
	s_and_saveexec_b64 s[36:37], vcc
	s_xor_b64 s[36:37], exec, s[36:37]
	s_cbranch_execz .LBB2_4538
; %bb.4537:                             ;   in Loop: Header=BB2_4024 Depth=4
	v_ffbh_u32_e32 v19, v4
	v_min_u32_e32 v19, 32, v19
	v_and_b32_e32 v2, 0xff, v58
	v_mov_b32_e32 v59, v29
	v_subrev_u32_e32 v28, 29, v19
	v_bfe_u32 v2, v2, 2, 5
	v_lshlrev_b64 v[30:31], v28, v[58:59]
	v_sub_u32_e32 v19, 30, v19
	v_cmp_eq_u32_e32 vcc, 0, v2
	v_and_b32_e32 v28, 3, v30
	v_cndmask_b32_e32 v2, v2, v19, vcc
	v_and_b32_sdwa v19, sext(v58), s86 dst_sel:DWORD dst_unused:UNUSED_PAD src0_sel:WORD_0 src1_sel:DWORD
	v_cndmask_b32_e32 v4, v4, v28, vcc
	v_lshl_add_u32 v2, v2, 23, v19
	v_lshl_or_b32 v2, v4, 21, v2
	v_add_u32_e32 v2, 0x38000000, v2
                                        ; implicit-def: $vgpr4
                                        ; implicit-def: $vgpr58
.LBB2_4538:                             ;   in Loop: Header=BB2_4024 Depth=4
	s_andn2_saveexec_b64 s[36:37], s[36:37]
; %bb.4539:                             ;   in Loop: Header=BB2_4024 Depth=4
	v_cmp_lt_i16_e32 vcc, -1, v58
	v_cndmask_b32_e32 v2, v7, v0, vcc
	v_cmp_eq_u32_e32 vcc, 0, v4
	v_cndmask_b32_e32 v2, v35, v2, vcc
; %bb.4540:                             ;   in Loop: Header=BB2_4024 Depth=4
	s_or_b64 exec, exec, s[36:37]
.LBB2_4541:                             ;   in Loop: Header=BB2_4024 Depth=4
	s_or_b64 exec, exec, s[34:35]
.LBB2_4542:                             ;   in Loop: Header=BB2_4024 Depth=4
	s_or_b64 exec, exec, s[28:29]
	v_add_f32_e32 v2, v3, v2
	v_and_b32_e32 v3, 0x7f800000, v2
	v_mov_b32_e32 v4, v29
	v_cmp_ne_u64_e32 vcc, s[76:77], v[3:4]
	v_and_b32_e32 v28, 0x7fffff, v2
                                        ; implicit-def: $vgpr19
	s_and_saveexec_b64 s[28:29], vcc
	s_xor_b64 s[34:35], exec, s[28:29]
	s_cbranch_execz .LBB2_4560
; %bb.4543:                             ;   in Loop: Header=BB2_4024 Depth=4
	v_and_b32_e32 v3, 0x7fffffff, v2
	v_mov_b32_e32 v4, v29
	v_cmp_gt_u64_e32 vcc, s[78:79], v[3:4]
	v_and_b32_sdwa v30, v2, s96 dst_sel:DWORD dst_unused:UNUSED_PAD src0_sel:BYTE_3 src1_sel:DWORD
                                        ; implicit-def: $vgpr19
	s_and_saveexec_b64 s[28:29], vcc
	s_xor_b64 s[36:37], exec, s[28:29]
	s_cbranch_execz .LBB2_4557
; %bb.4544:                             ;   in Loop: Header=BB2_4024 Depth=4
	v_cmp_ne_u32_e32 vcc, 0, v2
	v_mov_b32_e32 v19, 0
	s_and_saveexec_b64 s[38:39], vcc
	s_cbranch_execz .LBB2_4556
; %bb.4545:                             ;   in Loop: Header=BB2_4024 Depth=4
	v_bfe_u32 v19, v2, 23, 8
	v_cmp_gt_u32_e64 s[28:29], s46, v19
	v_sub_u32_e32 v2, 0x71, v19
	v_cmp_eq_u32_e32 vcc, 0, v19
	v_cndmask_b32_e64 v2, 0, v2, s[28:29]
	v_mov_b32_e32 v4, 0x70
	v_cndmask_b32_e32 v31, v2, v4, vcc
	v_or_b32_e32 v3, 0x800000, v28
	v_add_u32_e32 v2, 21, v31
	v_cndmask_b32_e32 v28, v3, v28, vcc
	v_lshlrev_b64 v[2:3], v2, -1
	v_add_u32_e32 v4, 20, v31
	v_lshlrev_b64 v[38:39], v4, 1
	v_bfi_b32 v3, v3, 0, 0
	v_bfi_b32 v2, v2, 0, v28
	v_cmp_eq_u64_e64 s[28:29], v[2:3], v[38:39]
	v_lshrrev_b64 v[2:3], v31, v[28:29]
	v_mov_b32_e32 v4, v3
	v_mov_b32_e32 v3, v2
	s_and_saveexec_b64 s[48:49], s[28:29]
; %bb.4546:                             ;   in Loop: Header=BB2_4024 Depth=4
	v_bfe_u32 v3, v2, 21, 1
	v_add_co_u32_e64 v3, s[28:29], v2, v3
	v_add_co_u32_e64 v3, s[28:29], -1, v3
; %bb.4547:                             ;   in Loop: Header=BB2_4024 Depth=4
	s_or_b64 exec, exec, s[48:49]
	v_add_u32_e32 v4, 0xffffff81, v19
	v_cndmask_b32_e32 v4, v4, v1, vcc
	v_lshrrev_b32_e32 v19, 23, v2
	v_add3_u32 v31, v31, v4, v19
	v_add_u32_e32 v19, 14, v31
	v_and_b32_e32 v3, 0x1fffff, v3
	v_add_u32_e32 v28, v3, v2
	v_cmp_ne_u32_e32 vcc, 0, v19
                                        ; implicit-def: $vgpr2_vgpr3
                                        ; implicit-def: $vgpr4
	s_and_saveexec_b64 s[28:29], vcc
	s_xor_b64 s[28:29], exec, s[28:29]
; %bb.4548:                             ;   in Loop: Header=BB2_4024 Depth=4
	v_cmp_lt_u64_e32 vcc, s[88:89], v[28:29]
	v_add_u32_e32 v2, 15, v31
	v_cndmask_b32_e32 v4, v19, v2, vcc
	v_cndmask_b32_e64 v2, 0, 1, vcc
	v_lshrrev_b64 v[2:3], v2, v[28:29]
; %bb.4549:                             ;   in Loop: Header=BB2_4024 Depth=4
	s_andn2_saveexec_b64 s[28:29], s[28:29]
; %bb.4550:                             ;   in Loop: Header=BB2_4024 Depth=4
	v_mov_b32_e32 v2, v28
	v_bfe_u32 v4, v28, 23, 1
	v_mov_b32_e32 v3, v29
; %bb.4551:                             ;   in Loop: Header=BB2_4024 Depth=4
	s_or_b64 exec, exec, s[28:29]
	v_lshrrev_b64 v[2:3], 21, v[2:3]
	v_cmp_gt_i32_e32 vcc, 32, v4
	v_cndmask_b32_e32 v3, 0, v3, vcc
	v_cndmask_b32_e32 v2, 3, v2, vcc
	v_cmp_ne_u64_e32 vcc, 0, v[2:3]
	v_cmp_ne_u32_e64 s[28:29], 0, v4
	s_or_b64 s[28:29], s[28:29], vcc
                                        ; implicit-def: $vgpr19
	s_and_saveexec_b64 vcc, s[28:29]
	s_xor_b64 s[28:29], exec, vcc
; %bb.4552:                             ;   in Loop: Header=BB2_4024 Depth=4
	v_min_i32_e32 v3, 31, v4
	v_lshl_or_b32 v3, v3, 2, v30
	v_and_or_b32 v19, v2, 3, v3
                                        ; implicit-def: $vgpr30
; %bb.4553:                             ;   in Loop: Header=BB2_4024 Depth=4
	s_andn2_saveexec_b64 s[28:29], s[28:29]
; %bb.4554:                             ;   in Loop: Header=BB2_4024 Depth=4
	v_mov_b32_e32 v19, v30
; %bb.4555:                             ;   in Loop: Header=BB2_4024 Depth=4
	s_or_b64 exec, exec, s[28:29]
.LBB2_4556:                             ;   in Loop: Header=BB2_4024 Depth=4
	s_or_b64 exec, exec, s[38:39]
                                        ; implicit-def: $vgpr30
.LBB2_4557:                             ;   in Loop: Header=BB2_4024 Depth=4
	s_andn2_saveexec_b64 s[28:29], s[36:37]
; %bb.4558:                             ;   in Loop: Header=BB2_4024 Depth=4
	v_or_b32_e32 v19, 0x7b, v30
; %bb.4559:                             ;   in Loop: Header=BB2_4024 Depth=4
	s_or_b64 exec, exec, s[28:29]
                                        ; implicit-def: $vgpr2
.LBB2_4560:                             ;   in Loop: Header=BB2_4024 Depth=4
	s_andn2_saveexec_b64 s[28:29], s[34:35]
	s_cbranch_execz .LBB2_4566
; %bb.4561:                             ;   in Loop: Header=BB2_4024 Depth=4
	v_cmp_ne_u64_e32 vcc, 0, v[28:29]
                                        ; implicit-def: $vgpr19
	s_and_saveexec_b64 s[34:35], vcc
	s_xor_b64 vcc, exec, s[34:35]
; %bb.4562:                             ;   in Loop: Header=BB2_4024 Depth=4
	v_or_b32_sdwa v19, v2, s47 dst_sel:DWORD dst_unused:UNUSED_PAD src0_sel:BYTE_3 src1_sel:DWORD
                                        ; implicit-def: $vgpr2
; %bb.4563:                             ;   in Loop: Header=BB2_4024 Depth=4
	s_andn2_saveexec_b64 s[34:35], vcc
; %bb.4564:                             ;   in Loop: Header=BB2_4024 Depth=4
	v_cmp_lt_i32_e32 vcc, -1, v2
	v_cndmask_b32_e32 v19, -4, v22, vcc
; %bb.4565:                             ;   in Loop: Header=BB2_4024 Depth=4
	s_or_b64 exec, exec, s[34:35]
.LBB2_4566:                             ;   in Loop: Header=BB2_4024 Depth=4
	s_or_b64 exec, exec, s[28:29]
	v_and_b32_e32 v28, 0xff, v40
	v_cmp_ne_u16_e32 vcc, 0, v28
	v_mov_b32_e32 v2, 0
	v_mov_b32_e32 v3, 0
	s_and_saveexec_b64 s[28:29], vcc
	s_cbranch_execz .LBB2_4574
; %bb.4567:                             ;   in Loop: Header=BB2_4024 Depth=4
	v_cmp_ne_u16_e32 vcc, s96, v28
	v_bfrev_b32_e32 v3, 1
	s_and_saveexec_b64 s[34:35], vcc
	s_cbranch_execz .LBB2_4573
; %bb.4568:                             ;   in Loop: Header=BB2_4024 Depth=4
	v_and_b32_e32 v3, 0x7c, v40
	v_and_b32_e32 v4, 3, v40
	v_cmp_ne_u32_e32 vcc, s85, v3
                                        ; implicit-def: $vgpr3
	s_and_saveexec_b64 s[36:37], vcc
	s_xor_b64 s[36:37], exec, s[36:37]
	s_cbranch_execz .LBB2_4570
; %bb.4569:                             ;   in Loop: Header=BB2_4024 Depth=4
	v_bfe_u32 v3, v28, 2, 5
	v_ffbh_u32_e32 v28, v4
	v_min_u32_e32 v28, 32, v28
	v_mov_b32_e32 v41, v29
	v_subrev_u32_e32 v30, 29, v28
	v_lshlrev_b64 v[30:31], v30, v[40:41]
	v_sub_u32_e32 v28, 30, v28
	v_cmp_eq_u32_e32 vcc, 0, v3
	v_cndmask_b32_e32 v3, v3, v28, vcc
	v_lshlrev_b32_e32 v28, 24, v40
	v_and_b32_e32 v30, 3, v30
	v_and_b32_e32 v28, 0x80000000, v28
	v_cndmask_b32_e32 v4, v4, v30, vcc
	v_lshl_add_u32 v3, v3, 23, v28
	v_lshl_or_b32 v3, v4, 21, v3
	v_add_u32_e32 v3, 0x38000000, v3
                                        ; implicit-def: $vgpr4
                                        ; implicit-def: $vgpr40
.LBB2_4570:                             ;   in Loop: Header=BB2_4024 Depth=4
	s_andn2_saveexec_b64 s[36:37], s[36:37]
; %bb.4571:                             ;   in Loop: Header=BB2_4024 Depth=4
	v_cmp_gt_i16_sdwa vcc, sext(v40), v48 src0_sel:BYTE_0 src1_sel:DWORD
	v_cndmask_b32_e32 v3, v7, v0, vcc
	v_cmp_eq_u32_e32 vcc, 0, v4
	v_cndmask_b32_e32 v3, v35, v3, vcc
; %bb.4572:                             ;   in Loop: Header=BB2_4024 Depth=4
	s_or_b64 exec, exec, s[36:37]
.LBB2_4573:                             ;   in Loop: Header=BB2_4024 Depth=4
	s_or_b64 exec, exec, s[34:35]
.LBB2_4574:                             ;   in Loop: Header=BB2_4024 Depth=4
	s_or_b64 exec, exec, s[28:29]
	v_cmp_ne_u16_e32 vcc, 0, v42
	s_and_saveexec_b64 s[28:29], vcc
	s_cbranch_execz .LBB2_4582
; %bb.4575:                             ;   in Loop: Header=BB2_4024 Depth=4
	v_cmp_ne_u16_e32 vcc, s97, v42
	v_bfrev_b32_e32 v2, 1
	s_and_saveexec_b64 s[34:35], vcc
	s_cbranch_execz .LBB2_4581
; %bb.4576:                             ;   in Loop: Header=BB2_4024 Depth=4
	v_and_b32_e32 v2, 0x7c, v42
	v_and_b32_e32 v4, 3, v42
	v_cmp_ne_u32_e32 vcc, s85, v2
                                        ; implicit-def: $vgpr2
	s_and_saveexec_b64 s[36:37], vcc
	s_xor_b64 s[36:37], exec, s[36:37]
	s_cbranch_execz .LBB2_4578
; %bb.4577:                             ;   in Loop: Header=BB2_4024 Depth=4
	v_ffbh_u32_e32 v28, v4
	v_min_u32_e32 v28, 32, v28
	v_and_b32_e32 v2, 0xff, v42
	v_mov_b32_e32 v43, v29
	v_subrev_u32_e32 v30, 29, v28
	v_bfe_u32 v2, v2, 2, 5
	v_lshlrev_b64 v[30:31], v30, v[42:43]
	v_sub_u32_e32 v28, 30, v28
	v_cmp_eq_u32_e32 vcc, 0, v2
	v_and_b32_e32 v30, 3, v30
	v_cndmask_b32_e32 v2, v2, v28, vcc
	v_and_b32_sdwa v28, sext(v42), s86 dst_sel:DWORD dst_unused:UNUSED_PAD src0_sel:WORD_0 src1_sel:DWORD
	v_cndmask_b32_e32 v4, v4, v30, vcc
	v_lshl_add_u32 v2, v2, 23, v28
	v_lshl_or_b32 v2, v4, 21, v2
	v_add_u32_e32 v2, 0x38000000, v2
                                        ; implicit-def: $vgpr4
                                        ; implicit-def: $vgpr42
.LBB2_4578:                             ;   in Loop: Header=BB2_4024 Depth=4
	s_andn2_saveexec_b64 s[36:37], s[36:37]
; %bb.4579:                             ;   in Loop: Header=BB2_4024 Depth=4
	v_cmp_lt_i16_e32 vcc, -1, v42
	v_cndmask_b32_e32 v2, v7, v0, vcc
	v_cmp_eq_u32_e32 vcc, 0, v4
	v_cndmask_b32_e32 v2, v35, v2, vcc
; %bb.4580:                             ;   in Loop: Header=BB2_4024 Depth=4
	s_or_b64 exec, exec, s[36:37]
.LBB2_4581:                             ;   in Loop: Header=BB2_4024 Depth=4
	s_or_b64 exec, exec, s[34:35]
.LBB2_4582:                             ;   in Loop: Header=BB2_4024 Depth=4
	s_or_b64 exec, exec, s[28:29]
	v_add_f32_e32 v2, v3, v2
	v_and_b32_e32 v3, 0x7f800000, v2
	v_mov_b32_e32 v4, v29
	v_cmp_ne_u64_e32 vcc, s[76:77], v[3:4]
	v_and_b32_e32 v28, 0x7fffff, v2
                                        ; implicit-def: $vgpr3
	s_and_saveexec_b64 s[28:29], vcc
	s_xor_b64 s[34:35], exec, s[28:29]
	s_cbranch_execz .LBB2_4600
; %bb.4583:                             ;   in Loop: Header=BB2_4024 Depth=4
	v_and_b32_e32 v3, 0x7fffffff, v2
	v_mov_b32_e32 v4, v29
	v_cmp_gt_u64_e32 vcc, s[78:79], v[3:4]
	v_and_b32_sdwa v30, v2, s96 dst_sel:DWORD dst_unused:UNUSED_PAD src0_sel:BYTE_3 src1_sel:DWORD
                                        ; implicit-def: $vgpr3
	s_and_saveexec_b64 s[28:29], vcc
	s_xor_b64 s[36:37], exec, s[28:29]
	s_cbranch_execz .LBB2_4597
; %bb.4584:                             ;   in Loop: Header=BB2_4024 Depth=4
	v_cmp_ne_u32_e32 vcc, 0, v2
	v_mov_b32_e32 v3, 0
	s_and_saveexec_b64 s[38:39], vcc
	s_cbranch_execz .LBB2_4596
; %bb.4585:                             ;   in Loop: Header=BB2_4024 Depth=4
	v_bfe_u32 v31, v2, 23, 8
	v_cmp_gt_u32_e64 s[28:29], s46, v31
	v_sub_u32_e32 v2, 0x71, v31
	v_cmp_eq_u32_e32 vcc, 0, v31
	v_cndmask_b32_e64 v2, 0, v2, s[28:29]
	v_mov_b32_e32 v4, 0x70
	v_cndmask_b32_e32 v32, v2, v4, vcc
	v_or_b32_e32 v3, 0x800000, v28
	v_add_u32_e32 v2, 21, v32
	v_cndmask_b32_e32 v28, v3, v28, vcc
	v_lshlrev_b64 v[2:3], v2, -1
	v_add_u32_e32 v4, 20, v32
	v_lshlrev_b64 v[38:39], v4, 1
	v_bfi_b32 v3, v3, 0, 0
	v_bfi_b32 v2, v2, 0, v28
	v_cmp_eq_u64_e64 s[28:29], v[2:3], v[38:39]
	v_lshrrev_b64 v[2:3], v32, v[28:29]
	v_mov_b32_e32 v4, v3
	v_mov_b32_e32 v3, v2
	s_and_saveexec_b64 s[48:49], s[28:29]
; %bb.4586:                             ;   in Loop: Header=BB2_4024 Depth=4
	v_bfe_u32 v3, v2, 21, 1
	v_add_co_u32_e64 v3, s[28:29], v2, v3
	v_add_co_u32_e64 v3, s[28:29], -1, v3
; %bb.4587:                             ;   in Loop: Header=BB2_4024 Depth=4
	s_or_b64 exec, exec, s[48:49]
	v_add_u32_e32 v4, 0xffffff81, v31
	v_cndmask_b32_e32 v4, v4, v1, vcc
	v_lshrrev_b32_e32 v28, 23, v2
	v_add3_u32 v32, v32, v4, v28
	v_add_u32_e32 v31, 14, v32
	v_and_b32_e32 v3, 0x1fffff, v3
	v_add_u32_e32 v28, v3, v2
	v_cmp_ne_u32_e32 vcc, 0, v31
                                        ; implicit-def: $vgpr2_vgpr3
                                        ; implicit-def: $vgpr4
	s_and_saveexec_b64 s[28:29], vcc
	s_xor_b64 s[28:29], exec, s[28:29]
; %bb.4588:                             ;   in Loop: Header=BB2_4024 Depth=4
	v_cmp_lt_u64_e32 vcc, s[88:89], v[28:29]
	v_add_u32_e32 v2, 15, v32
	v_cndmask_b32_e32 v4, v31, v2, vcc
	v_cndmask_b32_e64 v2, 0, 1, vcc
	v_lshrrev_b64 v[2:3], v2, v[28:29]
; %bb.4589:                             ;   in Loop: Header=BB2_4024 Depth=4
	s_andn2_saveexec_b64 s[28:29], s[28:29]
; %bb.4590:                             ;   in Loop: Header=BB2_4024 Depth=4
	v_mov_b32_e32 v2, v28
	v_bfe_u32 v4, v28, 23, 1
	v_mov_b32_e32 v3, v29
; %bb.4591:                             ;   in Loop: Header=BB2_4024 Depth=4
	s_or_b64 exec, exec, s[28:29]
	v_lshrrev_b64 v[2:3], 21, v[2:3]
	v_cmp_gt_i32_e32 vcc, 32, v4
	v_cndmask_b32_e32 v3, 0, v3, vcc
	v_cndmask_b32_e32 v2, 3, v2, vcc
	v_cmp_ne_u64_e32 vcc, 0, v[2:3]
	v_cmp_ne_u32_e64 s[28:29], 0, v4
	s_or_b64 s[28:29], s[28:29], vcc
                                        ; implicit-def: $vgpr3
	s_and_saveexec_b64 vcc, s[28:29]
	s_xor_b64 s[28:29], exec, vcc
; %bb.4592:                             ;   in Loop: Header=BB2_4024 Depth=4
	v_min_i32_e32 v3, 31, v4
	v_lshl_or_b32 v3, v3, 2, v30
	v_and_or_b32 v3, v2, 3, v3
                                        ; implicit-def: $vgpr30
; %bb.4593:                             ;   in Loop: Header=BB2_4024 Depth=4
	s_andn2_saveexec_b64 s[28:29], s[28:29]
; %bb.4594:                             ;   in Loop: Header=BB2_4024 Depth=4
	v_mov_b32_e32 v3, v30
; %bb.4595:                             ;   in Loop: Header=BB2_4024 Depth=4
	s_or_b64 exec, exec, s[28:29]
.LBB2_4596:                             ;   in Loop: Header=BB2_4024 Depth=4
	s_or_b64 exec, exec, s[38:39]
                                        ; implicit-def: $vgpr30
.LBB2_4597:                             ;   in Loop: Header=BB2_4024 Depth=4
	s_andn2_saveexec_b64 s[28:29], s[36:37]
; %bb.4598:                             ;   in Loop: Header=BB2_4024 Depth=4
	v_or_b32_e32 v3, 0x7b, v30
; %bb.4599:                             ;   in Loop: Header=BB2_4024 Depth=4
	s_or_b64 exec, exec, s[28:29]
                                        ; implicit-def: $vgpr2
.LBB2_4600:                             ;   in Loop: Header=BB2_4024 Depth=4
	s_andn2_saveexec_b64 s[28:29], s[34:35]
	s_cbranch_execz .LBB2_4023
; %bb.4601:                             ;   in Loop: Header=BB2_4024 Depth=4
	v_cmp_ne_u64_e32 vcc, 0, v[28:29]
                                        ; implicit-def: $vgpr3
	s_and_saveexec_b64 s[34:35], vcc
	s_xor_b64 vcc, exec, s[34:35]
; %bb.4602:                             ;   in Loop: Header=BB2_4024 Depth=4
	v_or_b32_sdwa v3, v2, s47 dst_sel:DWORD dst_unused:UNUSED_PAD src0_sel:BYTE_3 src1_sel:DWORD
                                        ; implicit-def: $vgpr2
; %bb.4603:                             ;   in Loop: Header=BB2_4024 Depth=4
	s_andn2_saveexec_b64 s[34:35], vcc
	s_cbranch_execz .LBB2_4022
; %bb.4604:                             ;   in Loop: Header=BB2_4024 Depth=4
	v_cmp_lt_i32_e32 vcc, -1, v2
	v_cndmask_b32_e32 v3, -4, v22, vcc
	s_branch .LBB2_4022
.LBB2_4605:                             ;   in Loop: Header=BB2_1934 Depth=3
	s_or_b64 exec, exec, s[30:31]
.LBB2_4606:                             ;   in Loop: Header=BB2_1934 Depth=3
	s_or_b64 exec, exec, s[42:43]
	v_lshlrev_b32_e32 v2, 9, v37
	v_cmp_ne_u32_e32 vcc, v51, v2
	s_and_b64 exec, exec, vcc
	s_cbranch_execz .LBB2_4688
; %bb.4607:                             ;   in Loop: Header=BB2_1934 Depth=3
	v_lshlrev_b32_e32 v3, 6, v53
	v_sub_u32_e32 v3, v52, v3
	v_lshlrev_b32_e32 v4, 6, v23
	v_sub_u32_e32 v3, v3, v4
	v_add_u32_e32 v2, v2, v3
	v_sub_u32_e32 v16, v51, v2
	v_cmp_lt_i32_e32 vcc, 0, v16
	s_and_b64 exec, exec, vcc
	s_cbranch_execz .LBB2_4688
; %bb.4608:                             ;   in Loop: Header=BB2_1934 Depth=3
	v_add_u32_e32 v14, v2, v5
	s_trap 2
	ds_read_b128 v[2:5], v0
	v_ashrrev_i32_e32 v15, 31, v14
	s_mov_b64 s[42:43], 0
	s_waitcnt lgkmcnt(0)
	v_add_co_u32_e32 v8, vcc, v2, v14
	v_addc_co_u32_e32 v9, vcc, v3, v15, vcc
	ds_read_b64 v[2:3], v0
	v_add_co_u32_e32 v10, vcc, v4, v14
	v_addc_co_u32_e32 v11, vcc, v5, v15, vcc
	s_waitcnt lgkmcnt(0)
	v_add_co_u32_e32 v14, vcc, v2, v14
	v_addc_co_u32_e32 v15, vcc, v3, v15, vcc
	s_branch .LBB2_4611
.LBB2_4609:                             ;   in Loop: Header=BB2_4611 Depth=4
	s_or_b64 exec, exec, s[30:31]
.LBB2_4610:                             ;   in Loop: Header=BB2_4611 Depth=4
	s_or_b64 exec, exec, s[28:29]
	buffer_load_dword v2, off, s[0:3], s33 offset:64 ; 4-byte Folded Reload
	s_waitcnt vmcnt(0)
	v_add_co_u32_e32 v8, vcc, v8, v2
	v_addc_co_u32_e32 v9, vcc, 0, v9, vcc
	v_add_co_u32_e32 v10, vcc, v10, v2
	v_addc_co_u32_e32 v11, vcc, 0, v11, vcc
	v_sub_u32_e32 v16, v16, v2
	v_cmp_gt_i32_e32 vcc, 1, v16
	flat_store_byte v[14:15], v3 glc slc
	s_or_b64 s[42:43], vcc, s[42:43]
	v_add_co_u32_e32 v14, vcc, v14, v2
	v_addc_co_u32_e32 v15, vcc, 0, v15, vcc
	s_andn2_b64 exec, exec, s[42:43]
	s_cbranch_execz .LBB2_4688
.LBB2_4611:                             ;   Parent Loop BB2_47 Depth=1
                                        ;     Parent Loop BB2_1931 Depth=2
                                        ;       Parent Loop BB2_1934 Depth=3
                                        ; =>      This Inner Loop Header: Depth=4
	s_trap 2
	ds_read_b64 v[2:3], v0
	s_waitcnt lgkmcnt(0)
	v_cmp_eq_u32_sdwa vcc, v2, v29 src0_sel:BYTE_0 src1_sel:DWORD
	v_readfirstlane_b32 s28, v2
	v_readfirstlane_b32 s29, v3
	v_mov_b32_e32 v2, 0
	s_and_b64 vcc, exec, vcc
	v_mov_b32_e32 v3, 0
	s_cbranch_vccnz .LBB2_4617
; %bb.4612:                             ;   in Loop: Header=BB2_4611 Depth=4
	s_bfe_i32 s31, s28, 0x80000
	s_and_b32 vcc_lo, 0xffff, s31
	s_cmpk_eq_u32 vcc_lo, 0xff80
	v_bfrev_b32_e32 v3, 1
	s_cbranch_scc1 .LBB2_4617
; %bb.4613:                             ;   in Loop: Header=BB2_4611 Depth=4
	s_and_b32 s30, s28, 3
	s_and_b32 s34, s28, 0x7c
	s_mov_b64 vcc, -1
	s_cmpk_lg_i32 s34, 0x7c
	s_sext_i32_i16 s31, s31
                                        ; implicit-def: $sgpr34
	s_cbranch_scc0 .LBB2_4615
; %bb.4614:                             ;   in Loop: Header=BB2_4611 Depth=4
	s_flbit_i32_b32 vcc_hi, s30
	s_min_u32 vcc_hi, vcc_hi, 32
	s_sub_i32 s34, vcc_hi, 29
	s_bfe_u32 vcc_lo, s28, 0x50002
	s_lshl_b64 s[28:29], s[28:29], s34
	s_sub_i32 s29, 30, vcc_hi
	s_and_b32 s28, s28, 3
	s_cmp_eq_u32 vcc_lo, 0
	s_cselect_b32 s29, s29, vcc_lo
	s_cselect_b32 s28, s28, s30
	s_and_b32 vcc_lo, s31, 0x80000000
	s_lshl_b32 s29, s29, 23
	s_add_i32 s29, s29, vcc_lo
	s_lshl_b32 s28, s28, 21
	s_or_b32 s28, s29, s28
	s_add_i32 s34, s28, 0x38000000
	s_mov_b64 vcc, 0
.LBB2_4615:                             ;   in Loop: Header=BB2_4611 Depth=4
	s_andn2_b64 vcc, exec, vcc
	v_mov_b32_e32 v3, s34
	s_cbranch_vccnz .LBB2_4617
; %bb.4616:                             ;   in Loop: Header=BB2_4611 Depth=4
	s_cmp_eq_u32 s30, 0
	s_cselect_b64 vcc, -1, 0
	s_cmp_gt_i32 s31, -1
	s_cselect_b64 s[28:29], -1, 0
	v_cndmask_b32_e64 v3, v7, v0, s[28:29]
	v_cndmask_b32_e32 v3, v35, v3, vcc
.LBB2_4617:                             ;   in Loop: Header=BB2_4611 Depth=4
	flat_load_sbyte v28, v[8:9] glc slc
	s_waitcnt vmcnt(0) lgkmcnt(0)
	v_cmp_ne_u16_e32 vcc, 0, v28
	s_and_saveexec_b64 s[28:29], vcc
	s_cbranch_execz .LBB2_4625
; %bb.4618:                             ;   in Loop: Header=BB2_4611 Depth=4
	v_cmp_ne_u16_e32 vcc, s97, v28
	v_bfrev_b32_e32 v2, 1
	s_and_saveexec_b64 s[30:31], vcc
	s_cbranch_execz .LBB2_4624
; %bb.4619:                             ;   in Loop: Header=BB2_4611 Depth=4
	v_and_b32_e32 v2, 0x7c, v28
	v_and_b32_e32 v4, 3, v28
	v_cmp_ne_u32_e32 vcc, s85, v2
                                        ; implicit-def: $vgpr2
	s_and_saveexec_b64 s[34:35], vcc
	s_xor_b64 s[34:35], exec, s[34:35]
	s_cbranch_execz .LBB2_4621
; %bb.4620:                             ;   in Loop: Header=BB2_4611 Depth=4
	v_ffbh_u32_e32 v5, v4
	v_min_u32_e32 v5, 32, v5
	v_and_b32_e32 v2, 0xff, v28
	v_subrev_u32_e32 v17, 29, v5
	v_bfe_u32 v2, v2, 2, 5
	v_lshlrev_b64 v[17:18], v17, v[28:29]
	v_sub_u32_e32 v5, 30, v5
	v_cmp_eq_u32_e32 vcc, 0, v2
	v_and_b32_e32 v17, 3, v17
	v_cndmask_b32_e32 v2, v2, v5, vcc
	v_and_b32_sdwa v5, sext(v28), s86 dst_sel:DWORD dst_unused:UNUSED_PAD src0_sel:WORD_0 src1_sel:DWORD
	v_cndmask_b32_e32 v4, v4, v17, vcc
	v_lshl_add_u32 v2, v2, 23, v5
	v_lshl_or_b32 v2, v4, 21, v2
	v_add_u32_e32 v2, 0x38000000, v2
                                        ; implicit-def: $vgpr4
.LBB2_4621:                             ;   in Loop: Header=BB2_4611 Depth=4
	s_andn2_saveexec_b64 s[34:35], s[34:35]
; %bb.4622:                             ;   in Loop: Header=BB2_4611 Depth=4
	v_cmp_lt_i16_e32 vcc, -1, v28
	v_cndmask_b32_e32 v2, v7, v0, vcc
	v_cmp_eq_u32_e32 vcc, 0, v4
	v_cndmask_b32_e32 v2, v35, v2, vcc
; %bb.4623:                             ;   in Loop: Header=BB2_4611 Depth=4
	s_or_b64 exec, exec, s[34:35]
.LBB2_4624:                             ;   in Loop: Header=BB2_4611 Depth=4
	s_or_b64 exec, exec, s[30:31]
.LBB2_4625:                             ;   in Loop: Header=BB2_4611 Depth=4
	s_or_b64 exec, exec, s[28:29]
	v_mul_f32_e32 v2, v3, v2
	v_and_b32_e32 v3, 0x7f800000, v2
	v_mov_b32_e32 v4, v29
	v_cmp_ne_u64_e32 vcc, s[76:77], v[3:4]
	v_and_b32_e32 v28, 0x7fffff, v2
                                        ; implicit-def: $vgpr4
	s_and_saveexec_b64 s[28:29], vcc
	s_xor_b64 s[30:31], exec, s[28:29]
	s_cbranch_execz .LBB2_4643
; %bb.4626:                             ;   in Loop: Header=BB2_4611 Depth=4
	v_and_b32_e32 v3, 0x7fffffff, v2
	v_mov_b32_e32 v4, v29
	v_cmp_gt_u64_e32 vcc, s[78:79], v[3:4]
	v_and_b32_sdwa v5, v2, s96 dst_sel:DWORD dst_unused:UNUSED_PAD src0_sel:BYTE_3 src1_sel:DWORD
                                        ; implicit-def: $vgpr4
	s_and_saveexec_b64 s[28:29], vcc
	s_xor_b64 s[34:35], exec, s[28:29]
	s_cbranch_execz .LBB2_4640
; %bb.4627:                             ;   in Loop: Header=BB2_4611 Depth=4
	v_cmp_ne_u32_e32 vcc, 0, v2
	v_mov_b32_e32 v4, 0
	s_and_saveexec_b64 s[36:37], vcc
	s_cbranch_execz .LBB2_4639
; %bb.4628:                             ;   in Loop: Header=BB2_4611 Depth=4
	v_bfe_u32 v17, v2, 23, 8
	v_cmp_gt_u32_e64 s[28:29], s46, v17
	v_sub_u32_e32 v2, 0x71, v17
	v_cmp_eq_u32_e32 vcc, 0, v17
	v_cndmask_b32_e64 v2, 0, v2, s[28:29]
	v_mov_b32_e32 v4, 0x70
	v_cndmask_b32_e32 v18, v2, v4, vcc
	v_or_b32_e32 v3, 0x800000, v28
	v_add_u32_e32 v2, 21, v18
	v_cndmask_b32_e32 v28, v3, v28, vcc
	v_lshlrev_b64 v[2:3], v2, -1
	v_add_u32_e32 v4, 20, v18
	v_lshlrev_b64 v[30:31], v4, 1
	v_bfi_b32 v3, v3, 0, 0
	v_bfi_b32 v2, v2, 0, v28
	v_cmp_eq_u64_e64 s[28:29], v[2:3], v[30:31]
	v_lshrrev_b64 v[2:3], v18, v[28:29]
	v_mov_b32_e32 v4, v3
	v_mov_b32_e32 v3, v2
	s_and_saveexec_b64 s[38:39], s[28:29]
; %bb.4629:                             ;   in Loop: Header=BB2_4611 Depth=4
	v_bfe_u32 v3, v2, 21, 1
	v_add_co_u32_e64 v3, s[28:29], v2, v3
	v_add_co_u32_e64 v3, s[28:29], -1, v3
; %bb.4630:                             ;   in Loop: Header=BB2_4611 Depth=4
	s_or_b64 exec, exec, s[38:39]
	v_add_u32_e32 v4, 0xffffff81, v17
	v_cndmask_b32_e32 v4, v4, v1, vcc
	v_lshrrev_b32_e32 v17, 23, v2
	v_add3_u32 v18, v18, v4, v17
	v_add_u32_e32 v4, 14, v18
	v_and_b32_e32 v3, 0x1fffff, v3
	v_add_u32_e32 v28, v3, v2
	v_cmp_ne_u32_e32 vcc, 0, v4
                                        ; implicit-def: $vgpr2_vgpr3
                                        ; implicit-def: $vgpr17
	s_and_saveexec_b64 s[28:29], vcc
	s_xor_b64 s[28:29], exec, s[28:29]
; %bb.4631:                             ;   in Loop: Header=BB2_4611 Depth=4
	v_cmp_lt_u64_e32 vcc, s[88:89], v[28:29]
	v_add_u32_e32 v2, 15, v18
	v_cndmask_b32_e32 v17, v4, v2, vcc
	v_cndmask_b32_e64 v2, 0, 1, vcc
	v_lshrrev_b64 v[2:3], v2, v[28:29]
; %bb.4632:                             ;   in Loop: Header=BB2_4611 Depth=4
	s_andn2_saveexec_b64 s[28:29], s[28:29]
; %bb.4633:                             ;   in Loop: Header=BB2_4611 Depth=4
	v_mov_b32_e32 v2, v28
	v_bfe_u32 v17, v28, 23, 1
	v_mov_b32_e32 v3, v29
; %bb.4634:                             ;   in Loop: Header=BB2_4611 Depth=4
	s_or_b64 exec, exec, s[28:29]
	v_lshrrev_b64 v[2:3], 21, v[2:3]
	v_cmp_gt_i32_e32 vcc, 32, v17
	v_cndmask_b32_e32 v3, 0, v3, vcc
	v_cndmask_b32_e32 v2, 3, v2, vcc
	v_cmp_ne_u64_e32 vcc, 0, v[2:3]
	v_cmp_ne_u32_e64 s[28:29], 0, v17
	s_or_b64 s[28:29], s[28:29], vcc
                                        ; implicit-def: $vgpr4
	s_and_saveexec_b64 vcc, s[28:29]
	s_xor_b64 s[28:29], exec, vcc
; %bb.4635:                             ;   in Loop: Header=BB2_4611 Depth=4
	v_min_i32_e32 v3, 31, v17
	v_lshl_or_b32 v3, v3, 2, v5
	v_and_or_b32 v4, v2, 3, v3
                                        ; implicit-def: $vgpr5
; %bb.4636:                             ;   in Loop: Header=BB2_4611 Depth=4
	s_andn2_saveexec_b64 s[28:29], s[28:29]
; %bb.4637:                             ;   in Loop: Header=BB2_4611 Depth=4
	v_mov_b32_e32 v4, v5
; %bb.4638:                             ;   in Loop: Header=BB2_4611 Depth=4
	s_or_b64 exec, exec, s[28:29]
.LBB2_4639:                             ;   in Loop: Header=BB2_4611 Depth=4
	s_or_b64 exec, exec, s[36:37]
                                        ; implicit-def: $vgpr5
.LBB2_4640:                             ;   in Loop: Header=BB2_4611 Depth=4
	s_andn2_saveexec_b64 s[28:29], s[34:35]
; %bb.4641:                             ;   in Loop: Header=BB2_4611 Depth=4
	v_or_b32_e32 v4, 0x7b, v5
; %bb.4642:                             ;   in Loop: Header=BB2_4611 Depth=4
	s_or_b64 exec, exec, s[28:29]
                                        ; implicit-def: $vgpr2
.LBB2_4643:                             ;   in Loop: Header=BB2_4611 Depth=4
	s_andn2_saveexec_b64 s[28:29], s[30:31]
	s_cbranch_execz .LBB2_4649
; %bb.4644:                             ;   in Loop: Header=BB2_4611 Depth=4
	v_cmp_ne_u64_e32 vcc, 0, v[28:29]
                                        ; implicit-def: $vgpr4
	s_and_saveexec_b64 s[30:31], vcc
	s_xor_b64 vcc, exec, s[30:31]
; %bb.4645:                             ;   in Loop: Header=BB2_4611 Depth=4
	v_or_b32_sdwa v4, v2, s47 dst_sel:DWORD dst_unused:UNUSED_PAD src0_sel:BYTE_3 src1_sel:DWORD
                                        ; implicit-def: $vgpr2
; %bb.4646:                             ;   in Loop: Header=BB2_4611 Depth=4
	s_andn2_saveexec_b64 s[30:31], vcc
; %bb.4647:                             ;   in Loop: Header=BB2_4611 Depth=4
	v_cmp_lt_i32_e32 vcc, -1, v2
	v_cndmask_b32_e32 v4, -4, v22, vcc
; %bb.4648:                             ;   in Loop: Header=BB2_4611 Depth=4
	s_or_b64 exec, exec, s[30:31]
.LBB2_4649:                             ;   in Loop: Header=BB2_4611 Depth=4
	s_or_b64 exec, exec, s[28:29]
	flat_load_sbyte v28, v[10:11] glc slc
	v_and_b32_e32 v18, 0xff, v4
	v_cmp_ne_u16_e32 vcc, 0, v18
	v_mov_b32_e32 v2, 0
	v_mov_b32_e32 v3, 0
	s_and_saveexec_b64 s[28:29], vcc
	s_cbranch_execz .LBB2_4657
; %bb.4650:                             ;   in Loop: Header=BB2_4611 Depth=4
	v_cmp_ne_u16_e32 vcc, s96, v18
	v_bfrev_b32_e32 v3, 1
	s_and_saveexec_b64 s[30:31], vcc
	s_cbranch_execz .LBB2_4656
; %bb.4651:                             ;   in Loop: Header=BB2_4611 Depth=4
	v_and_b32_e32 v3, 0x7c, v4
	v_and_b32_e32 v17, 3, v4
	v_cmp_ne_u32_e32 vcc, s85, v3
                                        ; implicit-def: $vgpr3
	s_and_saveexec_b64 s[34:35], vcc
	s_xor_b64 s[34:35], exec, s[34:35]
	s_cbranch_execz .LBB2_4653
; %bb.4652:                             ;   in Loop: Header=BB2_4611 Depth=4
	v_bfe_u32 v3, v18, 2, 5
	v_ffbh_u32_e32 v18, v17
	v_min_u32_e32 v23, 32, v18
	v_mov_b32_e32 v5, v29
	v_subrev_u32_e32 v18, 29, v23
	v_lshlrev_b64 v[18:19], v18, v[4:5]
	v_sub_u32_e32 v5, 30, v23
	v_cmp_eq_u32_e32 vcc, 0, v3
	v_lshlrev_b32_e32 v4, 24, v4
	v_and_b32_e32 v18, 3, v18
	v_cndmask_b32_e32 v3, v3, v5, vcc
	v_and_b32_e32 v4, 0x80000000, v4
	v_cndmask_b32_e32 v5, v17, v18, vcc
	v_lshl_add_u32 v3, v3, 23, v4
	v_lshl_or_b32 v3, v5, 21, v3
	v_add_u32_e32 v3, 0x38000000, v3
                                        ; implicit-def: $vgpr17
                                        ; implicit-def: $vgpr4
.LBB2_4653:                             ;   in Loop: Header=BB2_4611 Depth=4
	s_andn2_saveexec_b64 s[34:35], s[34:35]
; %bb.4654:                             ;   in Loop: Header=BB2_4611 Depth=4
	v_cmp_gt_i16_sdwa vcc, sext(v4), v48 src0_sel:BYTE_0 src1_sel:DWORD
	v_cndmask_b32_e32 v3, v7, v0, vcc
	v_cmp_eq_u32_e32 vcc, 0, v17
	v_cndmask_b32_e32 v3, v35, v3, vcc
; %bb.4655:                             ;   in Loop: Header=BB2_4611 Depth=4
	s_or_b64 exec, exec, s[34:35]
.LBB2_4656:                             ;   in Loop: Header=BB2_4611 Depth=4
	s_or_b64 exec, exec, s[30:31]
.LBB2_4657:                             ;   in Loop: Header=BB2_4611 Depth=4
	s_or_b64 exec, exec, s[28:29]
	s_waitcnt vmcnt(0) lgkmcnt(0)
	v_cmp_ne_u16_e32 vcc, 0, v28
	s_and_saveexec_b64 s[28:29], vcc
	s_cbranch_execz .LBB2_4665
; %bb.4658:                             ;   in Loop: Header=BB2_4611 Depth=4
	v_cmp_ne_u16_e32 vcc, s97, v28
	v_bfrev_b32_e32 v2, 1
	s_and_saveexec_b64 s[30:31], vcc
	s_cbranch_execz .LBB2_4664
; %bb.4659:                             ;   in Loop: Header=BB2_4611 Depth=4
	v_and_b32_e32 v2, 0x7c, v28
	v_and_b32_e32 v4, 3, v28
	v_cmp_ne_u32_e32 vcc, s85, v2
                                        ; implicit-def: $vgpr2
	s_and_saveexec_b64 s[34:35], vcc
	s_xor_b64 s[34:35], exec, s[34:35]
	s_cbranch_execz .LBB2_4661
; %bb.4660:                             ;   in Loop: Header=BB2_4611 Depth=4
	v_ffbh_u32_e32 v17, v4
	v_min_u32_e32 v19, 32, v17
	v_and_b32_e32 v2, 0xff, v28
	v_subrev_u32_e32 v17, 29, v19
	v_bfe_u32 v2, v2, 2, 5
	v_lshlrev_b64 v[17:18], v17, v[28:29]
	v_sub_u32_e32 v18, 30, v19
	v_cmp_eq_u32_e32 vcc, 0, v2
	v_and_b32_sdwa v5, sext(v28), s86 dst_sel:DWORD dst_unused:UNUSED_PAD src0_sel:WORD_0 src1_sel:DWORD
	v_and_b32_e32 v17, 3, v17
	v_cndmask_b32_e32 v2, v2, v18, vcc
	v_cndmask_b32_e32 v4, v4, v17, vcc
	v_lshl_add_u32 v2, v2, 23, v5
	v_lshl_or_b32 v2, v4, 21, v2
	v_add_u32_e32 v2, 0x38000000, v2
                                        ; implicit-def: $vgpr4
.LBB2_4661:                             ;   in Loop: Header=BB2_4611 Depth=4
	s_andn2_saveexec_b64 s[34:35], s[34:35]
; %bb.4662:                             ;   in Loop: Header=BB2_4611 Depth=4
	v_cmp_lt_i16_e32 vcc, -1, v28
	v_cndmask_b32_e32 v2, v7, v0, vcc
	v_cmp_eq_u32_e32 vcc, 0, v4
	v_cndmask_b32_e32 v2, v35, v2, vcc
; %bb.4663:                             ;   in Loop: Header=BB2_4611 Depth=4
	s_or_b64 exec, exec, s[34:35]
.LBB2_4664:                             ;   in Loop: Header=BB2_4611 Depth=4
	s_or_b64 exec, exec, s[30:31]
.LBB2_4665:                             ;   in Loop: Header=BB2_4611 Depth=4
	s_or_b64 exec, exec, s[28:29]
	v_add_f32_e32 v2, v3, v2
	v_and_b32_e32 v3, 0x7f800000, v2
	v_mov_b32_e32 v4, v29
	v_cmp_ne_u64_e32 vcc, s[76:77], v[3:4]
	v_and_b32_e32 v28, 0x7fffff, v2
                                        ; implicit-def: $vgpr3
	s_and_saveexec_b64 s[28:29], vcc
	s_xor_b64 s[30:31], exec, s[28:29]
	s_cbranch_execz .LBB2_4683
; %bb.4666:                             ;   in Loop: Header=BB2_4611 Depth=4
	v_and_b32_e32 v3, 0x7fffffff, v2
	v_mov_b32_e32 v4, v29
	v_cmp_gt_u64_e32 vcc, s[78:79], v[3:4]
	v_and_b32_sdwa v5, v2, s96 dst_sel:DWORD dst_unused:UNUSED_PAD src0_sel:BYTE_3 src1_sel:DWORD
                                        ; implicit-def: $vgpr3
	s_and_saveexec_b64 s[28:29], vcc
	s_xor_b64 s[34:35], exec, s[28:29]
	s_cbranch_execz .LBB2_4680
; %bb.4667:                             ;   in Loop: Header=BB2_4611 Depth=4
	v_cmp_ne_u32_e32 vcc, 0, v2
	v_mov_b32_e32 v3, 0
	s_and_saveexec_b64 s[36:37], vcc
	s_cbranch_execz .LBB2_4679
; %bb.4668:                             ;   in Loop: Header=BB2_4611 Depth=4
	v_bfe_u32 v17, v2, 23, 8
	v_cmp_gt_u32_e64 s[28:29], s46, v17
	v_sub_u32_e32 v2, 0x71, v17
	v_cmp_eq_u32_e32 vcc, 0, v17
	v_cndmask_b32_e64 v2, 0, v2, s[28:29]
	v_mov_b32_e32 v4, 0x70
	v_cndmask_b32_e32 v18, v2, v4, vcc
	v_or_b32_e32 v3, 0x800000, v28
	v_add_u32_e32 v2, 21, v18
	v_cndmask_b32_e32 v28, v3, v28, vcc
	v_lshlrev_b64 v[2:3], v2, -1
	v_add_u32_e32 v4, 20, v18
	v_lshlrev_b64 v[30:31], v4, 1
	v_bfi_b32 v3, v3, 0, 0
	v_bfi_b32 v2, v2, 0, v28
	v_cmp_eq_u64_e64 s[28:29], v[2:3], v[30:31]
	v_lshrrev_b64 v[2:3], v18, v[28:29]
	v_mov_b32_e32 v4, v3
	v_mov_b32_e32 v3, v2
	s_and_saveexec_b64 s[38:39], s[28:29]
; %bb.4669:                             ;   in Loop: Header=BB2_4611 Depth=4
	v_bfe_u32 v3, v2, 21, 1
	v_add_co_u32_e64 v3, s[28:29], v2, v3
	v_add_co_u32_e64 v3, s[28:29], -1, v3
; %bb.4670:                             ;   in Loop: Header=BB2_4611 Depth=4
	s_or_b64 exec, exec, s[38:39]
	v_add_u32_e32 v4, 0xffffff81, v17
	v_cndmask_b32_e32 v4, v4, v1, vcc
	v_lshrrev_b32_e32 v17, 23, v2
	v_add3_u32 v18, v18, v4, v17
	v_add_u32_e32 v17, 14, v18
	v_and_b32_e32 v3, 0x1fffff, v3
	v_add_u32_e32 v28, v3, v2
	v_cmp_ne_u32_e32 vcc, 0, v17
                                        ; implicit-def: $vgpr2_vgpr3
                                        ; implicit-def: $vgpr4
	s_and_saveexec_b64 s[28:29], vcc
	s_xor_b64 s[28:29], exec, s[28:29]
; %bb.4671:                             ;   in Loop: Header=BB2_4611 Depth=4
	v_cmp_lt_u64_e32 vcc, s[88:89], v[28:29]
	v_add_u32_e32 v2, 15, v18
	v_cndmask_b32_e32 v4, v17, v2, vcc
	v_cndmask_b32_e64 v2, 0, 1, vcc
	v_lshrrev_b64 v[2:3], v2, v[28:29]
; %bb.4672:                             ;   in Loop: Header=BB2_4611 Depth=4
	s_andn2_saveexec_b64 s[28:29], s[28:29]
; %bb.4673:                             ;   in Loop: Header=BB2_4611 Depth=4
	v_mov_b32_e32 v2, v28
	v_bfe_u32 v4, v28, 23, 1
	v_mov_b32_e32 v3, v29
; %bb.4674:                             ;   in Loop: Header=BB2_4611 Depth=4
	s_or_b64 exec, exec, s[28:29]
	v_lshrrev_b64 v[2:3], 21, v[2:3]
	v_cmp_gt_i32_e32 vcc, 32, v4
	v_cndmask_b32_e32 v3, 0, v3, vcc
	v_cndmask_b32_e32 v2, 3, v2, vcc
	v_cmp_ne_u64_e32 vcc, 0, v[2:3]
	v_cmp_ne_u32_e64 s[28:29], 0, v4
	s_or_b64 s[28:29], s[28:29], vcc
                                        ; implicit-def: $vgpr3
	s_and_saveexec_b64 vcc, s[28:29]
	s_xor_b64 s[28:29], exec, vcc
; %bb.4675:                             ;   in Loop: Header=BB2_4611 Depth=4
	v_min_i32_e32 v3, 31, v4
	v_lshl_or_b32 v3, v3, 2, v5
	v_and_or_b32 v3, v2, 3, v3
                                        ; implicit-def: $vgpr5
; %bb.4676:                             ;   in Loop: Header=BB2_4611 Depth=4
	s_andn2_saveexec_b64 s[28:29], s[28:29]
; %bb.4677:                             ;   in Loop: Header=BB2_4611 Depth=4
	v_mov_b32_e32 v3, v5
; %bb.4678:                             ;   in Loop: Header=BB2_4611 Depth=4
	s_or_b64 exec, exec, s[28:29]
.LBB2_4679:                             ;   in Loop: Header=BB2_4611 Depth=4
	s_or_b64 exec, exec, s[36:37]
                                        ; implicit-def: $vgpr5
.LBB2_4680:                             ;   in Loop: Header=BB2_4611 Depth=4
	s_andn2_saveexec_b64 s[28:29], s[34:35]
; %bb.4681:                             ;   in Loop: Header=BB2_4611 Depth=4
	v_or_b32_e32 v3, 0x7b, v5
; %bb.4682:                             ;   in Loop: Header=BB2_4611 Depth=4
	s_or_b64 exec, exec, s[28:29]
                                        ; implicit-def: $vgpr2
.LBB2_4683:                             ;   in Loop: Header=BB2_4611 Depth=4
	s_andn2_saveexec_b64 s[28:29], s[30:31]
	s_cbranch_execz .LBB2_4610
; %bb.4684:                             ;   in Loop: Header=BB2_4611 Depth=4
	v_cmp_ne_u64_e32 vcc, 0, v[28:29]
                                        ; implicit-def: $vgpr3
	s_and_saveexec_b64 s[30:31], vcc
	s_xor_b64 vcc, exec, s[30:31]
; %bb.4685:                             ;   in Loop: Header=BB2_4611 Depth=4
	v_or_b32_sdwa v3, v2, s47 dst_sel:DWORD dst_unused:UNUSED_PAD src0_sel:BYTE_3 src1_sel:DWORD
                                        ; implicit-def: $vgpr2
; %bb.4686:                             ;   in Loop: Header=BB2_4611 Depth=4
	s_andn2_saveexec_b64 s[30:31], vcc
	s_cbranch_execz .LBB2_4609
; %bb.4687:                             ;   in Loop: Header=BB2_4611 Depth=4
	v_cmp_lt_i32_e32 vcc, -1, v2
	v_cndmask_b32_e32 v3, -4, v22, vcc
	s_branch .LBB2_4609
.LBB2_4688:                             ;   in Loop: Header=BB2_1934 Depth=3
	s_or_b64 exec, exec, s[40:41]
	v_cmp_lt_i32_e64 s[28:29], 0, v49
	s_and_saveexec_b64 s[40:41], s[12:13]
	s_cbranch_execz .LBB2_4707
.LBB2_4689:                             ;   in Loop: Header=BB2_1934 Depth=3
	s_and_saveexec_b64 s[42:43], s[58:59]
	s_xor_b64 s[42:43], exec, s[42:43]
	s_cbranch_execz .LBB2_4704
; %bb.4690:                             ;   in Loop: Header=BB2_1934 Depth=3
	s_and_saveexec_b64 s[30:31], s[6:7]
	s_cbranch_execz .LBB2_4703
; %bb.4691:                             ;   in Loop: Header=BB2_1934 Depth=3
	s_mov_b64 s[36:37], exec
	v_mbcnt_lo_u32_b32 v2, s36, 0
	v_mbcnt_hi_u32_b32 v2, s37, v2
	v_cmp_eq_u32_e32 vcc, 0, v2
	s_waitcnt vmcnt(0) lgkmcnt(0)
	buffer_wbinvl1_vol
	s_and_saveexec_b64 s[34:35], vcc
	s_cbranch_execz .LBB2_4693
; %bb.4692:                             ;   in Loop: Header=BB2_1934 Depth=3
	s_bcnt1_i32_b64 vcc_lo, s[36:37]
	v_mov_b32_e32 v2, vcc_lo
	v_mov_b32_e32 v3, v29
	ds_add_u64 v0, v[2:3]
	s_trap 2
.LBB2_4693:                             ;   in Loop: Header=BB2_1934 Depth=3
	s_or_b64 exec, exec, s[34:35]
	s_trap 2
	ds_read_b64 v[2:3], v0
	s_waitcnt lgkmcnt(0)
	v_add_co_u32_e32 v12, vcc, v12, v36
	v_addc_co_u32_e32 v13, vcc, 0, v13, vcc
	v_cmp_lt_u64_e32 vcc, v[2:3], v[12:13]
	s_and_saveexec_b64 s[34:35], vcc
	s_cbranch_execz .LBB2_4702
; %bb.4694:                             ;   in Loop: Header=BB2_1934 Depth=3
	s_mov_b32 s54, 0
	s_mov_b64 s[36:37], 0
                                        ; implicit-def: $sgpr38_sgpr39
                                        ; implicit-def: $sgpr48_sgpr49
	s_branch .LBB2_4696
.LBB2_4695:                             ;   in Loop: Header=BB2_4696 Depth=4
	s_or_b64 exec, exec, s[52:53]
	s_and_b64 vcc, exec, vcc
	s_or_b64 s[36:37], vcc, s[36:37]
	s_andn2_b64 vcc, s[38:39], exec
	s_and_b64 s[38:39], s[48:49], exec
	s_or_b64 s[38:39], vcc, s[38:39]
	s_andn2_b64 exec, exec, s[36:37]
	s_cbranch_execz .LBB2_4700
.LBB2_4696:                             ;   Parent Loop BB2_47 Depth=1
                                        ;     Parent Loop BB2_1931 Depth=2
                                        ;       Parent Loop BB2_1934 Depth=3
                                        ; =>      This Inner Loop Header: Depth=4
	s_add_i32 s54, s54, 1
	s_cmpk_lg_i32 s54, 0x2710
	s_cselect_b64 s[50:51], -1, 0
	s_and_b64 vcc, exec, s[50:51]
	s_cbranch_vccz .LBB2_4698
; %bb.4697:                             ;   in Loop: Header=BB2_4696 Depth=4
	s_mov_b64 vcc, -1
	s_or_b64 s[48:49], s[48:49], exec
	s_and_saveexec_b64 s[52:53], s[50:51]
	s_cbranch_execz .LBB2_4695
	s_branch .LBB2_4699
.LBB2_4698:                             ;   in Loop: Header=BB2_4696 Depth=4
	s_trap 2
	ds_read_b64 v[2:3], v0
	s_andn2_b64 s[50:51], s[50:51], exec
	s_mov_b32 s54, 0
	s_waitcnt lgkmcnt(0)
	flat_load_dword v2, v[2:3] glc
	s_waitcnt vmcnt(0) lgkmcnt(0)
	buffer_wbinvl1_vol
	v_cmp_eq_u32_e32 vcc, 0, v2
	s_and_b64 vcc, vcc, exec
	s_or_b64 s[50:51], s[50:51], vcc
	s_mov_b64 vcc, -1
	s_or_b64 s[48:49], s[48:49], exec
	s_and_saveexec_b64 s[52:53], s[50:51]
	s_cbranch_execz .LBB2_4695
.LBB2_4699:                             ;   in Loop: Header=BB2_4696 Depth=4
	s_sleep 1
	s_trap 2
	ds_read_b64 v[2:3], v0
	s_waitcnt lgkmcnt(0)
	s_andn2_b64 s[48:49], s[48:49], exec
	v_cmp_ge_u64_e32 vcc, v[2:3], v[12:13]
	s_orn2_b64 vcc, vcc, exec
	s_branch .LBB2_4695
.LBB2_4700:                             ;   in Loop: Header=BB2_1934 Depth=3
	s_or_b64 exec, exec, s[36:37]
	s_and_saveexec_b64 vcc, s[38:39]
	s_xor_b64 vcc, exec, vcc
	s_cbranch_execz .LBB2_4702
; %bb.4701:                             ;   in Loop: Header=BB2_1934 Depth=3
	v_mov_b32_e32 v2, 1
	ds_write_b32 v0, v2
	s_trap 2
.LBB2_4702:                             ;   in Loop: Header=BB2_1934 Depth=3
	s_or_b64 exec, exec, s[34:35]
	;;#ASMSTART
	s_wakeup
	;;#ASMEND
.LBB2_4703:                             ;   in Loop: Header=BB2_1934 Depth=3
	s_or_b64 exec, exec, s[30:31]
.LBB2_4704:                             ;   in Loop: Header=BB2_1934 Depth=3
	s_andn2_saveexec_b64 s[42:43], s[42:43]
	s_cbranch_execz .LBB2_4706
; %bb.4705:                             ;   in Loop: Header=BB2_1934 Depth=3
	s_waitcnt vmcnt(0) lgkmcnt(0)
	buffer_wbinvl1_vol
	s_barrier
.LBB2_4706:                             ;   in Loop: Header=BB2_1934 Depth=3
	s_or_b64 exec, exec, s[42:43]
.LBB2_4707:                             ;   in Loop: Header=BB2_1934 Depth=3
	s_or_b64 exec, exec, s[40:41]
	v_and_b32_e32 v2, 16, v34
	s_and_saveexec_b64 s[40:41], s[18:19]
	s_xor_b64 s[40:41], exec, s[40:41]
	s_cbranch_execz .LBB2_4711
; %bb.4708:                             ;   in Loop: Header=BB2_1934 Depth=3
	v_and_b32_e32 v3, 16, v34
	v_cmp_ne_u32_e32 vcc, 0, v3
	v_and_b32_e32 v2, 16, v34
	s_and_b64 s[42:43], vcc, s[28:29]
	s_and_saveexec_b64 s[28:29], s[42:43]
	s_cbranch_execz .LBB2_4710
; %bb.4709:                             ;   in Loop: Header=BB2_1934 Depth=3
	v_mov_b32_e32 v2, 1
	s_waitcnt vmcnt(0) lgkmcnt(0)
	buffer_wbinvl1_vol
.LBB2_4710:                             ;   in Loop: Header=BB2_1934 Depth=3
	s_or_b64 exec, exec, s[28:29]
.LBB2_4711:                             ;   in Loop: Header=BB2_1934 Depth=3
	s_andn2_saveexec_b64 s[28:29], s[40:41]
	s_cbranch_execz .LBB2_4730
; %bb.4712:                             ;   in Loop: Header=BB2_1934 Depth=3
	s_and_saveexec_b64 s[40:41], s[58:59]
	s_xor_b64 s[40:41], exec, s[40:41]
	s_cbranch_execz .LBB2_4727
; %bb.4713:                             ;   in Loop: Header=BB2_1934 Depth=3
	s_and_saveexec_b64 s[42:43], s[6:7]
	s_cbranch_execz .LBB2_4726
; %bb.4714:                             ;   in Loop: Header=BB2_1934 Depth=3
	s_mov_b64 s[34:35], exec
	v_mbcnt_lo_u32_b32 v3, s34, 0
	v_mbcnt_hi_u32_b32 v3, s35, v3
	v_cmp_eq_u32_e32 vcc, 0, v3
	;;#ASMSTART
	s_waitcnt lgkmcnt(0) vmcnt(0)
	;;#ASMEND
	s_and_saveexec_b64 s[30:31], vcc
	s_cbranch_execz .LBB2_4716
; %bb.4715:                             ;   in Loop: Header=BB2_1934 Depth=3
	s_bcnt1_i32_b64 vcc_lo, s[34:35]
	v_mov_b32_e32 v3, vcc_lo
	v_mov_b32_e32 v4, v29
	s_waitcnt lgkmcnt(0)
	ds_add_u64 v0, v[3:4]
	s_trap 2
.LBB2_4716:                             ;   in Loop: Header=BB2_1934 Depth=3
	s_or_b64 exec, exec, s[30:31]
	s_trap 2
	ds_read_b64 v[3:4], v0
	s_waitcnt lgkmcnt(0)
	v_add_co_u32_e32 v12, vcc, v12, v36
	v_addc_co_u32_e32 v13, vcc, 0, v13, vcc
	v_cmp_lt_u64_e32 vcc, v[3:4], v[12:13]
	s_and_saveexec_b64 s[30:31], vcc
	s_cbranch_execz .LBB2_4725
; %bb.4717:                             ;   in Loop: Header=BB2_1934 Depth=3
	s_mov_b32 s52, 0
	s_mov_b64 s[34:35], 0
                                        ; implicit-def: $sgpr36_sgpr37
                                        ; implicit-def: $sgpr38_sgpr39
	s_branch .LBB2_4719
.LBB2_4718:                             ;   in Loop: Header=BB2_4719 Depth=4
	s_or_b64 exec, exec, s[50:51]
	s_and_b64 vcc, exec, vcc
	s_or_b64 s[34:35], vcc, s[34:35]
	s_andn2_b64 vcc, s[36:37], exec
	s_and_b64 s[36:37], s[38:39], exec
	s_or_b64 s[36:37], vcc, s[36:37]
	s_andn2_b64 exec, exec, s[34:35]
	s_cbranch_execz .LBB2_4723
.LBB2_4719:                             ;   Parent Loop BB2_47 Depth=1
                                        ;     Parent Loop BB2_1931 Depth=2
                                        ;       Parent Loop BB2_1934 Depth=3
                                        ; =>      This Inner Loop Header: Depth=4
	s_add_i32 s52, s52, 1
	s_cmpk_lg_i32 s52, 0x2710
	s_cselect_b64 s[48:49], -1, 0
	s_and_b64 vcc, exec, s[48:49]
	s_cbranch_vccz .LBB2_4721
; %bb.4720:                             ;   in Loop: Header=BB2_4719 Depth=4
	s_mov_b64 vcc, -1
	s_or_b64 s[38:39], s[38:39], exec
	s_and_saveexec_b64 s[50:51], s[48:49]
	s_cbranch_execz .LBB2_4718
	s_branch .LBB2_4722
.LBB2_4721:                             ;   in Loop: Header=BB2_4719 Depth=4
	s_trap 2
	ds_read_b64 v[3:4], v0
	s_andn2_b64 s[48:49], s[48:49], exec
	s_mov_b32 s52, 0
	s_waitcnt vmcnt(0) lgkmcnt(0)
	flat_load_dword v3, v[3:4] glc
	s_waitcnt vmcnt(0) lgkmcnt(0)
	buffer_wbinvl1_vol
	v_cmp_eq_u32_e32 vcc, 0, v3
	s_and_b64 vcc, vcc, exec
	s_or_b64 s[48:49], s[48:49], vcc
	s_mov_b64 vcc, -1
	s_or_b64 s[38:39], s[38:39], exec
	s_and_saveexec_b64 s[50:51], s[48:49]
	s_cbranch_execz .LBB2_4718
.LBB2_4722:                             ;   in Loop: Header=BB2_4719 Depth=4
	s_sleep 1
	s_trap 2
	ds_read_b64 v[3:4], v0
	s_waitcnt lgkmcnt(0)
	s_andn2_b64 s[38:39], s[38:39], exec
	v_cmp_ge_u64_e32 vcc, v[3:4], v[12:13]
	s_orn2_b64 vcc, vcc, exec
	s_branch .LBB2_4718
.LBB2_4723:                             ;   in Loop: Header=BB2_1934 Depth=3
	s_or_b64 exec, exec, s[34:35]
	s_and_saveexec_b64 vcc, s[36:37]
	s_xor_b64 vcc, exec, vcc
	s_cbranch_execz .LBB2_4725
; %bb.4724:                             ;   in Loop: Header=BB2_1934 Depth=3
	v_mov_b32_e32 v3, 1
	ds_write_b32 v0, v3
	s_trap 2
.LBB2_4725:                             ;   in Loop: Header=BB2_1934 Depth=3
	s_or_b64 exec, exec, s[30:31]
	;;#ASMSTART
	s_wakeup
	;;#ASMEND
.LBB2_4726:                             ;   in Loop: Header=BB2_1934 Depth=3
	s_or_b64 exec, exec, s[42:43]
.LBB2_4727:                             ;   in Loop: Header=BB2_1934 Depth=3
	s_andn2_saveexec_b64 s[40:41], s[40:41]
	s_cbranch_execz .LBB2_4729
; %bb.4728:                             ;   in Loop: Header=BB2_1934 Depth=3
	;;#ASMSTART
	s_waitcnt lgkmcnt(0) vmcnt(0)
	;;#ASMEND
	s_waitcnt vmcnt(0) lgkmcnt(0)
	s_barrier
.LBB2_4729:                             ;   in Loop: Header=BB2_1934 Depth=3
	s_or_b64 exec, exec, s[40:41]
.LBB2_4730:                             ;   in Loop: Header=BB2_1934 Depth=3
	s_or_b64 exec, exec, s[28:29]
	v_cmp_ne_u32_e32 vcc, 0, v2
	s_xor_b64 s[28:29], s[20:21], -1
	s_and_b64 s[40:41], vcc, s[28:29]
	s_and_saveexec_b64 s[28:29], s[40:41]
	s_cbranch_execz .LBB2_4732
; %bb.4731:                             ;   in Loop: Header=BB2_1934 Depth=3
	buffer_load_dword v2, off, s[0:3], s33 offset:108 ; 4-byte Folded Reload
	buffer_load_dword v3, off, s[0:3], s33 offset:112 ; 4-byte Folded Reload
	v_mov_b32_e32 v4, 1
	s_waitcnt vmcnt(0)
	flat_store_dword v[2:3], v4
.LBB2_4732:                             ;   in Loop: Header=BB2_1934 Depth=3
	s_or_b64 exec, exec, s[28:29]
	v_and_b32_e32 v2, 48, v34
	v_cmp_ne_u32_e32 vcc, 0, v2
	s_and_saveexec_b64 s[28:29], vcc
	s_cbranch_execz .LBB2_1933
; %bb.4733:                             ;   in Loop: Header=BB2_1934 Depth=3
	v_add_co_u32_e32 v24, vcc, 2, v24
	v_addc_co_u32_e32 v25, vcc, 0, v25, vcc
	flat_store_dwordx2 v[20:21], v[24:25]
	s_branch .LBB2_1933
.LBB2_4734:                             ;   in Loop: Header=BB2_1931 Depth=2
	s_or_b64 exec, exec, s[92:93]
.LBB2_4735:                             ;   in Loop: Header=BB2_1931 Depth=2
	s_or_b64 exec, exec, s[90:91]
	v_cmp_gt_i32_e32 vcc, 2, v2
	s_and_saveexec_b64 s[40:41], vcc
	s_cbranch_execz .LBB2_1930
; %bb.4736:                             ;   in Loop: Header=BB2_1931 Depth=2
	v_cmp_eq_u32_e64 s[90:91], 0, v2
	s_mov_b64 s[42:43], 0
	s_branch .LBB2_4738
.LBB2_4737:                             ;   in Loop: Header=BB2_4738 Depth=3
	s_or_b64 exec, exec, s[28:29]
	v_add_u32_e32 v61, v50, v61
	s_mov_b64 s[90:91], 0
	s_andn2_b64 exec, exec, s[42:43]
	s_cbranch_execz .LBB2_1929
.LBB2_4738:                             ;   Parent Loop BB2_47 Depth=1
                                        ;     Parent Loop BB2_1931 Depth=2
                                        ; =>    This Loop Header: Depth=3
                                        ;         Child Loop BB2_4744 Depth 4
                                        ;         Child Loop BB2_4772 Depth 4
	;; [unrolled: 1-line block ×3, first 2 shown]
	v_sub_u32_e32 v2, v33, v61
	v_min_i32_e32 v50, v50, v2
	v_and_b32_e32 v2, 12, v34
	v_cmp_ne_u32_e32 vcc, 0, v2
	s_and_saveexec_b64 s[92:93], vcc
	s_cbranch_execz .LBB2_4764
; %bb.4739:                             ;   in Loop: Header=BB2_4738 Depth=3
	v_and_b32_e32 v14, 8, v34
	s_waitcnt lgkmcnt(0)
	v_add_co_u32_e32 v2, vcc, v26, v14
	v_addc_co_u32_e32 v3, vcc, 0, v27, vcc
	v_add_co_u32_e32 v4, vcc, 2, v24
	v_addc_co_u32_e32 v5, vcc, 0, v25, vcc
	v_cmp_lt_u64_e32 vcc, v[2:3], v[4:5]
	s_and_saveexec_b64 s[94:95], vcc
	s_cbranch_execz .LBB2_4751
; %bb.4740:                             ;   in Loop: Header=BB2_4738 Depth=3
	v_and_b32_e32 v2, 64, v34
	s_mov_b32 s69, 0
	v_cmp_eq_u32_e32 vcc, 0, v2
	s_mov_b64 s[30:31], 0
                                        ; implicit-def: $sgpr34_sgpr35
                                        ; implicit-def: $sgpr36_sgpr37
                                        ; implicit-def: $sgpr38_sgpr39
	s_branch .LBB2_4744
.LBB2_4741:                             ;   in Loop: Header=BB2_4744 Depth=4
	s_waitcnt vmcnt(0) lgkmcnt(0)
	v_add_co_u32_e64 v8, s[28:29], v26, v14
	v_addc_co_u32_e64 v9, s[28:29], 0, v27, s[28:29]
	v_cmp_ge_u64_e64 s[28:29], v[8:9], v[4:5]
	s_or_b64 s[52:53], s[52:53], exec
	s_orn2_b64 s[50:51], s[28:29], exec
.LBB2_4742:                             ;   in Loop: Header=BB2_4744 Depth=4
	s_or_b64 exec, exec, s[64:65]
	s_andn2_b64 s[28:29], s[38:39], exec
	s_and_b64 s[38:39], s[52:53], exec
	s_or_b64 s[38:39], s[28:29], s[38:39]
	s_andn2_b64 s[28:29], s[36:37], exec
	s_and_b64 s[36:37], s[50:51], exec
	s_or_b64 s[36:37], s[28:29], s[36:37]
.LBB2_4743:                             ;   in Loop: Header=BB2_4744 Depth=4
	s_or_b64 exec, exec, s[48:49]
	s_and_b64 s[28:29], exec, s[36:37]
	s_or_b64 s[30:31], s[28:29], s[30:31]
	s_andn2_b64 s[28:29], s[34:35], exec
	s_and_b64 s[34:35], s[38:39], exec
	s_or_b64 s[34:35], s[28:29], s[34:35]
	s_andn2_b64 exec, exec, s[30:31]
	s_cbranch_execz .LBB2_4748
.LBB2_4744:                             ;   Parent Loop BB2_47 Depth=1
                                        ;     Parent Loop BB2_1931 Depth=2
                                        ;       Parent Loop BB2_4738 Depth=3
                                        ; =>      This Inner Loop Header: Depth=4
	s_sleep 1
	s_waitcnt vmcnt(0) lgkmcnt(0)
	flat_load_dwordx2 v[26:27], v[20:21] glc
	s_or_b64 s[38:39], s[38:39], exec
	s_or_b64 s[36:37], s[36:37], exec
                                        ; implicit-def: $vgpr2
	s_and_saveexec_b64 s[48:49], vcc
	s_cbranch_execz .LBB2_4743
; %bb.4745:                             ;   in Loop: Header=BB2_4744 Depth=4
	s_cmpk_lt_i32 s69, 0x270f
	s_cselect_b64 s[54:55], -1, 0
	s_cmpk_gt_i32 s69, 0x270e
	s_mov_b64 s[50:51], -1
	s_cbranch_scc0 .LBB2_4747
; %bb.4746:                             ;   in Loop: Header=BB2_4744 Depth=4
	s_trap 2
	ds_read_b64 v[2:3], v0
	s_andn2_b64 s[54:55], s[54:55], exec
	s_mov_b32 s69, 0
	s_mov_b64 s[52:53], 0
	s_waitcnt vmcnt(0) lgkmcnt(0)
	flat_load_dword v2, v[2:3] glc
	s_waitcnt vmcnt(0) lgkmcnt(0)
	buffer_wbinvl1_vol
	v_cmp_eq_u32_e64 s[28:29], 0, v2
	s_and_b64 s[28:29], s[28:29], exec
	s_or_b64 s[54:55], s[54:55], s[28:29]
	s_and_saveexec_b64 s[64:65], s[54:55]
	s_cbranch_execz .LBB2_4742
	s_branch .LBB2_4741
.LBB2_4747:                             ;   in Loop: Header=BB2_4744 Depth=4
	s_add_i32 s69, s69, 1
	s_mov_b64 s[52:53], -1
                                        ; implicit-def: $vgpr2
	s_and_saveexec_b64 s[64:65], s[54:55]
	s_cbranch_execz .LBB2_4742
	s_branch .LBB2_4741
.LBB2_4748:                             ;   in Loop: Header=BB2_4738 Depth=3
	s_or_b64 exec, exec, s[30:31]
	s_xor_b64 s[28:29], s[34:35], -1
	s_and_saveexec_b64 vcc, s[28:29]
	s_xor_b64 s[28:29], exec, vcc
	s_cbranch_execz .LBB2_4750
; %bb.4749:                             ;   in Loop: Header=BB2_4738 Depth=3
	v_or_b32_e32 v34, 64, v34
	s_waitcnt lgkmcnt(0)
	ds_write_b32 v0, v2
	s_trap 2
.LBB2_4750:                             ;   in Loop: Header=BB2_4738 Depth=3
	s_or_b64 exec, exec, s[28:29]
.LBB2_4751:                             ;   in Loop: Header=BB2_4738 Depth=3
	s_or_b64 exec, exec, s[94:95]
	v_and_b32_e32 v2, 0x108, v34
	v_cmp_ne_u32_e32 vcc, s9, v2
	;;#ASMSTART
	s_wakeup
	;;#ASMEND
                                        ; implicit-def: $vgpr2_vgpr3
	s_and_saveexec_b64 s[28:29], vcc
	s_xor_b64 s[28:29], exec, s[28:29]
; %bb.4752:                             ;   in Loop: Header=BB2_4738 Depth=3
	v_and_b32_e32 v2, 7, v24
	v_mov_b32_e32 v3, v29
                                        ; implicit-def: $vgpr24_vgpr25
; %bb.4753:                             ;   in Loop: Header=BB2_4738 Depth=3
	s_andn2_saveexec_b64 s[28:29], s[28:29]
	s_cbranch_execz .LBB2_4755
; %bb.4754:                             ;   in Loop: Header=BB2_4738 Depth=3
	buffer_load_dword v8, off, s[0:3], s33 offset:92 ; 4-byte Folded Reload
	buffer_load_dword v9, off, s[0:3], s33 offset:96 ; 4-byte Folded Reload
	;; [unrolled: 1-line block ×4, first 2 shown]
	v_and_b32_e32 v2, 7, v24
	v_mov_b32_e32 v3, v29
	v_ashrrev_i32_e32 v51, 31, v50
	s_waitcnt vmcnt(0)
	v_mad_u64_u32 v[8:9], s[94:95], v2, 24, v[8:9]
	flat_store_dwordx2 v[8:9], v[50:51] offset:8
.LBB2_4755:                             ;   in Loop: Header=BB2_4738 Depth=3
	s_or_b64 exec, exec, s[28:29]
	v_and_b32_e32 v8, 0x100, v34
	v_cmp_ne_u32_e32 vcc, 0, v8
	s_mov_b64 s[28:29], -1
                                        ; implicit-def: $vgpr8_vgpr9
	s_and_saveexec_b64 s[94:95], vcc
	s_cbranch_execz .LBB2_4759
; %bb.4756:                             ;   in Loop: Header=BB2_4738 Depth=3
	buffer_load_dword v8, off, s[0:3], s33 offset:92 ; 4-byte Folded Reload
	buffer_load_dword v9, off, s[0:3], s33 offset:96 ; 4-byte Folded Reload
	;; [unrolled: 1-line block ×4, first 2 shown]
	s_waitcnt vmcnt(0)
	v_mad_u64_u32 v[10:11], s[28:29], v2, 24, v[8:9]
	v_mov_b32_e32 v8, v11
	v_mad_u64_u32 v[8:9], s[28:29], v3, 24, v[8:9]
	v_mov_b32_e32 v11, v8
	flat_load_dword v8, v[10:11]
	s_waitcnt vmcnt(0) lgkmcnt(0)
	v_cmp_ne_u32_e32 vcc, 1, v8
	v_cmp_eq_u32_e64 s[28:29], 1, v8
                                        ; implicit-def: $vgpr8_vgpr9
	s_and_saveexec_b64 s[30:31], s[28:29]
	s_cbranch_execz .LBB2_4758
; %bb.4757:                             ;   in Loop: Header=BB2_4738 Depth=3
	flat_load_dword v8, v[10:11] offset:4 glc
	s_waitcnt vmcnt(0) lgkmcnt(0)
	v_ashrrev_i32_e32 v9, 31, v8
.LBB2_4758:                             ;   in Loop: Header=BB2_4738 Depth=3
	s_or_b64 exec, exec, s[30:31]
	s_orn2_b64 s[28:29], vcc, exec
.LBB2_4759:                             ;   in Loop: Header=BB2_4738 Depth=3
	s_or_b64 exec, exec, s[94:95]
	s_and_saveexec_b64 s[94:95], s[28:29]
	s_cbranch_execz .LBB2_4761
; %bb.4760:                             ;   in Loop: Header=BB2_4738 Depth=3
	buffer_load_dword v8, off, s[0:3], s33 offset:116 ; 4-byte Folded Reload
	buffer_load_dword v9, off, s[0:3], s33 offset:136 ; 4-byte Folded Reload
	s_waitcnt vmcnt(0)
	v_mul_lo_u32 v3, v3, v8
	v_mul_lo_u32 v10, v2, v9
	v_mad_u64_u32 v[8:9], s[28:29], v2, v8, 0
	v_add3_u32 v9, v9, v10, v3
.LBB2_4761:                             ;   in Loop: Header=BB2_4738 Depth=3
	s_or_b64 exec, exec, s[94:95]
	v_cmp_eq_u32_e32 vcc, 0, v14
	v_mov_b32_e32 v2, 0xc8
	v_mov_b32_e32 v3, 0x90
	v_cndmask_b32_e32 v10, v2, v3, vcc
	buffer_load_dword v2, off, s[0:3], s33 offset:84 ; 4-byte Folded Reload
	buffer_load_dword v3, off, s[0:3], s33 offset:88 ; 4-byte Folded Reload
	s_waitcnt vmcnt(0)
	v_add_co_u32_e32 v2, vcc, v2, v8
	v_addc_co_u32_e32 v3, vcc, v3, v9, vcc
	v_add_u32_e32 v8, v0, v10
	ds_write_b64 v8, v[2:3] offset:584
	v_and_b32_e32 v2, 0x2000, v34
	v_cmp_ne_u32_e32 vcc, 0, v2
	s_and_saveexec_b64 s[28:29], vcc
	s_cbranch_execz .LBB2_4763
; %bb.4762:                             ;   in Loop: Header=BB2_4738 Depth=3
	ds_read_b64 v[2:3], v0 offset:872
	s_waitcnt lgkmcnt(0)
	v_add_co_u32_e32 v2, vcc, 1, v2
	v_addc_co_u32_e32 v3, vcc, 0, v3, vcc
	ds_write_b64 v0, v[2:3] offset:872
.LBB2_4763:                             ;   in Loop: Header=BB2_4738 Depth=3
	s_or_b64 exec, exec, s[28:29]
	v_mov_b32_e32 v25, v5
	v_mov_b32_e32 v24, v4
.LBB2_4764:                             ;   in Loop: Header=BB2_4738 Depth=3
	s_or_b64 exec, exec, s[92:93]
	s_xor_b64 s[28:29], s[90:91], -1
	s_and_b64 s[28:29], exec, s[28:29]
	s_or_b64 s[42:43], s[28:29], s[42:43]
	s_and_saveexec_b64 s[28:29], s[12:13]
	s_cbranch_execz .LBB2_4783
; %bb.4765:                             ;   in Loop: Header=BB2_4738 Depth=3
	s_and_saveexec_b64 s[90:91], s[58:59]
	s_xor_b64 s[90:91], exec, s[90:91]
	s_cbranch_execz .LBB2_4780
; %bb.4766:                             ;   in Loop: Header=BB2_4738 Depth=3
	s_and_saveexec_b64 s[92:93], s[6:7]
	s_cbranch_execz .LBB2_4779
; %bb.4767:                             ;   in Loop: Header=BB2_4738 Depth=3
	s_mov_b64 s[30:31], exec
	v_mbcnt_lo_u32_b32 v2, s30, 0
	v_mbcnt_hi_u32_b32 v2, s31, v2
	v_cmp_eq_u32_e32 vcc, 0, v2
	s_waitcnt vmcnt(0) lgkmcnt(0)
	buffer_wbinvl1_vol
	s_and_saveexec_b64 s[94:95], vcc
	s_cbranch_execz .LBB2_4769
; %bb.4768:                             ;   in Loop: Header=BB2_4738 Depth=3
	s_bcnt1_i32_b64 vcc_lo, s[30:31]
	v_mov_b32_e32 v2, vcc_lo
	v_mov_b32_e32 v3, v29
	ds_add_u64 v0, v[2:3]
	s_trap 2
.LBB2_4769:                             ;   in Loop: Header=BB2_4738 Depth=3
	s_or_b64 exec, exec, s[94:95]
	s_trap 2
	ds_read_b64 v[2:3], v0
	s_waitcnt lgkmcnt(0)
	v_add_co_u32_e32 v12, vcc, v12, v36
	v_addc_co_u32_e32 v13, vcc, 0, v13, vcc
	v_cmp_lt_u64_e32 vcc, v[2:3], v[12:13]
	s_and_saveexec_b64 s[94:95], vcc
	s_cbranch_execz .LBB2_4778
; %bb.4770:                             ;   in Loop: Header=BB2_4738 Depth=3
	s_mov_b32 s50, 0
	s_mov_b64 s[30:31], 0
                                        ; implicit-def: $sgpr34_sgpr35
                                        ; implicit-def: $sgpr36_sgpr37
	s_branch .LBB2_4772
.LBB2_4771:                             ;   in Loop: Header=BB2_4772 Depth=4
	s_or_b64 exec, exec, s[48:49]
	s_and_b64 vcc, exec, vcc
	s_or_b64 s[30:31], vcc, s[30:31]
	s_andn2_b64 vcc, s[34:35], exec
	s_and_b64 s[34:35], s[36:37], exec
	s_or_b64 s[34:35], vcc, s[34:35]
	s_andn2_b64 exec, exec, s[30:31]
	s_cbranch_execz .LBB2_4776
.LBB2_4772:                             ;   Parent Loop BB2_47 Depth=1
                                        ;     Parent Loop BB2_1931 Depth=2
                                        ;       Parent Loop BB2_4738 Depth=3
                                        ; =>      This Inner Loop Header: Depth=4
	s_add_i32 s50, s50, 1
	s_cmpk_lg_i32 s50, 0x2710
	s_cselect_b64 s[38:39], -1, 0
	s_and_b64 vcc, exec, s[38:39]
	s_cbranch_vccz .LBB2_4774
; %bb.4773:                             ;   in Loop: Header=BB2_4772 Depth=4
	s_mov_b64 vcc, -1
	s_or_b64 s[36:37], s[36:37], exec
	s_and_saveexec_b64 s[48:49], s[38:39]
	s_cbranch_execz .LBB2_4771
	s_branch .LBB2_4775
.LBB2_4774:                             ;   in Loop: Header=BB2_4772 Depth=4
	s_trap 2
	ds_read_b64 v[2:3], v0
	s_andn2_b64 s[38:39], s[38:39], exec
	s_mov_b32 s50, 0
	s_waitcnt lgkmcnt(0)
	flat_load_dword v2, v[2:3] glc
	s_waitcnt vmcnt(0) lgkmcnt(0)
	buffer_wbinvl1_vol
	v_cmp_eq_u32_e32 vcc, 0, v2
	s_and_b64 vcc, vcc, exec
	s_or_b64 s[38:39], s[38:39], vcc
	s_mov_b64 vcc, -1
	s_or_b64 s[36:37], s[36:37], exec
	s_and_saveexec_b64 s[48:49], s[38:39]
	s_cbranch_execz .LBB2_4771
.LBB2_4775:                             ;   in Loop: Header=BB2_4772 Depth=4
	s_sleep 1
	s_trap 2
	ds_read_b64 v[2:3], v0
	s_waitcnt lgkmcnt(0)
	s_andn2_b64 s[36:37], s[36:37], exec
	v_cmp_ge_u64_e32 vcc, v[2:3], v[12:13]
	s_orn2_b64 vcc, vcc, exec
	s_branch .LBB2_4771
.LBB2_4776:                             ;   in Loop: Header=BB2_4738 Depth=3
	s_or_b64 exec, exec, s[30:31]
	s_and_saveexec_b64 vcc, s[34:35]
	s_xor_b64 vcc, exec, vcc
	s_cbranch_execz .LBB2_4778
; %bb.4777:                             ;   in Loop: Header=BB2_4738 Depth=3
	v_mov_b32_e32 v2, 1
	ds_write_b32 v0, v2
	s_trap 2
.LBB2_4778:                             ;   in Loop: Header=BB2_4738 Depth=3
	s_or_b64 exec, exec, s[94:95]
	;;#ASMSTART
	s_wakeup
	;;#ASMEND
.LBB2_4779:                             ;   in Loop: Header=BB2_4738 Depth=3
	s_or_b64 exec, exec, s[92:93]
.LBB2_4780:                             ;   in Loop: Header=BB2_4738 Depth=3
	s_andn2_saveexec_b64 s[90:91], s[90:91]
	s_cbranch_execz .LBB2_4782
; %bb.4781:                             ;   in Loop: Header=BB2_4738 Depth=3
	s_waitcnt vmcnt(0) lgkmcnt(0)
	buffer_wbinvl1_vol
	s_barrier
.LBB2_4782:                             ;   in Loop: Header=BB2_4738 Depth=3
	s_or_b64 exec, exec, s[90:91]
.LBB2_4783:                             ;   in Loop: Header=BB2_4738 Depth=3
	s_or_b64 exec, exec, s[28:29]
                                        ; implicit-def: $vgpr2
	s_and_saveexec_b64 s[28:29], s[72:73]
	s_xor_b64 s[28:29], exec, s[28:29]
	s_cbranch_execz .LBB2_4795
; %bb.4784:                             ;   in Loop: Header=BB2_4738 Depth=3
	s_and_saveexec_b64 s[90:91], s[58:59]
	s_xor_b64 s[90:91], exec, s[90:91]
	s_cbranch_execz .LBB2_4800
; %bb.4785:                             ;   in Loop: Header=BB2_4738 Depth=3
	s_and_saveexec_b64 s[92:93], s[6:7]
	s_cbranch_execz .LBB2_4799
; %bb.4786:                             ;   in Loop: Header=BB2_4738 Depth=3
	s_mov_b64 s[30:31], exec
	v_mbcnt_lo_u32_b32 v2, s30, 0
	v_mbcnt_hi_u32_b32 v2, s31, v2
	v_cmp_eq_u32_e32 vcc, 0, v2
	;;#ASMSTART
	s_waitcnt lgkmcnt(0) vmcnt(0)
	;;#ASMEND
	s_and_saveexec_b64 s[94:95], vcc
	s_cbranch_execz .LBB2_4788
; %bb.4787:                             ;   in Loop: Header=BB2_4738 Depth=3
	s_bcnt1_i32_b64 vcc_lo, s[30:31]
	v_mov_b32_e32 v2, vcc_lo
	v_mov_b32_e32 v3, v29
	s_waitcnt lgkmcnt(0)
	ds_add_u64 v0, v[2:3]
	s_trap 2
.LBB2_4788:                             ;   in Loop: Header=BB2_4738 Depth=3
	s_or_b64 exec, exec, s[94:95]
	s_trap 2
	ds_read_b64 v[2:3], v0
	s_waitcnt lgkmcnt(0)
	v_add_co_u32_e32 v12, vcc, v12, v36
	v_addc_co_u32_e32 v13, vcc, 0, v13, vcc
	v_cmp_lt_u64_e32 vcc, v[2:3], v[12:13]
	s_and_saveexec_b64 s[94:95], vcc
	s_cbranch_execz .LBB2_4798
; %bb.4789:                             ;   in Loop: Header=BB2_4738 Depth=3
	s_mov_b32 s50, 0
	s_mov_b64 s[30:31], 0
                                        ; implicit-def: $sgpr34_sgpr35
                                        ; implicit-def: $sgpr36_sgpr37
	s_branch .LBB2_4791
.LBB2_4790:                             ;   in Loop: Header=BB2_4791 Depth=4
	s_or_b64 exec, exec, s[48:49]
	s_and_b64 vcc, exec, vcc
	s_or_b64 s[30:31], vcc, s[30:31]
	s_andn2_b64 vcc, s[34:35], exec
	s_and_b64 s[34:35], s[36:37], exec
	s_or_b64 s[34:35], vcc, s[34:35]
	s_andn2_b64 exec, exec, s[30:31]
	s_cbranch_execz .LBB2_4796
.LBB2_4791:                             ;   Parent Loop BB2_47 Depth=1
                                        ;     Parent Loop BB2_1931 Depth=2
                                        ;       Parent Loop BB2_4738 Depth=3
                                        ; =>      This Inner Loop Header: Depth=4
	s_add_i32 s50, s50, 1
	s_cmpk_lg_i32 s50, 0x2710
	s_cselect_b64 s[38:39], -1, 0
	s_and_b64 vcc, exec, s[38:39]
	s_cbranch_vccz .LBB2_4793
; %bb.4792:                             ;   in Loop: Header=BB2_4791 Depth=4
	s_mov_b64 vcc, -1
	s_or_b64 s[36:37], s[36:37], exec
	s_and_saveexec_b64 s[48:49], s[38:39]
	s_cbranch_execz .LBB2_4790
	s_branch .LBB2_4794
.LBB2_4793:                             ;   in Loop: Header=BB2_4791 Depth=4
	s_trap 2
	ds_read_b64 v[2:3], v0
	s_andn2_b64 s[38:39], s[38:39], exec
	s_mov_b32 s50, 0
	s_waitcnt vmcnt(0) lgkmcnt(0)
	flat_load_dword v2, v[2:3] glc
	s_waitcnt vmcnt(0) lgkmcnt(0)
	buffer_wbinvl1_vol
	v_cmp_eq_u32_e32 vcc, 0, v2
	s_and_b64 vcc, vcc, exec
	s_or_b64 s[38:39], s[38:39], vcc
	s_mov_b64 vcc, -1
	s_or_b64 s[36:37], s[36:37], exec
	s_and_saveexec_b64 s[48:49], s[38:39]
	s_cbranch_execz .LBB2_4790
.LBB2_4794:                             ;   in Loop: Header=BB2_4791 Depth=4
	s_sleep 1
	s_trap 2
	ds_read_b64 v[2:3], v0
	s_waitcnt lgkmcnt(0)
	s_andn2_b64 s[36:37], s[36:37], exec
	v_cmp_ge_u64_e32 vcc, v[2:3], v[12:13]
	s_orn2_b64 vcc, vcc, exec
	s_branch .LBB2_4790
.LBB2_4795:                             ;   in Loop: Header=BB2_4738 Depth=3
	s_andn2_saveexec_b64 s[28:29], s[28:29]
	s_cbranch_execnz .LBB2_4803
	s_branch .LBB2_4806
.LBB2_4796:                             ;   in Loop: Header=BB2_4738 Depth=3
	s_or_b64 exec, exec, s[30:31]
	s_and_saveexec_b64 vcc, s[34:35]
	s_xor_b64 vcc, exec, vcc
	s_cbranch_execz .LBB2_4798
; %bb.4797:                             ;   in Loop: Header=BB2_4738 Depth=3
	v_mov_b32_e32 v2, 1
	ds_write_b32 v0, v2
	s_trap 2
.LBB2_4798:                             ;   in Loop: Header=BB2_4738 Depth=3
	s_or_b64 exec, exec, s[94:95]
	;;#ASMSTART
	s_wakeup
	;;#ASMEND
.LBB2_4799:                             ;   in Loop: Header=BB2_4738 Depth=3
	s_or_b64 exec, exec, s[92:93]
.LBB2_4800:                             ;   in Loop: Header=BB2_4738 Depth=3
	s_andn2_saveexec_b64 s[90:91], s[90:91]
	s_cbranch_execz .LBB2_4802
; %bb.4801:                             ;   in Loop: Header=BB2_4738 Depth=3
	;;#ASMSTART
	s_waitcnt lgkmcnt(0) vmcnt(0)
	;;#ASMEND
	s_waitcnt vmcnt(0) lgkmcnt(0)
	s_barrier
.LBB2_4802:                             ;   in Loop: Header=BB2_4738 Depth=3
	s_or_b64 exec, exec, s[90:91]
	v_and_b32_e32 v2, 16, v34
	s_andn2_saveexec_b64 s[28:29], s[28:29]
	s_cbranch_execz .LBB2_4806
.LBB2_4803:                             ;   in Loop: Header=BB2_4738 Depth=3
	s_trap 2
	ds_read_b32 v2, v0
	v_cmp_lt_i32_e32 vcc, 0, v50
	v_and_b32_e32 v3, 16, v34
	s_waitcnt lgkmcnt(0)
	v_readfirstlane_b32 s90, v2
	s_cmp_eq_u32 s90, 0
	s_cselect_b64 s[90:91], -1, 0
	s_and_b64 s[90:91], vcc, s[90:91]
	v_cmp_ne_u32_e32 vcc, 0, v3
	v_and_b32_e32 v2, 16, v34
	s_and_b64 s[92:93], vcc, s[90:91]
	s_and_saveexec_b64 s[90:91], s[92:93]
	s_cbranch_execz .LBB2_4805
; %bb.4804:                             ;   in Loop: Header=BB2_4738 Depth=3
	v_mov_b32_e32 v2, 1
	s_waitcnt vmcnt(0)
	buffer_wbinvl1_vol
.LBB2_4805:                             ;   in Loop: Header=BB2_4738 Depth=3
	s_or_b64 exec, exec, s[90:91]
.LBB2_4806:                             ;   in Loop: Header=BB2_4738 Depth=3
	s_or_b64 exec, exec, s[28:29]
	v_cmp_ne_u32_e32 vcc, 0, v2
	s_xor_b64 s[28:29], s[20:21], -1
	s_and_b64 s[90:91], vcc, s[28:29]
	s_and_saveexec_b64 s[28:29], s[90:91]
	s_cbranch_execz .LBB2_4808
; %bb.4807:                             ;   in Loop: Header=BB2_4738 Depth=3
	buffer_load_dword v2, off, s[0:3], s33 offset:108 ; 4-byte Folded Reload
	buffer_load_dword v3, off, s[0:3], s33 offset:112 ; 4-byte Folded Reload
	v_mov_b32_e32 v4, 1
	s_waitcnt vmcnt(0)
	flat_store_dword v[2:3], v4
.LBB2_4808:                             ;   in Loop: Header=BB2_4738 Depth=3
	s_or_b64 exec, exec, s[28:29]
	v_and_b32_e32 v2, 48, v34
	v_cmp_ne_u32_e32 vcc, 0, v2
	s_and_saveexec_b64 s[28:29], vcc
	s_cbranch_execz .LBB2_4737
; %bb.4809:                             ;   in Loop: Header=BB2_4738 Depth=3
	v_add_co_u32_e32 v24, vcc, 2, v24
	v_addc_co_u32_e32 v25, vcc, 0, v25, vcc
	flat_store_dwordx2 v[20:21], v[24:25]
	s_branch .LBB2_4737
.LBB2_4810:                             ;   in Loop: Header=BB2_47 Depth=1
	buffer_load_dword v8, off, s[0:3], s33 offset:228 ; 4-byte Folded Reload
	buffer_load_dword v9, off, s[0:3], s33 offset:232 ; 4-byte Folded Reload
	v_mov_b32_e32 v19, 0
	s_waitcnt vmcnt(0)
	v_mul_lo_u32 v5, v8, s67
	v_mul_lo_u32 v4, v9, s66
	v_mad_u64_u32 v[2:3], s[28:29], v8, s66, 0
	v_add3_u32 v3, v3, v5, v4
	buffer_load_dword v4, off, s[0:3], s33 offset:220 ; 4-byte Folded Reload
	buffer_load_dword v5, off, s[0:3], s33 offset:224 ; 4-byte Folded Reload
	s_waitcnt vmcnt(0)
	v_sub_co_u32_e32 v4, vcc, v4, v2
	v_subb_co_u32_e32 v5, vcc, v5, v3, vcc
	v_cmp_lt_i64_e32 vcc, v[8:9], v[4:5]
	v_cndmask_b32_e32 v5, v4, v8, vcc
	v_max_i32_e32 v15, 0, v5
	v_add_u32_e32 v8, 31, v15
	v_lshrrev_b32_e32 v8, 1, v8
	v_and_b32_e32 v8, 0x3ffffff0, v8
	v_cmp_lt_i32_e32 vcc, 0, v5
	v_mov_b32_e32 v4, 0
	v_max_i32_e32 v50, s81, v8
	s_and_b64 s[28:29], s[74:75], vcc
	s_and_saveexec_b64 s[90:91], s[28:29]
	s_cbranch_execnz .LBB2_4811
; %bb.10899:                            ;   in Loop: Header=BB2_47 Depth=1
	s_getpc_b64 s[98:99]
.Lpost_getpc5:
	s_add_u32 s98, s98, (.LBB2_10308-.Lpost_getpc5)&4294967295
	s_addc_u32 s99, s99, (.LBB2_10308-.Lpost_getpc5)>>32
	s_setpc_b64 s[98:99]
.LBB2_4811:                             ;   in Loop: Header=BB2_47 Depth=1
	buffer_load_dword v4, off, s[0:3], s33 offset:152 ; 4-byte Folded Reload
	s_mov_b32 s8, 1
	s_mov_b64 s[94:95], -1
	v_mov_b32_e32 v19, 0
	s_mov_b64 s[92:93], 0
	buffer_store_dword v15, off, s[0:3], s33 offset:176 ; 4-byte Folded Spill
	s_waitcnt vmcnt(0)
	v_add_co_u32_e32 v2, vcc, v2, v4
	buffer_store_dword v2, off, s[0:3], s33 offset:148 ; 4-byte Folded Spill
	buffer_load_dword v2, off, s[0:3], s33 offset:156 ; 4-byte Folded Reload
	s_waitcnt vmcnt(0)
	v_addc_co_u32_e32 v2, vcc, v3, v2, vcc
	buffer_store_dword v2, off, s[0:3], s33 offset:160 ; 4-byte Folded Spill
	s_branch .LBB2_4813
.LBB2_4812:                             ;   in Loop: Header=BB2_4813 Depth=2
	s_or_b64 exec, exec, s[28:29]
	v_add_u32_e32 v19, v50, v19
	v_cmp_ge_i32_e32 vcc, v19, v15
	s_xor_b64 s[28:29], s[94:95], -1
	s_or_b64 s[28:29], s[28:29], vcc
	s_and_b64 s[28:29], exec, s[28:29]
	s_or_b64 s[92:93], s[28:29], s[92:93]
	s_mov_b64 s[94:95], 0
	v_mov_b32_e32 v4, s8
	s_mov_b32 s8, 2
	s_andn2_b64 exec, exec, s[92:93]
	s_cbranch_execnz .LBB2_4813
; %bb.10901:                            ;   in Loop: Header=BB2_47 Depth=1
	s_getpc_b64 s[98:99]
.Lpost_getpc6:
	s_add_u32 s98, s98, (.LBB2_10383-.Lpost_getpc6)&4294967295
	s_addc_u32 s99, s99, (.LBB2_10383-.Lpost_getpc6)>>32
	s_setpc_b64 s[98:99]
.LBB2_4813:                             ;   Parent Loop BB2_47 Depth=1
                                        ; =>  This Loop Header: Depth=2
                                        ;       Child Loop BB2_4821 Depth 3
                                        ;       Child Loop BB2_4849 Depth 3
	;; [unrolled: 1-line block ×4, first 2 shown]
                                        ;         Child Loop BB2_5872 Depth 4
                                        ;       Child Loop BB2_5898 Depth 3
                                        ;         Child Loop BB2_6879 Depth 4
                                        ;       Child Loop BB2_6908 Depth 3
                                        ;       Child Loop BB2_7493 Depth 3
                                        ;         Child Loop BB2_7572 Depth 4
                                        ;       Child Loop BB2_7586 Depth 3
                                        ;       Child Loop BB2_8591 Depth 3
	;; [unrolled: 1-line block ×6, first 2 shown]
	s_and_saveexec_b64 s[28:29], s[4:5]
	s_cbranch_execz .LBB2_4815
; %bb.4814:                             ;   in Loop: Header=BB2_4813 Depth=2
	s_trap 2
	buffer_load_dword v9, off, s[0:3], s33 offset:148 ; 4-byte Folded Reload
	buffer_load_dword v10, off, s[0:3], s33 offset:160 ; 4-byte Folded Reload
	ds_read2_b64 v[2:5], v0 offset1:1
	v_ashrrev_i32_e32 v8, 31, v19
	s_waitcnt vmcnt(0) lgkmcnt(0)
	v_add_co_u32_e32 v2, vcc, v2, v9
	v_addc_co_u32_e32 v3, vcc, v3, v10, vcc
	v_add_co_u32_e32 v2, vcc, v2, v19
	v_addc_co_u32_e32 v3, vcc, v3, v8, vcc
	ds_write_b64 v0, v[2:3]
	v_add_co_u32_e32 v2, vcc, v4, v9
	v_addc_co_u32_e32 v3, vcc, v5, v10, vcc
	v_add_co_u32_e32 v2, vcc, v2, v19
	v_addc_co_u32_e32 v3, vcc, v3, v8, vcc
	ds_write_b64 v0, v[2:3]
	ds_read_b64 v[2:3], v0
	s_waitcnt lgkmcnt(0)
	v_add_co_u32_e32 v4, vcc, v2, v9
	v_addc_co_u32_e32 v5, vcc, v3, v10, vcc
	v_add_co_u32_e32 v4, vcc, v4, v19
	v_addc_co_u32_e32 v5, vcc, v5, v8, vcc
	v_cmp_ne_u64_e32 vcc, 0, v[2:3]
	v_cndmask_b32_e32 v3, 0, v5, vcc
	v_cndmask_b32_e32 v2, 0, v4, vcc
	ds_write_b64 v0, v[2:3]
.LBB2_4815:                             ;   in Loop: Header=BB2_4813 Depth=2
	s_or_b64 exec, exec, s[28:29]
	v_sub_u32_e32 v2, v15, v19
	v_min_i32_e32 v50, v50, v2
	v_and_b32_e32 v2, 12, v34
	v_cmp_ne_u32_e32 vcc, 0, v2
	s_and_saveexec_b64 s[40:41], vcc
	s_cbranch_execz .LBB2_4841
; %bb.4816:                             ;   in Loop: Header=BB2_4813 Depth=2
	v_and_b32_e32 v14, 8, v34
	s_waitcnt lgkmcnt(0)
	v_add_co_u32_e32 v2, vcc, v26, v14
	v_addc_co_u32_e32 v3, vcc, 0, v27, vcc
	v_add_co_u32_e32 v4, vcc, 2, v24
	v_addc_co_u32_e32 v5, vcc, 0, v25, vcc
	v_cmp_lt_u64_e32 vcc, v[2:3], v[4:5]
	s_and_saveexec_b64 s[42:43], vcc
	s_cbranch_execz .LBB2_4828
; %bb.4817:                             ;   in Loop: Header=BB2_4813 Depth=2
	v_and_b32_e32 v2, 64, v34
	s_mov_b32 s69, 0
	v_cmp_eq_u32_e32 vcc, 0, v2
	s_mov_b64 s[30:31], 0
                                        ; implicit-def: $sgpr34_sgpr35
                                        ; implicit-def: $sgpr36_sgpr37
                                        ; implicit-def: $sgpr38_sgpr39
	s_branch .LBB2_4821
.LBB2_4818:                             ;   in Loop: Header=BB2_4821 Depth=3
	s_waitcnt vmcnt(0) lgkmcnt(0)
	v_add_co_u32_e64 v8, s[28:29], v26, v14
	v_addc_co_u32_e64 v9, s[28:29], 0, v27, s[28:29]
	v_cmp_ge_u64_e64 s[28:29], v[8:9], v[4:5]
	s_or_b64 s[52:53], s[52:53], exec
	s_orn2_b64 s[50:51], s[28:29], exec
.LBB2_4819:                             ;   in Loop: Header=BB2_4821 Depth=3
	s_or_b64 exec, exec, s[64:65]
	s_andn2_b64 s[28:29], s[38:39], exec
	s_and_b64 s[38:39], s[52:53], exec
	s_or_b64 s[38:39], s[28:29], s[38:39]
	s_andn2_b64 s[28:29], s[36:37], exec
	s_and_b64 s[36:37], s[50:51], exec
	s_or_b64 s[36:37], s[28:29], s[36:37]
.LBB2_4820:                             ;   in Loop: Header=BB2_4821 Depth=3
	s_or_b64 exec, exec, s[48:49]
	s_and_b64 s[28:29], exec, s[36:37]
	s_or_b64 s[30:31], s[28:29], s[30:31]
	s_andn2_b64 s[28:29], s[34:35], exec
	s_and_b64 s[34:35], s[38:39], exec
	s_or_b64 s[34:35], s[28:29], s[34:35]
	s_andn2_b64 exec, exec, s[30:31]
	s_cbranch_execz .LBB2_4825
.LBB2_4821:                             ;   Parent Loop BB2_47 Depth=1
                                        ;     Parent Loop BB2_4813 Depth=2
                                        ; =>    This Inner Loop Header: Depth=3
	s_sleep 1
	s_waitcnt vmcnt(0) lgkmcnt(0)
	flat_load_dwordx2 v[26:27], v[20:21] glc
	s_or_b64 s[38:39], s[38:39], exec
	s_or_b64 s[36:37], s[36:37], exec
                                        ; implicit-def: $vgpr2
	s_and_saveexec_b64 s[48:49], vcc
	s_cbranch_execz .LBB2_4820
; %bb.4822:                             ;   in Loop: Header=BB2_4821 Depth=3
	s_cmpk_lt_i32 s69, 0x270f
	s_cselect_b64 s[54:55], -1, 0
	s_cmpk_gt_i32 s69, 0x270e
	s_mov_b64 s[50:51], -1
	s_cbranch_scc0 .LBB2_4824
; %bb.4823:                             ;   in Loop: Header=BB2_4821 Depth=3
	s_trap 2
	ds_read_b64 v[2:3], v0
	s_andn2_b64 s[54:55], s[54:55], exec
	s_mov_b32 s69, 0
	s_mov_b64 s[52:53], 0
	s_waitcnt vmcnt(0) lgkmcnt(0)
	flat_load_dword v2, v[2:3] glc
	s_waitcnt vmcnt(0) lgkmcnt(0)
	buffer_wbinvl1_vol
	v_cmp_eq_u32_e64 s[28:29], 0, v2
	s_and_b64 s[28:29], s[28:29], exec
	s_or_b64 s[54:55], s[54:55], s[28:29]
	s_and_saveexec_b64 s[64:65], s[54:55]
	s_cbranch_execz .LBB2_4819
	s_branch .LBB2_4818
.LBB2_4824:                             ;   in Loop: Header=BB2_4821 Depth=3
	s_add_i32 s69, s69, 1
	s_mov_b64 s[52:53], -1
                                        ; implicit-def: $vgpr2
	s_and_saveexec_b64 s[64:65], s[54:55]
	s_cbranch_execz .LBB2_4819
	s_branch .LBB2_4818
.LBB2_4825:                             ;   in Loop: Header=BB2_4813 Depth=2
	s_or_b64 exec, exec, s[30:31]
	s_xor_b64 s[28:29], s[34:35], -1
	s_and_saveexec_b64 vcc, s[28:29]
	s_xor_b64 s[28:29], exec, vcc
	s_cbranch_execz .LBB2_4827
; %bb.4826:                             ;   in Loop: Header=BB2_4813 Depth=2
	v_or_b32_e32 v34, 64, v34
	s_waitcnt lgkmcnt(0)
	ds_write_b32 v0, v2
	s_trap 2
.LBB2_4827:                             ;   in Loop: Header=BB2_4813 Depth=2
	s_or_b64 exec, exec, s[28:29]
.LBB2_4828:                             ;   in Loop: Header=BB2_4813 Depth=2
	s_or_b64 exec, exec, s[42:43]
	v_and_b32_e32 v2, 0x108, v34
	v_cmp_ne_u32_e32 vcc, s9, v2
	;;#ASMSTART
	s_wakeup
	;;#ASMEND
                                        ; implicit-def: $vgpr2_vgpr3
	s_and_saveexec_b64 s[28:29], vcc
	s_xor_b64 s[28:29], exec, s[28:29]
; %bb.4829:                             ;   in Loop: Header=BB2_4813 Depth=2
	v_and_b32_e32 v2, 7, v24
	v_mov_b32_e32 v3, v29
                                        ; implicit-def: $vgpr24_vgpr25
; %bb.4830:                             ;   in Loop: Header=BB2_4813 Depth=2
	s_andn2_saveexec_b64 s[28:29], s[28:29]
	s_cbranch_execz .LBB2_4832
; %bb.4831:                             ;   in Loop: Header=BB2_4813 Depth=2
	buffer_load_dword v8, off, s[0:3], s33 offset:92 ; 4-byte Folded Reload
	buffer_load_dword v9, off, s[0:3], s33 offset:96 ; 4-byte Folded Reload
	;; [unrolled: 1-line block ×4, first 2 shown]
	v_and_b32_e32 v2, 7, v24
	v_mov_b32_e32 v3, v29
	v_ashrrev_i32_e32 v51, 31, v50
	s_waitcnt vmcnt(0)
	v_mad_u64_u32 v[8:9], s[42:43], v2, 24, v[8:9]
	flat_store_dwordx2 v[8:9], v[50:51] offset:8
.LBB2_4832:                             ;   in Loop: Header=BB2_4813 Depth=2
	s_or_b64 exec, exec, s[28:29]
	v_and_b32_e32 v8, 0x100, v34
	v_cmp_ne_u32_e32 vcc, 0, v8
	s_mov_b64 s[28:29], -1
                                        ; implicit-def: $vgpr8_vgpr9
	s_and_saveexec_b64 s[42:43], vcc
	s_cbranch_execz .LBB2_4836
; %bb.4833:                             ;   in Loop: Header=BB2_4813 Depth=2
	buffer_load_dword v8, off, s[0:3], s33 offset:92 ; 4-byte Folded Reload
	buffer_load_dword v9, off, s[0:3], s33 offset:96 ; 4-byte Folded Reload
	;; [unrolled: 1-line block ×4, first 2 shown]
	s_waitcnt vmcnt(0)
	v_mad_u64_u32 v[10:11], s[28:29], v2, 24, v[8:9]
	v_mov_b32_e32 v8, v11
	v_mad_u64_u32 v[8:9], s[28:29], v3, 24, v[8:9]
	v_mov_b32_e32 v11, v8
	flat_load_dword v8, v[10:11]
	s_waitcnt vmcnt(0) lgkmcnt(0)
	v_cmp_ne_u32_e32 vcc, 1, v8
	v_cmp_eq_u32_e64 s[28:29], 1, v8
                                        ; implicit-def: $vgpr8_vgpr9
	s_and_saveexec_b64 s[30:31], s[28:29]
	s_cbranch_execz .LBB2_4835
; %bb.4834:                             ;   in Loop: Header=BB2_4813 Depth=2
	flat_load_dword v8, v[10:11] offset:4 glc
	s_waitcnt vmcnt(0) lgkmcnt(0)
	v_ashrrev_i32_e32 v9, 31, v8
.LBB2_4835:                             ;   in Loop: Header=BB2_4813 Depth=2
	s_or_b64 exec, exec, s[30:31]
	s_orn2_b64 s[28:29], vcc, exec
.LBB2_4836:                             ;   in Loop: Header=BB2_4813 Depth=2
	s_or_b64 exec, exec, s[42:43]
	s_and_saveexec_b64 s[42:43], s[28:29]
	s_cbranch_execz .LBB2_4838
; %bb.4837:                             ;   in Loop: Header=BB2_4813 Depth=2
	buffer_load_dword v8, off, s[0:3], s33 offset:116 ; 4-byte Folded Reload
	buffer_load_dword v9, off, s[0:3], s33 offset:136 ; 4-byte Folded Reload
	s_waitcnt vmcnt(0)
	v_mul_lo_u32 v3, v3, v8
	v_mul_lo_u32 v10, v2, v9
	v_mad_u64_u32 v[8:9], s[28:29], v2, v8, 0
	v_add3_u32 v9, v9, v10, v3
.LBB2_4838:                             ;   in Loop: Header=BB2_4813 Depth=2
	s_or_b64 exec, exec, s[42:43]
	v_cmp_eq_u32_e32 vcc, 0, v14
	v_mov_b32_e32 v2, 0x90
	v_mov_b32_e32 v3, 0xd0
	v_cndmask_b32_e32 v10, v3, v2, vcc
	buffer_load_dword v2, off, s[0:3], s33 offset:84 ; 4-byte Folded Reload
	buffer_load_dword v3, off, s[0:3], s33 offset:88 ; 4-byte Folded Reload
	s_waitcnt vmcnt(0)
	v_add_co_u32_e32 v2, vcc, v2, v8
	v_addc_co_u32_e32 v3, vcc, v3, v9, vcc
	v_add_u32_e32 v8, v0, v10
	ds_write_b64 v8, v[2:3] offset:584
	v_and_b32_e32 v2, 0x2000, v34
	v_cmp_ne_u32_e32 vcc, 0, v2
	s_and_saveexec_b64 s[28:29], vcc
	s_cbranch_execz .LBB2_4840
; %bb.4839:                             ;   in Loop: Header=BB2_4813 Depth=2
	ds_read_b64 v[2:3], v0 offset:872
	s_waitcnt lgkmcnt(0)
	v_add_co_u32_e32 v2, vcc, 1, v2
	v_addc_co_u32_e32 v3, vcc, 0, v3, vcc
	ds_write_b64 v0, v[2:3] offset:872
.LBB2_4840:                             ;   in Loop: Header=BB2_4813 Depth=2
	s_or_b64 exec, exec, s[28:29]
	v_mov_b32_e32 v25, v5
	v_mov_b32_e32 v24, v4
.LBB2_4841:                             ;   in Loop: Header=BB2_4813 Depth=2
	s_or_b64 exec, exec, s[40:41]
	s_and_saveexec_b64 s[28:29], s[12:13]
	s_cbranch_execz .LBB2_4860
; %bb.4842:                             ;   in Loop: Header=BB2_4813 Depth=2
	s_and_saveexec_b64 s[40:41], s[58:59]
	s_xor_b64 s[40:41], exec, s[40:41]
	s_cbranch_execz .LBB2_4857
; %bb.4843:                             ;   in Loop: Header=BB2_4813 Depth=2
	s_and_saveexec_b64 s[42:43], s[6:7]
	s_cbranch_execz .LBB2_4856
; %bb.4844:                             ;   in Loop: Header=BB2_4813 Depth=2
	s_mov_b64 s[34:35], exec
	v_mbcnt_lo_u32_b32 v2, s34, 0
	v_mbcnt_hi_u32_b32 v2, s35, v2
	v_cmp_eq_u32_e32 vcc, 0, v2
	s_waitcnt vmcnt(0) lgkmcnt(0)
	buffer_wbinvl1_vol
	s_and_saveexec_b64 s[30:31], vcc
	s_cbranch_execz .LBB2_4846
; %bb.4845:                             ;   in Loop: Header=BB2_4813 Depth=2
	s_bcnt1_i32_b64 vcc_lo, s[34:35]
	v_mov_b32_e32 v2, vcc_lo
	v_mov_b32_e32 v3, v29
	ds_add_u64 v0, v[2:3]
	s_trap 2
.LBB2_4846:                             ;   in Loop: Header=BB2_4813 Depth=2
	s_or_b64 exec, exec, s[30:31]
	s_trap 2
	ds_read_b64 v[2:3], v0
	s_waitcnt lgkmcnt(0)
	v_add_co_u32_e32 v12, vcc, v12, v36
	v_addc_co_u32_e32 v13, vcc, 0, v13, vcc
	v_cmp_lt_u64_e32 vcc, v[2:3], v[12:13]
	s_and_saveexec_b64 s[30:31], vcc
	s_cbranch_execz .LBB2_4855
; %bb.4847:                             ;   in Loop: Header=BB2_4813 Depth=2
	s_mov_b32 s52, 0
	s_mov_b64 s[34:35], 0
                                        ; implicit-def: $sgpr36_sgpr37
                                        ; implicit-def: $sgpr38_sgpr39
	s_branch .LBB2_4849
.LBB2_4848:                             ;   in Loop: Header=BB2_4849 Depth=3
	s_or_b64 exec, exec, s[50:51]
	s_and_b64 vcc, exec, vcc
	s_or_b64 s[34:35], vcc, s[34:35]
	s_andn2_b64 vcc, s[36:37], exec
	s_and_b64 s[36:37], s[38:39], exec
	s_or_b64 s[36:37], vcc, s[36:37]
	s_andn2_b64 exec, exec, s[34:35]
	s_cbranch_execz .LBB2_4853
.LBB2_4849:                             ;   Parent Loop BB2_47 Depth=1
                                        ;     Parent Loop BB2_4813 Depth=2
                                        ; =>    This Inner Loop Header: Depth=3
	s_add_i32 s52, s52, 1
	s_cmpk_lg_i32 s52, 0x2710
	s_cselect_b64 s[48:49], -1, 0
	s_and_b64 vcc, exec, s[48:49]
	s_cbranch_vccz .LBB2_4851
; %bb.4850:                             ;   in Loop: Header=BB2_4849 Depth=3
	s_mov_b64 vcc, -1
	s_or_b64 s[38:39], s[38:39], exec
	s_and_saveexec_b64 s[50:51], s[48:49]
	s_cbranch_execz .LBB2_4848
	s_branch .LBB2_4852
.LBB2_4851:                             ;   in Loop: Header=BB2_4849 Depth=3
	s_trap 2
	ds_read_b64 v[2:3], v0
	s_andn2_b64 s[48:49], s[48:49], exec
	s_mov_b32 s52, 0
	s_waitcnt lgkmcnt(0)
	flat_load_dword v2, v[2:3] glc
	s_waitcnt vmcnt(0) lgkmcnt(0)
	buffer_wbinvl1_vol
	v_cmp_eq_u32_e32 vcc, 0, v2
	s_and_b64 vcc, vcc, exec
	s_or_b64 s[48:49], s[48:49], vcc
	s_mov_b64 vcc, -1
	s_or_b64 s[38:39], s[38:39], exec
	s_and_saveexec_b64 s[50:51], s[48:49]
	s_cbranch_execz .LBB2_4848
.LBB2_4852:                             ;   in Loop: Header=BB2_4849 Depth=3
	s_sleep 1
	s_trap 2
	ds_read_b64 v[2:3], v0
	s_waitcnt lgkmcnt(0)
	s_andn2_b64 s[38:39], s[38:39], exec
	v_cmp_ge_u64_e32 vcc, v[2:3], v[12:13]
	s_orn2_b64 vcc, vcc, exec
	s_branch .LBB2_4848
.LBB2_4853:                             ;   in Loop: Header=BB2_4813 Depth=2
	s_or_b64 exec, exec, s[34:35]
	s_and_saveexec_b64 vcc, s[36:37]
	s_xor_b64 vcc, exec, vcc
	s_cbranch_execz .LBB2_4855
; %bb.4854:                             ;   in Loop: Header=BB2_4813 Depth=2
	v_mov_b32_e32 v2, 1
	ds_write_b32 v0, v2
	s_trap 2
.LBB2_4855:                             ;   in Loop: Header=BB2_4813 Depth=2
	s_or_b64 exec, exec, s[30:31]
	;;#ASMSTART
	s_wakeup
	;;#ASMEND
.LBB2_4856:                             ;   in Loop: Header=BB2_4813 Depth=2
	s_or_b64 exec, exec, s[42:43]
.LBB2_4857:                             ;   in Loop: Header=BB2_4813 Depth=2
	s_andn2_saveexec_b64 s[40:41], s[40:41]
	s_cbranch_execz .LBB2_4859
; %bb.4858:                             ;   in Loop: Header=BB2_4813 Depth=2
	s_waitcnt vmcnt(0) lgkmcnt(0)
	buffer_wbinvl1_vol
	s_barrier
.LBB2_4859:                             ;   in Loop: Header=BB2_4813 Depth=2
	s_or_b64 exec, exec, s[40:41]
.LBB2_4860:                             ;   in Loop: Header=BB2_4813 Depth=2
	s_or_b64 exec, exec, s[28:29]
	s_trap 2
	ds_read_b32 v2, v0
	v_and_b32_e32 v3, 0x4000, v34
	v_cmp_ne_u32_e32 vcc, 0, v3
	s_xor_b64 s[28:29], s[10:11], -1
	s_and_b64 s[40:41], s[28:29], vcc
	s_and_saveexec_b64 s[28:29], s[40:41]
	s_cbranch_execz .LBB2_4879
; %bb.4861:                             ;   in Loop: Header=BB2_4813 Depth=2
	s_and_saveexec_b64 s[40:41], s[58:59]
	s_xor_b64 s[40:41], exec, s[40:41]
	s_cbranch_execz .LBB2_4876
; %bb.4862:                             ;   in Loop: Header=BB2_4813 Depth=2
	s_and_saveexec_b64 s[42:43], s[6:7]
	s_cbranch_execz .LBB2_4875
; %bb.4863:                             ;   in Loop: Header=BB2_4813 Depth=2
	s_mov_b64 s[34:35], exec
	v_mbcnt_lo_u32_b32 v3, s34, 0
	v_mbcnt_hi_u32_b32 v3, s35, v3
	v_cmp_eq_u32_e32 vcc, 0, v3
	s_waitcnt vmcnt(0) lgkmcnt(0)
	buffer_wbinvl1_vol
	s_and_saveexec_b64 s[30:31], vcc
	s_cbranch_execz .LBB2_4865
; %bb.4864:                             ;   in Loop: Header=BB2_4813 Depth=2
	s_bcnt1_i32_b64 vcc_lo, s[34:35]
	v_mov_b32_e32 v3, vcc_lo
	v_mov_b32_e32 v4, v29
	ds_add_u64 v0, v[3:4]
	s_trap 2
.LBB2_4865:                             ;   in Loop: Header=BB2_4813 Depth=2
	s_or_b64 exec, exec, s[30:31]
	s_trap 2
	ds_read_b64 v[3:4], v0
	s_waitcnt lgkmcnt(0)
	v_add_co_u32_e32 v12, vcc, v12, v36
	v_addc_co_u32_e32 v13, vcc, 0, v13, vcc
	v_cmp_lt_u64_e32 vcc, v[3:4], v[12:13]
	s_and_saveexec_b64 s[30:31], vcc
	s_cbranch_execz .LBB2_4874
; %bb.4866:                             ;   in Loop: Header=BB2_4813 Depth=2
	s_mov_b32 s52, 0
	s_mov_b64 s[34:35], 0
                                        ; implicit-def: $sgpr36_sgpr37
                                        ; implicit-def: $sgpr38_sgpr39
	s_branch .LBB2_4868
.LBB2_4867:                             ;   in Loop: Header=BB2_4868 Depth=3
	s_or_b64 exec, exec, s[50:51]
	s_and_b64 vcc, exec, vcc
	s_or_b64 s[34:35], vcc, s[34:35]
	s_andn2_b64 vcc, s[36:37], exec
	s_and_b64 s[36:37], s[38:39], exec
	s_or_b64 s[36:37], vcc, s[36:37]
	s_andn2_b64 exec, exec, s[34:35]
	s_cbranch_execz .LBB2_4872
.LBB2_4868:                             ;   Parent Loop BB2_47 Depth=1
                                        ;     Parent Loop BB2_4813 Depth=2
                                        ; =>    This Inner Loop Header: Depth=3
	s_add_i32 s52, s52, 1
	s_cmpk_lg_i32 s52, 0x2710
	s_cselect_b64 s[48:49], -1, 0
	s_and_b64 vcc, exec, s[48:49]
	s_cbranch_vccz .LBB2_4870
; %bb.4869:                             ;   in Loop: Header=BB2_4868 Depth=3
	s_mov_b64 vcc, -1
	s_or_b64 s[38:39], s[38:39], exec
	s_and_saveexec_b64 s[50:51], s[48:49]
	s_cbranch_execz .LBB2_4867
	s_branch .LBB2_4871
.LBB2_4870:                             ;   in Loop: Header=BB2_4868 Depth=3
	s_trap 2
	ds_read_b64 v[3:4], v0
	s_andn2_b64 s[48:49], s[48:49], exec
	s_mov_b32 s52, 0
	s_waitcnt lgkmcnt(0)
	flat_load_dword v3, v[3:4] glc
	s_waitcnt vmcnt(0) lgkmcnt(0)
	buffer_wbinvl1_vol
	v_cmp_eq_u32_e32 vcc, 0, v3
	s_and_b64 vcc, vcc, exec
	s_or_b64 s[48:49], s[48:49], vcc
	s_mov_b64 vcc, -1
	s_or_b64 s[38:39], s[38:39], exec
	s_and_saveexec_b64 s[50:51], s[48:49]
	s_cbranch_execz .LBB2_4867
.LBB2_4871:                             ;   in Loop: Header=BB2_4868 Depth=3
	s_sleep 1
	s_trap 2
	ds_read_b64 v[3:4], v0
	s_waitcnt lgkmcnt(0)
	s_andn2_b64 s[38:39], s[38:39], exec
	v_cmp_ge_u64_e32 vcc, v[3:4], v[12:13]
	s_orn2_b64 vcc, vcc, exec
	s_branch .LBB2_4867
.LBB2_4872:                             ;   in Loop: Header=BB2_4813 Depth=2
	s_or_b64 exec, exec, s[34:35]
	s_and_saveexec_b64 vcc, s[36:37]
	s_xor_b64 vcc, exec, vcc
	s_cbranch_execz .LBB2_4874
; %bb.4873:                             ;   in Loop: Header=BB2_4813 Depth=2
	v_mov_b32_e32 v3, 1
	ds_write_b32 v0, v3
	s_trap 2
.LBB2_4874:                             ;   in Loop: Header=BB2_4813 Depth=2
	s_or_b64 exec, exec, s[30:31]
	;;#ASMSTART
	s_wakeup
	;;#ASMEND
.LBB2_4875:                             ;   in Loop: Header=BB2_4813 Depth=2
	s_or_b64 exec, exec, s[42:43]
.LBB2_4876:                             ;   in Loop: Header=BB2_4813 Depth=2
	s_andn2_saveexec_b64 s[40:41], s[40:41]
	s_cbranch_execz .LBB2_4878
; %bb.4877:                             ;   in Loop: Header=BB2_4813 Depth=2
	s_waitcnt vmcnt(0) lgkmcnt(0)
	buffer_wbinvl1_vol
	s_barrier
.LBB2_4878:                             ;   in Loop: Header=BB2_4813 Depth=2
	s_or_b64 exec, exec, s[40:41]
.LBB2_4879:                             ;   in Loop: Header=BB2_4813 Depth=2
	s_or_b64 exec, exec, s[28:29]
	s_trap 2
	ds_read_b64 v[43:44], v0
	s_waitcnt lgkmcnt(0)
	v_cmp_eq_u64_e32 vcc, 0, v[43:44]
	s_cbranch_vccnz .LBB2_4888
; %bb.4880:                             ;   in Loop: Header=BB2_4813 Depth=2
	s_trap 2
	ds_read_b64 v[41:42], v0
	s_waitcnt lgkmcnt(0)
	v_cmp_eq_u64_e32 vcc, 0, v[41:42]
	s_cbranch_vccnz .LBB2_4888
; %bb.4881:                             ;   in Loop: Header=BB2_4813 Depth=2
	s_trap 2
	ds_read_b64 v[10:11], v0
	v_cmp_eq_u32_e64 s[28:29], 0, v2
	v_cndmask_b32_e64 v2, 0, v50, s[28:29]
	s_mov_b64 s[28:29], -1
	buffer_store_dword v2, off, s[0:3], s33 offset:144 ; 4-byte Folded Spill
	s_waitcnt lgkmcnt(0)
	v_cmp_ne_u64_e32 vcc, 0, v[10:11]
	s_cbranch_vccz .LBB2_7575
; %bb.4882:                             ;   in Loop: Header=BB2_4813 Depth=2
	s_and_saveexec_b64 s[40:41], s[24:25]
	s_cbranch_execz .LBB2_4884
; %bb.4883:                             ;   in Loop: Header=BB2_4813 Depth=2
	ds_read_b32 v2, v0 offset:720
	s_waitcnt lgkmcnt(0)
	v_and_b32_e32 v2, 15, v2
	v_cmp_eq_u32_e32 vcc, 0, v2
	s_orn2_b64 s[28:29], vcc, exec
.LBB2_4884:                             ;   in Loop: Header=BB2_4813 Depth=2
	s_or_b64 exec, exec, s[40:41]
	s_and_saveexec_b64 s[40:41], s[24:25]
	s_cbranch_execz .LBB2_4886
; %bb.4885:                             ;   in Loop: Header=BB2_4813 Depth=2
	ds_read_b32 v2, v0 offset:784
	s_waitcnt lgkmcnt(0)
	v_and_b32_e32 v2, 15, v2
	v_cmp_eq_u32_e32 vcc, 0, v2
	s_and_b64 s[42:43], s[28:29], vcc
	s_andn2_b64 s[28:29], s[28:29], exec
	s_and_b64 s[42:43], s[42:43], exec
	s_or_b64 s[28:29], s[28:29], s[42:43]
.LBB2_4886:                             ;   in Loop: Header=BB2_4813 Depth=2
	s_or_b64 exec, exec, s[40:41]
	buffer_load_dword v51, off, s[0:3], s33 offset:144 ; 4-byte Folded Reload
	buffer_load_dword v52, off, s[0:3], s33 offset:140 ; 4-byte Folded Reload
	s_xor_b64 s[28:29], s[28:29], -1
	v_cndmask_b32_e64 v2, 0, 1, s[28:29]
	s_mov_b64 s[40:41], -1
	v_mov_b32_e32 v37, 0
	v_cmp_ne_u32_e32 vcc, 0, v2
	s_cbranch_vccz .LBB2_4889
; %bb.4887:                             ;   in Loop: Header=BB2_4813 Depth=2
	s_and_saveexec_b64 s[42:43], s[40:41]
	s_cbranch_execz .LBB2_7574
	s_branch .LBB2_6904
.LBB2_4888:                             ;   in Loop: Header=BB2_4813 Depth=2
	s_mov_b64 s[28:29], 0
	s_and_saveexec_b64 s[40:41], s[12:13]
	s_cbranch_execz .LBB2_10889
; %bb.10903:                            ;   in Loop: Header=BB2_4813 Depth=2
	s_getpc_b64 s[98:99]
.Lpost_getpc7:
	s_add_u32 s98, s98, (.LBB2_10263-.Lpost_getpc7)&4294967295
	s_addc_u32 s99, s99, (.LBB2_10263-.Lpost_getpc7)>>32
	s_setpc_b64 s[98:99]
.LBB2_10889:                            ;   in Loop: Header=BB2_4813 Depth=2
	s_getpc_b64 s[98:99]
.Lpost_getpc0:
	s_add_u32 s98, s98, (.LBB2_10281-.Lpost_getpc0)&4294967295
	s_addc_u32 s99, s99, (.LBB2_10281-.Lpost_getpc0)>>32
	s_setpc_b64 s[98:99]
.LBB2_4889:                             ;   in Loop: Header=BB2_4813 Depth=2
	buffer_load_dword v2, off, s[0:3], s33 offset:168 ; 4-byte Folded Reload
	buffer_load_dword v4, off, s[0:3], s33 offset:144 ; 4-byte Folded Reload
	s_waitcnt vmcnt(0)
	v_sub_u32_e32 v16, v4, v2
	v_ashrrev_i32_e32 v2, 31, v4
	v_lshrrev_b32_e32 v2, 22, v2
	v_add_u32_e32 v2, v4, v2
	v_ashrrev_i32_e32 v3, 10, v2
	v_and_b32_e32 v5, 0xfffffc00, v2
	buffer_load_dword v2, off, s[0:3], s33 offset:172 ; 4-byte Folded Reload
	v_sub_u32_e32 v4, v4, v5
	v_cmp_lt_i32_e64 s[28:29], 15, v4
	s_waitcnt vmcnt(0)
	v_sub_u32_e32 v2, v3, v2
	v_addc_co_u32_e64 v18, vcc, 0, v2, s[28:29]
	v_cmp_lt_i32_e32 vcc, 15, v16
	s_and_saveexec_b64 s[30:31], vcc
	s_cbranch_execz .LBB2_5895
; %bb.4890:                             ;   in Loop: Header=BB2_4813 Depth=2
	buffer_store_dword v4, off, s[0:3], s33 offset:236 ; 4-byte Folded Spill
	buffer_store_dword v5, off, s[0:3], s33 offset:184 ; 4-byte Folded Spill
	buffer_load_dword v4, off, s[0:3], s33 offset:168 ; 4-byte Folded Reload
	s_waitcnt vmcnt(0)
	v_add_co_u32_e32 v31, vcc, v41, v4
	buffer_store_dword v41, off, s[0:3], s33 offset:188 ; 4-byte Folded Spill
	s_nop 0
	buffer_store_dword v42, off, s[0:3], s33 offset:192 ; 4-byte Folded Spill
	v_addc_co_u32_e32 v32, vcc, 0, v42, vcc
	v_add_co_u32_e32 v33, vcc, v10, v4
	buffer_store_dword v10, off, s[0:3], s33 offset:204 ; 4-byte Folded Spill
	s_nop 0
	buffer_store_dword v11, off, s[0:3], s33 offset:208 ; 4-byte Folded Spill
	s_trap 2
	ds_read_b64 v[2:3], v0
	s_waitcnt lgkmcnt(0)
	v_readfirstlane_b32 s42, v2
	s_bfe_i32 s36, s42, 0x80000
	s_and_b32 s43, s42, 3
	s_bfe_u32 s40, s42, 0x50002
	s_and_b32 s41, s42, 0x7c
	s_cmpk_eq_i32 s41, 0x7c
	s_flbit_i32_b32 s41, s43
	v_addc_co_u32_e32 v55, vcc, 0, v11, vcc
	v_add_co_u32_e32 v42, vcc, v43, v4
	buffer_store_dword v43, off, s[0:3], s33 offset:196 ; 4-byte Folded Spill
	s_nop 0
	buffer_store_dword v44, off, s[0:3], s33 offset:200 ; 4-byte Folded Spill
	v_addc_co_u32_e32 v43, vcc, 0, v44, vcc
	v_add_co_u32_e32 v44, vcc, v2, v4
	v_addc_co_u32_e32 v45, vcc, 0, v3, vcc
	s_cselect_b64 vcc, -1, 0
	s_min_u32 s41, s41, 32
	s_sub_i32 s34, s41, 29
	v_lshlrev_b64 v[2:3], s34, v[2:3]
	s_sub_i32 s41, 30, s41
	s_cmp_eq_u32 s40, 0
	v_and_b32_e32 v2, 3, v2
	s_cselect_b32 s34, s41, s40
	v_mov_b32_e32 v3, s43
	s_cselect_b64 s[40:41], -1, 0
	v_cndmask_b32_e64 v2, v3, v2, s[40:41]
	s_lshl_b32 s40, s42, 24
	s_and_b32 s40, s40, 0x80000000
	s_lshl_b32 s41, s34, 23
	s_add_i32 s41, s41, s40
	v_lshlrev_b32_e32 v2, 21, v2
	s_cmp_eq_u32 s43, 0
	s_sext_i32_i8 s42, s42
	v_or_b32_e32 v2, s41, v2
	s_cselect_b64 s[40:41], -1, 0
	s_cmp_gt_i32 s42, -1
	s_cselect_b64 s[42:43], -1, 0
	v_cndmask_b32_e64 v3, v7, v0, s[42:43]
	v_add_u32_e32 v2, 0x38000000, v2
	v_cndmask_b32_e64 v3, v35, v3, s[40:41]
	v_cndmask_b32_e32 v46, v2, v3, vcc
	s_mov_b64 s[34:35], 0
	s_and_b32 s50, s36, 0xff
.LBB2_4891:                             ;   Parent Loop BB2_47 Depth=1
                                        ;     Parent Loop BB2_4813 Depth=2
                                        ; =>    This Loop Header: Depth=3
                                        ;         Child Loop BB2_5872 Depth 4
	s_cmpk_lt_i32 s50, 0x80
	s_cbranch_scc1 .LBB2_4895
; %bb.4892:                             ;   in Loop: Header=BB2_4891 Depth=3
	s_and_b32 s42, 0xffff, s50
	s_mov_b64 s[40:41], -1
	s_cmpk_eq_i32 s42, 0x80
	s_cbranch_scc0 .LBB2_4894
; %bb.4893:                             ;   in Loop: Header=BB2_4891 Depth=3
	s_mov_b64 s[40:41], 0
.LBB2_4894:                             ;   in Loop: Header=BB2_4891 Depth=3
	s_brev_b32 s36, 1
	s_branch .LBB2_4897
.LBB2_4895:                             ;   in Loop: Header=BB2_4891 Depth=3
	s_mov_b64 s[40:41], 0
	s_brev_b32 s36, 1
	s_cbranch_execz .LBB2_4897
; %bb.4896:                             ;   in Loop: Header=BB2_4891 Depth=3
	s_and_b32 s40, 0xffff, s50
	s_cmp_lg_u32 s40, 0
	s_mov_b32 s36, 0
	s_cselect_b64 s[40:41], -1, 0
.LBB2_4897:                             ;   in Loop: Header=BB2_4891 Depth=3
	s_andn2_b64 vcc, exec, s[40:41]
	v_mov_b32_e32 v23, s36
	s_cbranch_vccnz .LBB2_4899
; %bb.4898:                             ;   in Loop: Header=BB2_4891 Depth=3
	v_mov_b32_e32 v23, v46
.LBB2_4899:                             ;   in Loop: Header=BB2_4891 Depth=3
	global_load_dwordx4 v[8:11], v[42:43], off glc slc
	v_mov_b32_e32 v2, 0
	s_waitcnt vmcnt(0)
	v_cmp_ne_u16_sdwa s[42:43], v8, v29 src0_sel:BYTE_0 src1_sel:DWORD
	s_and_saveexec_b64 s[40:41], s[42:43]
	s_cbranch_execz .LBB2_4907
; %bb.4900:                             ;   in Loop: Header=BB2_4891 Depth=3
	v_cmp_ne_u16_sdwa vcc, sext(v8), s97 src0_sel:BYTE_0 src1_sel:DWORD
	v_bfrev_b32_e32 v2, 1
	s_and_saveexec_b64 s[42:43], vcc
	s_cbranch_execz .LBB2_4906
; %bb.4901:                             ;   in Loop: Header=BB2_4891 Depth=3
	v_and_b32_e32 v2, 0x7c, v8
	v_and_b32_e32 v3, 3, v8
	v_cmp_ne_u32_e32 vcc, s85, v2
                                        ; implicit-def: $vgpr2
	s_and_saveexec_b64 s[36:37], vcc
	s_xor_b64 s[36:37], exec, s[36:37]
	s_cbranch_execz .LBB2_4903
; %bb.4902:                             ;   in Loop: Header=BB2_4891 Depth=3
	v_ffbh_u32_e32 v4, v3
	v_min_u32_e32 v14, 32, v4
	v_subrev_u32_e32 v4, 29, v14
	v_lshlrev_b64 v[4:5], v4, v[8:9]
	v_bfe_u32 v2, v8, 2, 5
	v_and_b32_e32 v4, 3, v4
	v_cmp_eq_u32_e32 vcc, 0, v2
	v_sub_u32_e32 v5, 30, v14
	v_cndmask_b32_e32 v3, v3, v4, vcc
	v_lshlrev_b32_e32 v4, 24, v8
	v_cndmask_b32_e32 v2, v2, v5, vcc
	v_and_b32_e32 v4, 0x80000000, v4
	v_lshl_add_u32 v2, v2, 23, v4
	v_lshl_or_b32 v2, v3, 21, v2
	v_add_u32_e32 v2, 0x38000000, v2
                                        ; implicit-def: $vgpr3
.LBB2_4903:                             ;   in Loop: Header=BB2_4891 Depth=3
	s_andn2_saveexec_b64 s[36:37], s[36:37]
; %bb.4904:                             ;   in Loop: Header=BB2_4891 Depth=3
	v_cmp_gt_i16_sdwa vcc, sext(v8), v48 src0_sel:BYTE_0 src1_sel:DWORD
	v_cndmask_b32_e32 v2, v7, v0, vcc
	v_cmp_eq_u32_e32 vcc, 0, v3
	v_cndmask_b32_e32 v2, v35, v2, vcc
; %bb.4905:                             ;   in Loop: Header=BB2_4891 Depth=3
	s_or_b64 exec, exec, s[36:37]
.LBB2_4906:                             ;   in Loop: Header=BB2_4891 Depth=3
	s_or_b64 exec, exec, s[42:43]
.LBB2_4907:                             ;   in Loop: Header=BB2_4891 Depth=3
	s_or_b64 exec, exec, s[40:41]
	v_mul_f32_e32 v2, v23, v2
	v_and_b32_e32 v3, 0x7f800000, v2
	v_mov_b32_e32 v4, v29
	v_cmp_ne_u64_e32 vcc, s[76:77], v[3:4]
	v_and_b32_e32 v28, 0x7fffff, v2
                                        ; implicit-def: $vgpr14
	s_and_saveexec_b64 s[40:41], vcc
	s_xor_b64 s[42:43], exec, s[40:41]
	s_cbranch_execz .LBB2_4921
; %bb.4908:                             ;   in Loop: Header=BB2_4891 Depth=3
	v_and_b32_e32 v3, 0x7fffffff, v2
	v_mov_b32_e32 v4, v29
	v_cmp_gt_u64_e32 vcc, s[78:79], v[3:4]
	v_and_b32_sdwa v5, v2, s96 dst_sel:DWORD dst_unused:UNUSED_PAD src0_sel:BYTE_3 src1_sel:DWORD
                                        ; implicit-def: $vgpr14
	s_and_saveexec_b64 s[40:41], vcc
	s_xor_b64 s[36:37], exec, s[40:41]
	s_cbranch_execz .LBB2_4918
; %bb.4909:                             ;   in Loop: Header=BB2_4891 Depth=3
	v_mov_b32_e32 v14, 0
	v_cmp_ne_u32_e32 vcc, 0, v2
	s_and_saveexec_b64 s[38:39], vcc
	s_cbranch_execz .LBB2_4917
; %bb.4910:                             ;   in Loop: Header=BB2_4891 Depth=3
	v_bfe_u32 v14, v2, 23, 8
	v_cmp_gt_u32_e64 s[40:41], s46, v14
	v_sub_u32_e32 v2, 0x71, v14
	v_cmp_eq_u32_e32 vcc, 0, v14
	v_cndmask_b32_e64 v2, 0, v2, s[40:41]
	v_mov_b32_e32 v4, 0x70
	v_cndmask_b32_e32 v15, v2, v4, vcc
	v_add_u32_e32 v4, 21, v15
	v_or_b32_e32 v3, 0x800000, v28
	v_lshlrev_b64 v[37:38], v4, -1
	v_cndmask_b32_e32 v2, v3, v28, vcc
	v_mov_b32_e32 v3, v29
	v_add_u32_e32 v4, 20, v15
	v_bfi_b32 v37, v37, 0, v2
	v_lshlrev_b64 v[51:52], v4, 1
	v_lshrrev_b64 v[2:3], v15, v[2:3]
	v_bfi_b32 v38, v38, 0, 0
	v_cmp_eq_u64_e64 s[40:41], v[37:38], v[51:52]
	v_mov_b32_e32 v4, v3
	v_mov_b32_e32 v3, v2
	s_and_saveexec_b64 s[48:49], s[40:41]
; %bb.4911:                             ;   in Loop: Header=BB2_4891 Depth=3
	v_bfe_u32 v3, v2, 21, 1
	v_add_co_u32_e64 v3, s[40:41], v2, v3
	v_add_co_u32_e64 v3, s[40:41], -1, v3
; %bb.4912:                             ;   in Loop: Header=BB2_4891 Depth=3
	s_or_b64 exec, exec, s[48:49]
	v_add_u32_e32 v4, 0xffffff81, v14
	v_cndmask_b32_e32 v4, v4, v1, vcc
	v_lshrrev_b32_e32 v14, 23, v2
	v_add3_u32 v15, v15, v4, v14
	v_add_u32_e32 v14, 14, v15
	v_and_b32_e32 v3, 0x1fffff, v3
	v_add_u32_e32 v28, v3, v2
	v_cmp_ne_u32_e32 vcc, 0, v14
                                        ; implicit-def: $vgpr2_vgpr3
                                        ; implicit-def: $vgpr4
	s_and_saveexec_b64 s[40:41], vcc
	s_xor_b64 s[40:41], exec, s[40:41]
; %bb.4913:                             ;   in Loop: Header=BB2_4891 Depth=3
	v_cmp_lt_u64_e32 vcc, s[88:89], v[28:29]
	v_add_u32_e32 v2, 15, v15
	v_cndmask_b32_e32 v4, v14, v2, vcc
	v_cndmask_b32_e64 v2, 0, 1, vcc
	v_lshrrev_b64 v[2:3], v2, v[28:29]
; %bb.4914:                             ;   in Loop: Header=BB2_4891 Depth=3
	s_andn2_saveexec_b64 s[40:41], s[40:41]
; %bb.4915:                             ;   in Loop: Header=BB2_4891 Depth=3
	v_mov_b32_e32 v2, v28
	v_mov_b32_e32 v3, v29
	v_bfe_u32 v4, v28, 23, 1
; %bb.4916:                             ;   in Loop: Header=BB2_4891 Depth=3
	s_or_b64 exec, exec, s[40:41]
	v_lshrrev_b64 v[2:3], 21, v[2:3]
	v_cmp_gt_i32_e32 vcc, 32, v4
	v_cndmask_b32_e32 v3, 0, v3, vcc
	v_cndmask_b32_e32 v2, 3, v2, vcc
	v_cmp_eq_u64_e64 s[40:41], 0, v[2:3]
	v_min_i32_e32 v3, 31, v4
	v_lshlrev_b32_e32 v3, 2, v3
	v_cmp_eq_u32_e32 vcc, 0, v4
	v_and_b32_e32 v3, 0xfc, v3
	v_and_or_b32 v2, v2, 3, v3
	s_and_b64 s[40:41], vcc, s[40:41]
	v_cndmask_b32_e64 v2, v2, 0, s[40:41]
	v_or_b32_e32 v14, v2, v5
.LBB2_4917:                             ;   in Loop: Header=BB2_4891 Depth=3
	s_or_b64 exec, exec, s[38:39]
                                        ; implicit-def: $vgpr5
.LBB2_4918:                             ;   in Loop: Header=BB2_4891 Depth=3
	s_andn2_saveexec_b64 s[40:41], s[36:37]
; %bb.4919:                             ;   in Loop: Header=BB2_4891 Depth=3
	v_or_b32_e32 v14, 0x7b, v5
; %bb.4920:                             ;   in Loop: Header=BB2_4891 Depth=3
	s_or_b64 exec, exec, s[40:41]
                                        ; implicit-def: $vgpr2
.LBB2_4921:                             ;   in Loop: Header=BB2_4891 Depth=3
	s_andn2_saveexec_b64 s[40:41], s[42:43]
	s_cbranch_execz .LBB2_4927
; %bb.4922:                             ;   in Loop: Header=BB2_4891 Depth=3
	v_cmp_ne_u64_e32 vcc, 0, v[28:29]
                                        ; implicit-def: $vgpr14
	s_and_saveexec_b64 s[42:43], vcc
	s_xor_b64 s[42:43], exec, s[42:43]
; %bb.4923:                             ;   in Loop: Header=BB2_4891 Depth=3
	v_or_b32_sdwa v14, v2, s47 dst_sel:DWORD dst_unused:UNUSED_PAD src0_sel:BYTE_3 src1_sel:DWORD
                                        ; implicit-def: $vgpr2
; %bb.4924:                             ;   in Loop: Header=BB2_4891 Depth=3
	s_andn2_saveexec_b64 s[42:43], s[42:43]
; %bb.4925:                             ;   in Loop: Header=BB2_4891 Depth=3
	v_cmp_lt_i32_e32 vcc, -1, v2
	v_cndmask_b32_e32 v14, v6, v22, vcc
; %bb.4926:                             ;   in Loop: Header=BB2_4891 Depth=3
	s_or_b64 exec, exec, s[42:43]
.LBB2_4927:                             ;   in Loop: Header=BB2_4891 Depth=3
	s_or_b64 exec, exec, s[40:41]
	v_lshrrev_b16_e32 v2, 8, v8
	v_cmp_ne_u16_e32 vcc, 0, v2
	v_mov_b32_e32 v3, 0
	s_and_saveexec_b64 s[40:41], vcc
	s_cbranch_execz .LBB2_4935
; %bb.4928:                             ;   in Loop: Header=BB2_4891 Depth=3
	v_cmp_ne_u16_e32 vcc, s96, v2
	v_bfrev_b32_e32 v3, 1
	s_and_saveexec_b64 s[42:43], vcc
	s_cbranch_execz .LBB2_4934
; %bb.4929:                             ;   in Loop: Header=BB2_4891 Depth=3
	v_and_b32_e32 v3, 0x7c, v2
	v_and_b32_e32 v4, 3, v2
	v_cmp_ne_u32_e32 vcc, s85, v3
                                        ; implicit-def: $vgpr3
	s_and_saveexec_b64 s[36:37], vcc
	s_xor_b64 s[36:37], exec, s[36:37]
	s_cbranch_execz .LBB2_4931
; %bb.4930:                             ;   in Loop: Header=BB2_4891 Depth=3
	v_ffbh_u32_e32 v15, v4
	v_min_u32_e32 v15, 32, v15
	v_mov_b32_e32 v3, v29
	v_subrev_u32_e32 v17, 29, v15
	v_bfe_u32 v5, v2, 2, 5
	v_lshlrev_b64 v[2:3], v17, v[2:3]
	v_cmp_eq_u32_e32 vcc, 0, v5
	v_and_b32_e32 v2, 3, v2
	v_sub_u32_e32 v3, 30, v15
	v_cndmask_b32_e32 v2, v4, v2, vcc
	v_lshlrev_b32_e32 v4, 16, v8
	v_cndmask_b32_e32 v3, v5, v3, vcc
	v_and_b32_e32 v4, 0x80000000, v4
	v_lshl_add_u32 v3, v3, 23, v4
	v_lshl_or_b32 v2, v2, 21, v3
	v_add_u32_e32 v3, 0x38000000, v2
                                        ; implicit-def: $vgpr4
.LBB2_4931:                             ;   in Loop: Header=BB2_4891 Depth=3
	s_andn2_saveexec_b64 s[36:37], s[36:37]
; %bb.4932:                             ;   in Loop: Header=BB2_4891 Depth=3
	v_cmp_lt_i16_e32 vcc, -1, v8
	v_cndmask_b32_e32 v2, v7, v0, vcc
	v_cmp_eq_u32_e32 vcc, 0, v4
	v_cndmask_b32_e32 v3, v35, v2, vcc
; %bb.4933:                             ;   in Loop: Header=BB2_4891 Depth=3
	s_or_b64 exec, exec, s[36:37]
.LBB2_4934:                             ;   in Loop: Header=BB2_4891 Depth=3
	s_or_b64 exec, exec, s[42:43]
.LBB2_4935:                             ;   in Loop: Header=BB2_4891 Depth=3
	s_or_b64 exec, exec, s[40:41]
	v_mul_f32_e32 v2, v23, v3
	v_and_b32_e32 v3, 0x7f800000, v2
	v_mov_b32_e32 v4, v29
	v_cmp_ne_u64_e32 vcc, s[76:77], v[3:4]
	v_and_b32_e32 v28, 0x7fffff, v2
                                        ; implicit-def: $vgpr51
	s_and_saveexec_b64 s[40:41], vcc
	s_xor_b64 s[42:43], exec, s[40:41]
	s_cbranch_execz .LBB2_4949
; %bb.4936:                             ;   in Loop: Header=BB2_4891 Depth=3
	v_and_b32_e32 v3, 0x7fffffff, v2
	v_mov_b32_e32 v4, v29
	v_cmp_gt_u64_e32 vcc, s[78:79], v[3:4]
	v_and_b32_sdwa v5, v2, s96 dst_sel:DWORD dst_unused:UNUSED_PAD src0_sel:BYTE_3 src1_sel:DWORD
                                        ; implicit-def: $vgpr51
	s_and_saveexec_b64 s[40:41], vcc
	s_xor_b64 s[36:37], exec, s[40:41]
	s_cbranch_execz .LBB2_4946
; %bb.4937:                             ;   in Loop: Header=BB2_4891 Depth=3
	v_mov_b32_e32 v51, 0
	v_cmp_ne_u32_e32 vcc, 0, v2
	s_and_saveexec_b64 s[38:39], vcc
	s_cbranch_execz .LBB2_4945
; %bb.4938:                             ;   in Loop: Header=BB2_4891 Depth=3
	v_bfe_u32 v15, v2, 23, 8
	v_cmp_gt_u32_e64 s[40:41], s46, v15
	v_sub_u32_e32 v2, 0x71, v15
	v_cmp_eq_u32_e32 vcc, 0, v15
	v_cndmask_b32_e64 v2, 0, v2, s[40:41]
	v_mov_b32_e32 v4, 0x70
	v_cndmask_b32_e32 v17, v2, v4, vcc
	v_add_u32_e32 v4, 21, v17
	v_or_b32_e32 v3, 0x800000, v28
	v_lshlrev_b64 v[37:38], v4, -1
	v_cndmask_b32_e32 v2, v3, v28, vcc
	v_mov_b32_e32 v3, v29
	v_add_u32_e32 v4, 20, v17
	v_bfi_b32 v37, v37, 0, v2
	v_lshlrev_b64 v[51:52], v4, 1
	v_lshrrev_b64 v[2:3], v17, v[2:3]
	v_bfi_b32 v38, v38, 0, 0
	v_cmp_eq_u64_e64 s[40:41], v[37:38], v[51:52]
	v_mov_b32_e32 v4, v3
	v_mov_b32_e32 v3, v2
	s_and_saveexec_b64 s[48:49], s[40:41]
; %bb.4939:                             ;   in Loop: Header=BB2_4891 Depth=3
	v_bfe_u32 v3, v2, 21, 1
	v_add_co_u32_e64 v3, s[40:41], v2, v3
	v_add_co_u32_e64 v3, s[40:41], -1, v3
; %bb.4940:                             ;   in Loop: Header=BB2_4891 Depth=3
	s_or_b64 exec, exec, s[48:49]
	v_add_u32_e32 v4, 0xffffff81, v15
	v_cndmask_b32_e32 v4, v4, v1, vcc
	v_lshrrev_b32_e32 v15, 23, v2
	v_add3_u32 v17, v17, v4, v15
	v_add_u32_e32 v15, 14, v17
	v_and_b32_e32 v3, 0x1fffff, v3
	v_add_u32_e32 v28, v3, v2
	v_cmp_ne_u32_e32 vcc, 0, v15
                                        ; implicit-def: $vgpr2_vgpr3
                                        ; implicit-def: $vgpr4
	s_and_saveexec_b64 s[40:41], vcc
	s_xor_b64 s[40:41], exec, s[40:41]
; %bb.4941:                             ;   in Loop: Header=BB2_4891 Depth=3
	v_cmp_lt_u64_e32 vcc, s[88:89], v[28:29]
	v_add_u32_e32 v2, 15, v17
	v_cndmask_b32_e32 v4, v15, v2, vcc
	v_cndmask_b32_e64 v2, 0, 1, vcc
	v_lshrrev_b64 v[2:3], v2, v[28:29]
; %bb.4942:                             ;   in Loop: Header=BB2_4891 Depth=3
	s_andn2_saveexec_b64 s[40:41], s[40:41]
; %bb.4943:                             ;   in Loop: Header=BB2_4891 Depth=3
	v_mov_b32_e32 v2, v28
	v_mov_b32_e32 v3, v29
	v_bfe_u32 v4, v28, 23, 1
; %bb.4944:                             ;   in Loop: Header=BB2_4891 Depth=3
	s_or_b64 exec, exec, s[40:41]
	v_lshrrev_b64 v[2:3], 21, v[2:3]
	v_cmp_gt_i32_e32 vcc, 32, v4
	v_cndmask_b32_e32 v3, 0, v3, vcc
	v_cndmask_b32_e32 v2, 3, v2, vcc
	v_cmp_eq_u64_e64 s[40:41], 0, v[2:3]
	v_min_i32_e32 v3, 31, v4
	v_lshlrev_b32_e32 v3, 2, v3
	v_cmp_eq_u32_e32 vcc, 0, v4
	v_and_b32_e32 v3, 0xfc, v3
	v_and_or_b32 v2, v2, 3, v3
	s_and_b64 s[40:41], vcc, s[40:41]
	v_cndmask_b32_e64 v2, v2, 0, s[40:41]
	v_or_b32_e32 v51, v2, v5
.LBB2_4945:                             ;   in Loop: Header=BB2_4891 Depth=3
	s_or_b64 exec, exec, s[38:39]
                                        ; implicit-def: $vgpr5
.LBB2_4946:                             ;   in Loop: Header=BB2_4891 Depth=3
	s_andn2_saveexec_b64 s[40:41], s[36:37]
; %bb.4947:                             ;   in Loop: Header=BB2_4891 Depth=3
	v_or_b32_e32 v51, 0x7b, v5
; %bb.4948:                             ;   in Loop: Header=BB2_4891 Depth=3
	s_or_b64 exec, exec, s[40:41]
                                        ; implicit-def: $vgpr2
.LBB2_4949:                             ;   in Loop: Header=BB2_4891 Depth=3
	s_andn2_saveexec_b64 s[40:41], s[42:43]
	s_cbranch_execz .LBB2_4955
; %bb.4950:                             ;   in Loop: Header=BB2_4891 Depth=3
	v_cmp_ne_u64_e32 vcc, 0, v[28:29]
                                        ; implicit-def: $vgpr51
	s_and_saveexec_b64 s[42:43], vcc
	s_xor_b64 s[42:43], exec, s[42:43]
; %bb.4951:                             ;   in Loop: Header=BB2_4891 Depth=3
	v_or_b32_sdwa v51, v2, s47 dst_sel:DWORD dst_unused:UNUSED_PAD src0_sel:BYTE_3 src1_sel:DWORD
                                        ; implicit-def: $vgpr2
; %bb.4952:                             ;   in Loop: Header=BB2_4891 Depth=3
	s_andn2_saveexec_b64 s[42:43], s[42:43]
; %bb.4953:                             ;   in Loop: Header=BB2_4891 Depth=3
	v_cmp_lt_i32_e32 vcc, -1, v2
	v_cndmask_b32_e32 v51, v6, v22, vcc
; %bb.4954:                             ;   in Loop: Header=BB2_4891 Depth=3
	s_or_b64 exec, exec, s[42:43]
.LBB2_4955:                             ;   in Loop: Header=BB2_4891 Depth=3
	s_or_b64 exec, exec, s[40:41]
	v_lshrrev_b32_e32 v2, 16, v8
	v_cmp_ne_u16_sdwa s[42:43], v2, v29 src0_sel:BYTE_0 src1_sel:DWORD
	v_mov_b32_e32 v3, 0
	s_and_saveexec_b64 s[40:41], s[42:43]
	s_cbranch_execz .LBB2_4963
; %bb.4956:                             ;   in Loop: Header=BB2_4891 Depth=3
	v_cmp_ne_u16_sdwa vcc, v2, s96 src0_sel:BYTE_0 src1_sel:DWORD
	v_bfrev_b32_e32 v3, 1
	s_and_saveexec_b64 s[42:43], vcc
	s_cbranch_execz .LBB2_4962
; %bb.4957:                             ;   in Loop: Header=BB2_4891 Depth=3
	v_and_b32_e32 v3, 0x7c0000, v8
	v_bfe_u32 v4, v8, 16, 2
	v_cmp_ne_u32_e32 vcc, s44, v3
                                        ; implicit-def: $vgpr3
	s_and_saveexec_b64 s[36:37], vcc
	s_xor_b64 s[36:37], exec, s[36:37]
	s_cbranch_execz .LBB2_4959
; %bb.4958:                             ;   in Loop: Header=BB2_4891 Depth=3
	v_ffbh_u32_e32 v3, v4
	v_min_u32_e32 v15, 32, v3
	v_subrev_u32_e32 v3, 29, v15
	v_lshlrev_b64 v[2:3], v3, v[2:3]
	v_bfe_u32 v5, v8, 18, 5
	v_and_b32_e32 v2, 3, v2
	v_cmp_eq_u32_e32 vcc, 0, v5
	v_sub_u32_e32 v3, 30, v15
	v_cndmask_b32_e32 v2, v4, v2, vcc
	v_lshlrev_b32_e32 v4, 8, v8
	v_cndmask_b32_e32 v3, v5, v3, vcc
	v_and_b32_e32 v4, 0x80000000, v4
	v_lshl_add_u32 v3, v3, 23, v4
	v_lshl_or_b32 v2, v2, 21, v3
	v_add_u32_e32 v3, 0x38000000, v2
                                        ; implicit-def: $vgpr4
                                        ; implicit-def: $vgpr2
.LBB2_4959:                             ;   in Loop: Header=BB2_4891 Depth=3
	s_andn2_saveexec_b64 s[36:37], s[36:37]
; %bb.4960:                             ;   in Loop: Header=BB2_4891 Depth=3
	v_cmp_gt_i16_sdwa vcc, sext(v2), v48 src0_sel:BYTE_0 src1_sel:DWORD
	v_cndmask_b32_e32 v2, v7, v0, vcc
	v_cmp_eq_u32_e32 vcc, 0, v4
	v_cndmask_b32_e32 v3, v35, v2, vcc
; %bb.4961:                             ;   in Loop: Header=BB2_4891 Depth=3
	s_or_b64 exec, exec, s[36:37]
.LBB2_4962:                             ;   in Loop: Header=BB2_4891 Depth=3
	s_or_b64 exec, exec, s[42:43]
.LBB2_4963:                             ;   in Loop: Header=BB2_4891 Depth=3
	s_or_b64 exec, exec, s[40:41]
	v_mul_f32_e32 v2, v23, v3
	v_and_b32_e32 v3, 0x7f800000, v2
	v_mov_b32_e32 v4, v29
	v_cmp_ne_u64_e32 vcc, s[76:77], v[3:4]
	v_and_b32_e32 v28, 0x7fffff, v2
                                        ; implicit-def: $vgpr54
	s_and_saveexec_b64 s[40:41], vcc
	s_xor_b64 s[42:43], exec, s[40:41]
	s_cbranch_execz .LBB2_4977
; %bb.4964:                             ;   in Loop: Header=BB2_4891 Depth=3
	v_and_b32_e32 v3, 0x7fffffff, v2
	v_mov_b32_e32 v4, v29
	v_cmp_gt_u64_e32 vcc, s[78:79], v[3:4]
	v_and_b32_sdwa v5, v2, s96 dst_sel:DWORD dst_unused:UNUSED_PAD src0_sel:BYTE_3 src1_sel:DWORD
                                        ; implicit-def: $vgpr54
	s_and_saveexec_b64 s[40:41], vcc
	s_xor_b64 s[36:37], exec, s[40:41]
	s_cbranch_execz .LBB2_4974
; %bb.4965:                             ;   in Loop: Header=BB2_4891 Depth=3
	v_mov_b32_e32 v54, 0
	v_cmp_ne_u32_e32 vcc, 0, v2
	s_and_saveexec_b64 s[38:39], vcc
	s_cbranch_execz .LBB2_4973
; %bb.4966:                             ;   in Loop: Header=BB2_4891 Depth=3
	v_bfe_u32 v15, v2, 23, 8
	v_cmp_gt_u32_e64 s[40:41], s46, v15
	v_sub_u32_e32 v2, 0x71, v15
	v_cmp_eq_u32_e32 vcc, 0, v15
	v_cndmask_b32_e64 v2, 0, v2, s[40:41]
	v_mov_b32_e32 v4, 0x70
	v_cndmask_b32_e32 v17, v2, v4, vcc
	v_add_u32_e32 v4, 21, v17
	v_or_b32_e32 v3, 0x800000, v28
	v_lshlrev_b64 v[37:38], v4, -1
	v_cndmask_b32_e32 v2, v3, v28, vcc
	v_mov_b32_e32 v3, v29
	v_add_u32_e32 v4, 20, v17
	v_bfi_b32 v37, v37, 0, v2
	v_lshlrev_b64 v[52:53], v4, 1
	v_lshrrev_b64 v[2:3], v17, v[2:3]
	v_bfi_b32 v38, v38, 0, 0
	v_cmp_eq_u64_e64 s[40:41], v[37:38], v[52:53]
	v_mov_b32_e32 v4, v3
	v_mov_b32_e32 v3, v2
	s_and_saveexec_b64 s[48:49], s[40:41]
; %bb.4967:                             ;   in Loop: Header=BB2_4891 Depth=3
	v_bfe_u32 v3, v2, 21, 1
	v_add_co_u32_e64 v3, s[40:41], v2, v3
	v_add_co_u32_e64 v3, s[40:41], -1, v3
; %bb.4968:                             ;   in Loop: Header=BB2_4891 Depth=3
	s_or_b64 exec, exec, s[48:49]
	v_add_u32_e32 v4, 0xffffff81, v15
	v_cndmask_b32_e32 v4, v4, v1, vcc
	v_lshrrev_b32_e32 v15, 23, v2
	v_add3_u32 v17, v17, v4, v15
	v_add_u32_e32 v15, 14, v17
	v_and_b32_e32 v3, 0x1fffff, v3
	v_add_u32_e32 v28, v3, v2
	v_cmp_ne_u32_e32 vcc, 0, v15
                                        ; implicit-def: $vgpr2_vgpr3
                                        ; implicit-def: $vgpr4
	s_and_saveexec_b64 s[40:41], vcc
	s_xor_b64 s[40:41], exec, s[40:41]
; %bb.4969:                             ;   in Loop: Header=BB2_4891 Depth=3
	v_cmp_lt_u64_e32 vcc, s[88:89], v[28:29]
	v_add_u32_e32 v2, 15, v17
	v_cndmask_b32_e32 v4, v15, v2, vcc
	v_cndmask_b32_e64 v2, 0, 1, vcc
	v_lshrrev_b64 v[2:3], v2, v[28:29]
; %bb.4970:                             ;   in Loop: Header=BB2_4891 Depth=3
	s_andn2_saveexec_b64 s[40:41], s[40:41]
; %bb.4971:                             ;   in Loop: Header=BB2_4891 Depth=3
	v_mov_b32_e32 v2, v28
	v_mov_b32_e32 v3, v29
	v_bfe_u32 v4, v28, 23, 1
; %bb.4972:                             ;   in Loop: Header=BB2_4891 Depth=3
	s_or_b64 exec, exec, s[40:41]
	v_lshrrev_b64 v[2:3], 21, v[2:3]
	v_cmp_gt_i32_e32 vcc, 32, v4
	v_cndmask_b32_e32 v3, 0, v3, vcc
	v_cndmask_b32_e32 v2, 3, v2, vcc
	v_cmp_eq_u64_e64 s[40:41], 0, v[2:3]
	v_min_i32_e32 v3, 31, v4
	v_lshlrev_b32_e32 v3, 2, v3
	v_cmp_eq_u32_e32 vcc, 0, v4
	v_and_b32_e32 v3, 0xfc, v3
	v_and_or_b32 v2, v2, 3, v3
	s_and_b64 s[40:41], vcc, s[40:41]
	v_cndmask_b32_e64 v2, v2, 0, s[40:41]
	v_or_b32_e32 v54, v2, v5
.LBB2_4973:                             ;   in Loop: Header=BB2_4891 Depth=3
	s_or_b64 exec, exec, s[38:39]
                                        ; implicit-def: $vgpr5
.LBB2_4974:                             ;   in Loop: Header=BB2_4891 Depth=3
	s_andn2_saveexec_b64 s[40:41], s[36:37]
; %bb.4975:                             ;   in Loop: Header=BB2_4891 Depth=3
	v_or_b32_e32 v54, 0x7b, v5
; %bb.4976:                             ;   in Loop: Header=BB2_4891 Depth=3
	s_or_b64 exec, exec, s[40:41]
                                        ; implicit-def: $vgpr2
.LBB2_4977:                             ;   in Loop: Header=BB2_4891 Depth=3
	s_andn2_saveexec_b64 s[40:41], s[42:43]
	s_cbranch_execz .LBB2_4983
; %bb.4978:                             ;   in Loop: Header=BB2_4891 Depth=3
	v_cmp_ne_u64_e32 vcc, 0, v[28:29]
                                        ; implicit-def: $vgpr54
	s_and_saveexec_b64 s[42:43], vcc
	s_xor_b64 s[42:43], exec, s[42:43]
; %bb.4979:                             ;   in Loop: Header=BB2_4891 Depth=3
	v_or_b32_sdwa v54, v2, s47 dst_sel:DWORD dst_unused:UNUSED_PAD src0_sel:BYTE_3 src1_sel:DWORD
                                        ; implicit-def: $vgpr2
; %bb.4980:                             ;   in Loop: Header=BB2_4891 Depth=3
	s_andn2_saveexec_b64 s[42:43], s[42:43]
; %bb.4981:                             ;   in Loop: Header=BB2_4891 Depth=3
	v_cmp_lt_i32_e32 vcc, -1, v2
	v_cndmask_b32_e32 v54, v6, v22, vcc
; %bb.4982:                             ;   in Loop: Header=BB2_4891 Depth=3
	s_or_b64 exec, exec, s[42:43]
.LBB2_4983:                             ;   in Loop: Header=BB2_4891 Depth=3
	s_or_b64 exec, exec, s[40:41]
	v_cmp_lt_u32_e32 vcc, s57, v8
	v_mov_b32_e32 v3, 0
	s_and_saveexec_b64 s[40:41], vcc
	s_cbranch_execz .LBB2_4991
; %bb.4984:                             ;   in Loop: Header=BB2_4891 Depth=3
	v_lshrrev_b32_e32 v2, 24, v8
	v_cmp_ne_u32_e32 vcc, s96, v2
	v_bfrev_b32_e32 v3, 1
	s_and_saveexec_b64 s[42:43], vcc
	s_cbranch_execz .LBB2_4990
; %bb.4985:                             ;   in Loop: Header=BB2_4891 Depth=3
	v_and_b32_e32 v3, 0x7c000000, v8
	v_bfe_u32 v4, v8, 24, 2
	v_cmp_ne_u32_e32 vcc, s45, v3
                                        ; implicit-def: $vgpr3
	s_and_saveexec_b64 s[36:37], vcc
	s_xor_b64 s[36:37], exec, s[36:37]
	s_cbranch_execz .LBB2_4987
; %bb.4986:                             ;   in Loop: Header=BB2_4891 Depth=3
	v_ffbh_u32_e32 v3, v4
	v_min_u32_e32 v15, 32, v3
	v_subrev_u32_e32 v3, 29, v15
	v_lshlrev_b64 v[2:3], v3, v[2:3]
	v_bfe_u32 v5, v8, 26, 5
	v_sub_u32_e32 v3, 30, v15
	v_and_b32_e32 v2, 3, v2
	v_cmp_eq_u32_e32 vcc, 0, v5
	v_cndmask_b32_e32 v3, v5, v3, vcc
	v_cndmask_b32_e32 v2, v4, v2, vcc
	v_and_b32_e32 v4, 0x80000000, v8
	v_lshl_add_u32 v3, v3, 23, v4
	v_lshl_or_b32 v2, v2, 21, v3
	v_add_u32_e32 v3, 0x38000000, v2
                                        ; implicit-def: $vgpr4
.LBB2_4987:                             ;   in Loop: Header=BB2_4891 Depth=3
	s_andn2_saveexec_b64 s[36:37], s[36:37]
; %bb.4988:                             ;   in Loop: Header=BB2_4891 Depth=3
	v_cmp_lt_i32_e32 vcc, -1, v8
	v_cndmask_b32_e32 v2, v7, v0, vcc
	v_cmp_eq_u32_e32 vcc, 0, v4
	v_cndmask_b32_e32 v3, v35, v2, vcc
; %bb.4989:                             ;   in Loop: Header=BB2_4891 Depth=3
	s_or_b64 exec, exec, s[36:37]
.LBB2_4990:                             ;   in Loop: Header=BB2_4891 Depth=3
	s_or_b64 exec, exec, s[42:43]
.LBB2_4991:                             ;   in Loop: Header=BB2_4891 Depth=3
	s_or_b64 exec, exec, s[40:41]
	v_mul_f32_e32 v2, v23, v3
	v_and_b32_e32 v3, 0x7f800000, v2
	v_mov_b32_e32 v4, v29
	v_cmp_ne_u64_e32 vcc, s[76:77], v[3:4]
	v_and_b32_e32 v28, 0x7fffff, v2
                                        ; implicit-def: $vgpr58
	s_and_saveexec_b64 s[40:41], vcc
	s_xor_b64 s[42:43], exec, s[40:41]
	s_cbranch_execz .LBB2_5005
; %bb.4992:                             ;   in Loop: Header=BB2_4891 Depth=3
	v_and_b32_e32 v3, 0x7fffffff, v2
	v_mov_b32_e32 v4, v29
	v_cmp_gt_u64_e32 vcc, s[78:79], v[3:4]
	v_and_b32_sdwa v5, v2, s96 dst_sel:DWORD dst_unused:UNUSED_PAD src0_sel:BYTE_3 src1_sel:DWORD
                                        ; implicit-def: $vgpr58
	s_and_saveexec_b64 s[40:41], vcc
	s_xor_b64 s[36:37], exec, s[40:41]
	s_cbranch_execz .LBB2_5002
; %bb.4993:                             ;   in Loop: Header=BB2_4891 Depth=3
	v_mov_b32_e32 v58, 0
	v_cmp_ne_u32_e32 vcc, 0, v2
	s_and_saveexec_b64 s[38:39], vcc
	s_cbranch_execz .LBB2_5001
; %bb.4994:                             ;   in Loop: Header=BB2_4891 Depth=3
	v_bfe_u32 v15, v2, 23, 8
	v_cmp_gt_u32_e64 s[40:41], s46, v15
	v_sub_u32_e32 v2, 0x71, v15
	v_cmp_eq_u32_e32 vcc, 0, v15
	v_cndmask_b32_e64 v2, 0, v2, s[40:41]
	v_mov_b32_e32 v4, 0x70
	v_cndmask_b32_e32 v17, v2, v4, vcc
	v_add_u32_e32 v4, 21, v17
	v_or_b32_e32 v3, 0x800000, v28
	v_lshlrev_b64 v[37:38], v4, -1
	v_cndmask_b32_e32 v2, v3, v28, vcc
	v_mov_b32_e32 v3, v29
	v_add_u32_e32 v4, 20, v17
	v_bfi_b32 v37, v37, 0, v2
	v_lshlrev_b64 v[52:53], v4, 1
	v_lshrrev_b64 v[2:3], v17, v[2:3]
	v_bfi_b32 v38, v38, 0, 0
	v_cmp_eq_u64_e64 s[40:41], v[37:38], v[52:53]
	v_mov_b32_e32 v4, v3
	v_mov_b32_e32 v3, v2
	s_and_saveexec_b64 s[48:49], s[40:41]
; %bb.4995:                             ;   in Loop: Header=BB2_4891 Depth=3
	v_bfe_u32 v3, v2, 21, 1
	v_add_co_u32_e64 v3, s[40:41], v2, v3
	v_add_co_u32_e64 v3, s[40:41], -1, v3
; %bb.4996:                             ;   in Loop: Header=BB2_4891 Depth=3
	s_or_b64 exec, exec, s[48:49]
	v_add_u32_e32 v4, 0xffffff81, v15
	v_cndmask_b32_e32 v4, v4, v1, vcc
	v_lshrrev_b32_e32 v15, 23, v2
	v_add3_u32 v17, v17, v4, v15
	v_add_u32_e32 v15, 14, v17
	v_and_b32_e32 v3, 0x1fffff, v3
	v_add_u32_e32 v28, v3, v2
	v_cmp_ne_u32_e32 vcc, 0, v15
                                        ; implicit-def: $vgpr2_vgpr3
                                        ; implicit-def: $vgpr4
	s_and_saveexec_b64 s[40:41], vcc
	s_xor_b64 s[40:41], exec, s[40:41]
; %bb.4997:                             ;   in Loop: Header=BB2_4891 Depth=3
	v_cmp_lt_u64_e32 vcc, s[88:89], v[28:29]
	v_add_u32_e32 v2, 15, v17
	v_cndmask_b32_e32 v4, v15, v2, vcc
	v_cndmask_b32_e64 v2, 0, 1, vcc
	v_lshrrev_b64 v[2:3], v2, v[28:29]
; %bb.4998:                             ;   in Loop: Header=BB2_4891 Depth=3
	s_andn2_saveexec_b64 s[40:41], s[40:41]
; %bb.4999:                             ;   in Loop: Header=BB2_4891 Depth=3
	v_mov_b32_e32 v2, v28
	v_mov_b32_e32 v3, v29
	v_bfe_u32 v4, v28, 23, 1
; %bb.5000:                             ;   in Loop: Header=BB2_4891 Depth=3
	s_or_b64 exec, exec, s[40:41]
	v_lshrrev_b64 v[2:3], 21, v[2:3]
	v_cmp_gt_i32_e32 vcc, 32, v4
	v_cndmask_b32_e32 v3, 0, v3, vcc
	v_cndmask_b32_e32 v2, 3, v2, vcc
	v_cmp_eq_u64_e64 s[40:41], 0, v[2:3]
	v_min_i32_e32 v3, 31, v4
	v_lshlrev_b32_e32 v3, 2, v3
	v_cmp_eq_u32_e32 vcc, 0, v4
	v_and_b32_e32 v3, 0xfc, v3
	v_and_or_b32 v2, v2, 3, v3
	s_and_b64 s[40:41], vcc, s[40:41]
	v_cndmask_b32_e64 v2, v2, 0, s[40:41]
	v_or_b32_e32 v58, v2, v5
.LBB2_5001:                             ;   in Loop: Header=BB2_4891 Depth=3
	s_or_b64 exec, exec, s[38:39]
                                        ; implicit-def: $vgpr5
.LBB2_5002:                             ;   in Loop: Header=BB2_4891 Depth=3
	s_andn2_saveexec_b64 s[40:41], s[36:37]
; %bb.5003:                             ;   in Loop: Header=BB2_4891 Depth=3
	v_or_b32_e32 v58, 0x7b, v5
; %bb.5004:                             ;   in Loop: Header=BB2_4891 Depth=3
	s_or_b64 exec, exec, s[40:41]
                                        ; implicit-def: $vgpr2
.LBB2_5005:                             ;   in Loop: Header=BB2_4891 Depth=3
	s_andn2_saveexec_b64 s[40:41], s[42:43]
	s_cbranch_execz .LBB2_5011
; %bb.5006:                             ;   in Loop: Header=BB2_4891 Depth=3
	v_cmp_ne_u64_e32 vcc, 0, v[28:29]
                                        ; implicit-def: $vgpr58
	s_and_saveexec_b64 s[42:43], vcc
	s_xor_b64 s[42:43], exec, s[42:43]
; %bb.5007:                             ;   in Loop: Header=BB2_4891 Depth=3
	v_or_b32_sdwa v58, v2, s47 dst_sel:DWORD dst_unused:UNUSED_PAD src0_sel:BYTE_3 src1_sel:DWORD
                                        ; implicit-def: $vgpr2
; %bb.5008:                             ;   in Loop: Header=BB2_4891 Depth=3
	s_andn2_saveexec_b64 s[42:43], s[42:43]
; %bb.5009:                             ;   in Loop: Header=BB2_4891 Depth=3
	v_cmp_lt_i32_e32 vcc, -1, v2
	v_cndmask_b32_e32 v58, v6, v22, vcc
; %bb.5010:                             ;   in Loop: Header=BB2_4891 Depth=3
	s_or_b64 exec, exec, s[42:43]
.LBB2_5011:                             ;   in Loop: Header=BB2_4891 Depth=3
	s_or_b64 exec, exec, s[40:41]
	v_mov_b32_e32 v28, v9
	v_cmp_ne_u16_sdwa s[42:43], v9, v29 src0_sel:BYTE_0 src1_sel:DWORD
	v_mov_b32_e32 v2, 0
	s_and_saveexec_b64 s[40:41], s[42:43]
	s_cbranch_execz .LBB2_5019
; %bb.5012:                             ;   in Loop: Header=BB2_4891 Depth=3
	v_cmp_ne_u16_sdwa vcc, v9, s96 src0_sel:BYTE_0 src1_sel:DWORD
	v_bfrev_b32_e32 v2, 1
	s_and_saveexec_b64 s[42:43], vcc
	s_cbranch_execz .LBB2_5018
; %bb.5013:                             ;   in Loop: Header=BB2_4891 Depth=3
	v_and_b32_e32 v2, 0x7c, v9
	v_and_b32_e32 v3, 3, v9
	v_cmp_ne_u32_e32 vcc, s85, v2
                                        ; implicit-def: $vgpr2
	s_and_saveexec_b64 s[36:37], vcc
	s_xor_b64 s[36:37], exec, s[36:37]
	s_cbranch_execz .LBB2_5015
; %bb.5014:                             ;   in Loop: Header=BB2_4891 Depth=3
	v_ffbh_u32_e32 v4, v3
	v_min_u32_e32 v15, 32, v4
	v_subrev_u32_e32 v4, 29, v15
	v_lshlrev_b64 v[4:5], v4, v[28:29]
	v_bfe_u32 v2, v9, 2, 5
	v_and_b32_e32 v4, 3, v4
	v_cmp_eq_u32_e32 vcc, 0, v2
	v_sub_u32_e32 v5, 30, v15
	v_cndmask_b32_e32 v3, v3, v4, vcc
	v_lshlrev_b32_e32 v4, 24, v9
	v_cndmask_b32_e32 v2, v2, v5, vcc
	v_and_b32_e32 v4, 0x80000000, v4
	v_lshl_add_u32 v2, v2, 23, v4
	v_lshl_or_b32 v2, v3, 21, v2
	v_add_u32_e32 v2, 0x38000000, v2
                                        ; implicit-def: $vgpr3
.LBB2_5015:                             ;   in Loop: Header=BB2_4891 Depth=3
	s_andn2_saveexec_b64 s[36:37], s[36:37]
; %bb.5016:                             ;   in Loop: Header=BB2_4891 Depth=3
	v_cmp_gt_i16_sdwa vcc, sext(v9), v48 src0_sel:BYTE_0 src1_sel:DWORD
	v_cndmask_b32_e32 v2, v7, v0, vcc
	v_cmp_eq_u32_e32 vcc, 0, v3
	v_cndmask_b32_e32 v2, v35, v2, vcc
; %bb.5017:                             ;   in Loop: Header=BB2_4891 Depth=3
	s_or_b64 exec, exec, s[36:37]
.LBB2_5018:                             ;   in Loop: Header=BB2_4891 Depth=3
	s_or_b64 exec, exec, s[42:43]
.LBB2_5019:                             ;   in Loop: Header=BB2_4891 Depth=3
	s_or_b64 exec, exec, s[40:41]
	v_mul_f32_e32 v4, v23, v2
	v_and_b32_e32 v37, 0x7f800000, v4
	v_mov_b32_e32 v38, v29
	v_cmp_ne_u64_e32 vcc, s[76:77], v[37:38]
	v_and_b32_e32 v2, 0x7fffff, v4
	v_mov_b32_e32 v3, v29
                                        ; implicit-def: $vgpr5
	s_and_saveexec_b64 s[40:41], vcc
	s_xor_b64 s[42:43], exec, s[40:41]
	s_cbranch_execz .LBB2_5033
; %bb.5020:                             ;   in Loop: Header=BB2_4891 Depth=3
	v_and_b32_e32 v37, 0x7fffffff, v4
	v_mov_b32_e32 v38, v29
	v_cmp_gt_u64_e32 vcc, s[78:79], v[37:38]
	v_and_b32_sdwa v15, v4, s96 dst_sel:DWORD dst_unused:UNUSED_PAD src0_sel:BYTE_3 src1_sel:DWORD
                                        ; implicit-def: $vgpr5
	s_and_saveexec_b64 s[40:41], vcc
	s_xor_b64 s[36:37], exec, s[40:41]
	s_cbranch_execz .LBB2_5030
; %bb.5021:                             ;   in Loop: Header=BB2_4891 Depth=3
	v_mov_b32_e32 v5, 0
	v_cmp_ne_u32_e32 vcc, 0, v4
	s_and_saveexec_b64 s[38:39], vcc
	s_cbranch_execz .LBB2_5029
; %bb.5022:                             ;   in Loop: Header=BB2_4891 Depth=3
	v_bfe_u32 v5, v4, 23, 8
	v_cmp_gt_u32_e64 s[40:41], s46, v5
	v_sub_u32_e32 v4, 0x71, v5
	v_cmp_eq_u32_e32 vcc, 0, v5
	v_cndmask_b32_e64 v4, 0, v4, s[40:41]
	v_mov_b32_e32 v17, 0x70
	v_cndmask_b32_e32 v17, v4, v17, vcc
	v_add_u32_e32 v4, 21, v17
	v_or_b32_e32 v30, 0x800000, v2
	v_lshlrev_b64 v[37:38], v4, -1
	v_cndmask_b32_e32 v2, v30, v2, vcc
	v_add_u32_e32 v4, 20, v17
	v_bfi_b32 v37, v37, 0, v2
	v_lshlrev_b64 v[52:53], v4, 1
	v_lshrrev_b64 v[2:3], v17, v[2:3]
	v_bfi_b32 v38, v38, 0, 0
	v_cmp_eq_u64_e64 s[40:41], v[37:38], v[52:53]
	v_mov_b32_e32 v4, v3
	v_mov_b32_e32 v3, v2
	s_and_saveexec_b64 s[48:49], s[40:41]
; %bb.5023:                             ;   in Loop: Header=BB2_4891 Depth=3
	v_bfe_u32 v3, v2, 21, 1
	v_add_co_u32_e64 v3, s[40:41], v2, v3
	v_add_co_u32_e64 v3, s[40:41], -1, v3
; %bb.5024:                             ;   in Loop: Header=BB2_4891 Depth=3
	s_or_b64 exec, exec, s[48:49]
	v_add_u32_e32 v4, 0xffffff81, v5
	v_cndmask_b32_e32 v4, v4, v1, vcc
	v_lshrrev_b32_e32 v5, 23, v2
	v_add3_u32 v17, v17, v4, v5
	v_add_u32_e32 v5, 14, v17
	v_and_b32_e32 v3, 0x1fffff, v3
	v_add_u32_e32 v2, v3, v2
	v_mov_b32_e32 v3, v29
	v_cmp_ne_u32_e32 vcc, 0, v5
                                        ; implicit-def: $vgpr4
	s_and_saveexec_b64 s[40:41], vcc
	s_xor_b64 s[40:41], exec, s[40:41]
; %bb.5025:                             ;   in Loop: Header=BB2_4891 Depth=3
	v_cmp_lt_u64_e32 vcc, s[88:89], v[2:3]
	v_add_u32_e32 v4, 15, v17
	v_cndmask_b32_e32 v4, v5, v4, vcc
	v_cndmask_b32_e64 v5, 0, 1, vcc
	v_lshrrev_b64 v[2:3], v5, v[2:3]
; %bb.5026:                             ;   in Loop: Header=BB2_4891 Depth=3
	s_andn2_saveexec_b64 s[40:41], s[40:41]
; %bb.5027:                             ;   in Loop: Header=BB2_4891 Depth=3
	v_bfe_u32 v4, v2, 23, 1
; %bb.5028:                             ;   in Loop: Header=BB2_4891 Depth=3
	s_or_b64 exec, exec, s[40:41]
	v_lshrrev_b64 v[2:3], 21, v[2:3]
	v_cmp_gt_i32_e32 vcc, 32, v4
	v_cndmask_b32_e32 v3, 0, v3, vcc
	v_cndmask_b32_e32 v2, 3, v2, vcc
	v_cmp_eq_u64_e64 s[40:41], 0, v[2:3]
	v_min_i32_e32 v3, 31, v4
	v_lshlrev_b32_e32 v3, 2, v3
	v_cmp_eq_u32_e32 vcc, 0, v4
	v_and_b32_e32 v3, 0xfc, v3
	v_and_or_b32 v2, v2, 3, v3
	s_and_b64 s[40:41], vcc, s[40:41]
	v_cndmask_b32_e64 v2, v2, 0, s[40:41]
	v_or_b32_e32 v5, v2, v15
.LBB2_5029:                             ;   in Loop: Header=BB2_4891 Depth=3
	s_or_b64 exec, exec, s[38:39]
                                        ; implicit-def: $vgpr15
.LBB2_5030:                             ;   in Loop: Header=BB2_4891 Depth=3
	s_andn2_saveexec_b64 s[40:41], s[36:37]
; %bb.5031:                             ;   in Loop: Header=BB2_4891 Depth=3
	v_or_b32_e32 v5, 0x7b, v15
; %bb.5032:                             ;   in Loop: Header=BB2_4891 Depth=3
	s_or_b64 exec, exec, s[40:41]
                                        ; implicit-def: $vgpr4
                                        ; implicit-def: $vgpr2_vgpr3
.LBB2_5033:                             ;   in Loop: Header=BB2_4891 Depth=3
	s_andn2_saveexec_b64 s[40:41], s[42:43]
	s_cbranch_execz .LBB2_5039
; %bb.5034:                             ;   in Loop: Header=BB2_4891 Depth=3
	v_cmp_ne_u64_e32 vcc, 0, v[2:3]
                                        ; implicit-def: $vgpr5
	s_and_saveexec_b64 s[42:43], vcc
	s_xor_b64 s[42:43], exec, s[42:43]
; %bb.5035:                             ;   in Loop: Header=BB2_4891 Depth=3
	v_or_b32_sdwa v5, v4, s47 dst_sel:DWORD dst_unused:UNUSED_PAD src0_sel:BYTE_3 src1_sel:DWORD
                                        ; implicit-def: $vgpr4
; %bb.5036:                             ;   in Loop: Header=BB2_4891 Depth=3
	s_andn2_saveexec_b64 s[42:43], s[42:43]
; %bb.5037:                             ;   in Loop: Header=BB2_4891 Depth=3
	v_cmp_lt_i32_e32 vcc, -1, v4
	v_cndmask_b32_e32 v5, v6, v22, vcc
; %bb.5038:                             ;   in Loop: Header=BB2_4891 Depth=3
	s_or_b64 exec, exec, s[42:43]
.LBB2_5039:                             ;   in Loop: Header=BB2_4891 Depth=3
	s_or_b64 exec, exec, s[40:41]
	v_lshrrev_b16_e32 v2, 8, v28
	v_cmp_ne_u16_e32 vcc, 0, v2
	v_mov_b32_e32 v3, 0
	s_and_saveexec_b64 s[40:41], vcc
	s_cbranch_execz .LBB2_5047
; %bb.5040:                             ;   in Loop: Header=BB2_4891 Depth=3
	v_cmp_ne_u16_e32 vcc, s96, v2
	v_bfrev_b32_e32 v3, 1
	s_and_saveexec_b64 s[42:43], vcc
	s_cbranch_execz .LBB2_5046
; %bb.5041:                             ;   in Loop: Header=BB2_4891 Depth=3
	v_and_b32_e32 v3, 0x7c, v2
	v_and_b32_e32 v4, 3, v2
	v_cmp_ne_u32_e32 vcc, s85, v3
                                        ; implicit-def: $vgpr3
	s_and_saveexec_b64 s[36:37], vcc
	s_xor_b64 s[36:37], exec, s[36:37]
	s_cbranch_execz .LBB2_5043
; %bb.5042:                             ;   in Loop: Header=BB2_4891 Depth=3
	v_ffbh_u32_e32 v17, v4
	v_min_u32_e32 v17, 32, v17
	v_mov_b32_e32 v3, v29
	v_subrev_u32_e32 v30, 29, v17
	v_bfe_u32 v15, v2, 2, 5
	v_lshlrev_b64 v[2:3], v30, v[2:3]
	v_cmp_eq_u32_e32 vcc, 0, v15
	v_and_b32_e32 v2, 3, v2
	v_sub_u32_e32 v3, 30, v17
	v_cndmask_b32_e32 v2, v4, v2, vcc
	v_lshlrev_b32_e32 v4, 16, v28
	v_cndmask_b32_e32 v3, v15, v3, vcc
	v_and_b32_e32 v4, 0x80000000, v4
	v_lshl_add_u32 v3, v3, 23, v4
	v_lshl_or_b32 v2, v2, 21, v3
	v_add_u32_e32 v3, 0x38000000, v2
                                        ; implicit-def: $vgpr4
.LBB2_5043:                             ;   in Loop: Header=BB2_4891 Depth=3
	s_andn2_saveexec_b64 s[36:37], s[36:37]
; %bb.5044:                             ;   in Loop: Header=BB2_4891 Depth=3
	v_cmp_lt_i16_e32 vcc, -1, v28
	v_cndmask_b32_e32 v2, v7, v0, vcc
	v_cmp_eq_u32_e32 vcc, 0, v4
	v_cndmask_b32_e32 v3, v35, v2, vcc
; %bb.5045:                             ;   in Loop: Header=BB2_4891 Depth=3
	s_or_b64 exec, exec, s[36:37]
.LBB2_5046:                             ;   in Loop: Header=BB2_4891 Depth=3
	s_or_b64 exec, exec, s[42:43]
.LBB2_5047:                             ;   in Loop: Header=BB2_4891 Depth=3
	s_or_b64 exec, exec, s[40:41]
	v_mul_f32_e32 v2, v23, v3
	v_and_b32_e32 v3, 0x7f800000, v2
	v_mov_b32_e32 v4, v29
	v_cmp_ne_u64_e32 vcc, s[76:77], v[3:4]
	v_and_b32_e32 v28, 0x7fffff, v2
                                        ; implicit-def: $vgpr15
	s_and_saveexec_b64 s[40:41], vcc
	s_xor_b64 s[42:43], exec, s[40:41]
	s_cbranch_execz .LBB2_5061
; %bb.5048:                             ;   in Loop: Header=BB2_4891 Depth=3
	v_and_b32_e32 v3, 0x7fffffff, v2
	v_mov_b32_e32 v4, v29
	v_cmp_gt_u64_e32 vcc, s[78:79], v[3:4]
	v_and_b32_sdwa v17, v2, s96 dst_sel:DWORD dst_unused:UNUSED_PAD src0_sel:BYTE_3 src1_sel:DWORD
                                        ; implicit-def: $vgpr15
	s_and_saveexec_b64 s[40:41], vcc
	s_xor_b64 s[36:37], exec, s[40:41]
	s_cbranch_execz .LBB2_5058
; %bb.5049:                             ;   in Loop: Header=BB2_4891 Depth=3
	v_mov_b32_e32 v15, 0
	v_cmp_ne_u32_e32 vcc, 0, v2
	s_and_saveexec_b64 s[38:39], vcc
	s_cbranch_execz .LBB2_5057
; %bb.5050:                             ;   in Loop: Header=BB2_4891 Depth=3
	v_bfe_u32 v15, v2, 23, 8
	v_cmp_gt_u32_e64 s[40:41], s46, v15
	v_sub_u32_e32 v2, 0x71, v15
	v_cmp_eq_u32_e32 vcc, 0, v15
	v_cndmask_b32_e64 v2, 0, v2, s[40:41]
	v_mov_b32_e32 v4, 0x70
	v_cndmask_b32_e32 v30, v2, v4, vcc
	v_add_u32_e32 v4, 21, v30
	v_or_b32_e32 v3, 0x800000, v28
	v_lshlrev_b64 v[37:38], v4, -1
	v_cndmask_b32_e32 v2, v3, v28, vcc
	v_mov_b32_e32 v3, v29
	v_add_u32_e32 v4, 20, v30
	v_bfi_b32 v37, v37, 0, v2
	v_lshlrev_b64 v[52:53], v4, 1
	v_lshrrev_b64 v[2:3], v30, v[2:3]
	v_bfi_b32 v38, v38, 0, 0
	v_cmp_eq_u64_e64 s[40:41], v[37:38], v[52:53]
	v_mov_b32_e32 v4, v3
	v_mov_b32_e32 v3, v2
	s_and_saveexec_b64 s[48:49], s[40:41]
; %bb.5051:                             ;   in Loop: Header=BB2_4891 Depth=3
	v_bfe_u32 v3, v2, 21, 1
	v_add_co_u32_e64 v3, s[40:41], v2, v3
	v_add_co_u32_e64 v3, s[40:41], -1, v3
; %bb.5052:                             ;   in Loop: Header=BB2_4891 Depth=3
	s_or_b64 exec, exec, s[48:49]
	v_add_u32_e32 v4, 0xffffff81, v15
	v_cndmask_b32_e32 v4, v4, v1, vcc
	v_lshrrev_b32_e32 v15, 23, v2
	v_add3_u32 v30, v30, v4, v15
	v_add_u32_e32 v15, 14, v30
	v_and_b32_e32 v3, 0x1fffff, v3
	v_add_u32_e32 v28, v3, v2
	v_cmp_ne_u32_e32 vcc, 0, v15
                                        ; implicit-def: $vgpr2_vgpr3
                                        ; implicit-def: $vgpr4
	s_and_saveexec_b64 s[40:41], vcc
	s_xor_b64 s[40:41], exec, s[40:41]
; %bb.5053:                             ;   in Loop: Header=BB2_4891 Depth=3
	v_cmp_lt_u64_e32 vcc, s[88:89], v[28:29]
	v_add_u32_e32 v2, 15, v30
	v_cndmask_b32_e32 v4, v15, v2, vcc
	v_cndmask_b32_e64 v2, 0, 1, vcc
	v_lshrrev_b64 v[2:3], v2, v[28:29]
; %bb.5054:                             ;   in Loop: Header=BB2_4891 Depth=3
	s_andn2_saveexec_b64 s[40:41], s[40:41]
; %bb.5055:                             ;   in Loop: Header=BB2_4891 Depth=3
	v_mov_b32_e32 v2, v28
	v_mov_b32_e32 v3, v29
	v_bfe_u32 v4, v28, 23, 1
; %bb.5056:                             ;   in Loop: Header=BB2_4891 Depth=3
	s_or_b64 exec, exec, s[40:41]
	v_lshrrev_b64 v[2:3], 21, v[2:3]
	v_cmp_gt_i32_e32 vcc, 32, v4
	v_cndmask_b32_e32 v3, 0, v3, vcc
	v_cndmask_b32_e32 v2, 3, v2, vcc
	v_cmp_eq_u64_e64 s[40:41], 0, v[2:3]
	v_min_i32_e32 v3, 31, v4
	v_lshlrev_b32_e32 v3, 2, v3
	v_cmp_eq_u32_e32 vcc, 0, v4
	v_and_b32_e32 v3, 0xfc, v3
	v_and_or_b32 v2, v2, 3, v3
	s_and_b64 s[40:41], vcc, s[40:41]
	v_cndmask_b32_e64 v2, v2, 0, s[40:41]
	v_or_b32_e32 v15, v2, v17
.LBB2_5057:                             ;   in Loop: Header=BB2_4891 Depth=3
	s_or_b64 exec, exec, s[38:39]
                                        ; implicit-def: $vgpr17
.LBB2_5058:                             ;   in Loop: Header=BB2_4891 Depth=3
	s_andn2_saveexec_b64 s[40:41], s[36:37]
; %bb.5059:                             ;   in Loop: Header=BB2_4891 Depth=3
	v_or_b32_e32 v15, 0x7b, v17
; %bb.5060:                             ;   in Loop: Header=BB2_4891 Depth=3
	s_or_b64 exec, exec, s[40:41]
                                        ; implicit-def: $vgpr2
.LBB2_5061:                             ;   in Loop: Header=BB2_4891 Depth=3
	s_andn2_saveexec_b64 s[40:41], s[42:43]
	s_cbranch_execz .LBB2_5067
; %bb.5062:                             ;   in Loop: Header=BB2_4891 Depth=3
	v_cmp_ne_u64_e32 vcc, 0, v[28:29]
                                        ; implicit-def: $vgpr15
	s_and_saveexec_b64 s[42:43], vcc
	s_xor_b64 s[42:43], exec, s[42:43]
; %bb.5063:                             ;   in Loop: Header=BB2_4891 Depth=3
	v_or_b32_sdwa v15, v2, s47 dst_sel:DWORD dst_unused:UNUSED_PAD src0_sel:BYTE_3 src1_sel:DWORD
                                        ; implicit-def: $vgpr2
; %bb.5064:                             ;   in Loop: Header=BB2_4891 Depth=3
	s_andn2_saveexec_b64 s[42:43], s[42:43]
; %bb.5065:                             ;   in Loop: Header=BB2_4891 Depth=3
	v_cmp_lt_i32_e32 vcc, -1, v2
	v_cndmask_b32_e32 v15, v6, v22, vcc
; %bb.5066:                             ;   in Loop: Header=BB2_4891 Depth=3
	s_or_b64 exec, exec, s[42:43]
.LBB2_5067:                             ;   in Loop: Header=BB2_4891 Depth=3
	s_or_b64 exec, exec, s[40:41]
	v_lshrrev_b32_e32 v2, 16, v9
	v_cmp_ne_u16_sdwa s[42:43], v2, v29 src0_sel:BYTE_0 src1_sel:DWORD
	v_mov_b32_e32 v3, 0
	s_and_saveexec_b64 s[40:41], s[42:43]
	s_cbranch_execz .LBB2_5075
; %bb.5068:                             ;   in Loop: Header=BB2_4891 Depth=3
	v_cmp_ne_u16_sdwa vcc, v2, s96 src0_sel:BYTE_0 src1_sel:DWORD
	v_bfrev_b32_e32 v3, 1
	s_and_saveexec_b64 s[42:43], vcc
	s_cbranch_execz .LBB2_5074
; %bb.5069:                             ;   in Loop: Header=BB2_4891 Depth=3
	v_and_b32_e32 v3, 0x7c0000, v9
	v_bfe_u32 v4, v9, 16, 2
	v_cmp_ne_u32_e32 vcc, s44, v3
                                        ; implicit-def: $vgpr3
	s_and_saveexec_b64 s[36:37], vcc
	s_xor_b64 s[36:37], exec, s[36:37]
	s_cbranch_execz .LBB2_5071
; %bb.5070:                             ;   in Loop: Header=BB2_4891 Depth=3
	v_ffbh_u32_e32 v3, v4
	v_min_u32_e32 v28, 32, v3
	v_subrev_u32_e32 v3, 29, v28
	v_lshlrev_b64 v[2:3], v3, v[2:3]
	v_bfe_u32 v17, v9, 18, 5
	v_and_b32_e32 v2, 3, v2
	v_cmp_eq_u32_e32 vcc, 0, v17
	v_sub_u32_e32 v3, 30, v28
	v_cndmask_b32_e32 v2, v4, v2, vcc
	v_lshlrev_b32_e32 v4, 8, v9
	v_cndmask_b32_e32 v3, v17, v3, vcc
	v_and_b32_e32 v4, 0x80000000, v4
	v_lshl_add_u32 v3, v3, 23, v4
	v_lshl_or_b32 v2, v2, 21, v3
	v_add_u32_e32 v3, 0x38000000, v2
                                        ; implicit-def: $vgpr4
                                        ; implicit-def: $vgpr2
.LBB2_5071:                             ;   in Loop: Header=BB2_4891 Depth=3
	s_andn2_saveexec_b64 s[36:37], s[36:37]
; %bb.5072:                             ;   in Loop: Header=BB2_4891 Depth=3
	v_cmp_gt_i16_sdwa vcc, sext(v2), v48 src0_sel:BYTE_0 src1_sel:DWORD
	v_cndmask_b32_e32 v2, v7, v0, vcc
	v_cmp_eq_u32_e32 vcc, 0, v4
	v_cndmask_b32_e32 v3, v35, v2, vcc
; %bb.5073:                             ;   in Loop: Header=BB2_4891 Depth=3
	s_or_b64 exec, exec, s[36:37]
.LBB2_5074:                             ;   in Loop: Header=BB2_4891 Depth=3
	s_or_b64 exec, exec, s[42:43]
.LBB2_5075:                             ;   in Loop: Header=BB2_4891 Depth=3
	s_or_b64 exec, exec, s[40:41]
	v_mul_f32_e32 v2, v23, v3
	v_and_b32_e32 v3, 0x7f800000, v2
	v_mov_b32_e32 v4, v29
	v_cmp_ne_u64_e32 vcc, s[76:77], v[3:4]
	v_and_b32_e32 v28, 0x7fffff, v2
                                        ; implicit-def: $vgpr61
	s_and_saveexec_b64 s[40:41], vcc
	s_xor_b64 s[42:43], exec, s[40:41]
	s_cbranch_execz .LBB2_5089
; %bb.5076:                             ;   in Loop: Header=BB2_4891 Depth=3
	v_and_b32_e32 v3, 0x7fffffff, v2
	v_mov_b32_e32 v4, v29
	v_cmp_gt_u64_e32 vcc, s[78:79], v[3:4]
	v_and_b32_sdwa v17, v2, s96 dst_sel:DWORD dst_unused:UNUSED_PAD src0_sel:BYTE_3 src1_sel:DWORD
                                        ; implicit-def: $vgpr61
	s_and_saveexec_b64 s[40:41], vcc
	s_xor_b64 s[36:37], exec, s[40:41]
	s_cbranch_execz .LBB2_5086
; %bb.5077:                             ;   in Loop: Header=BB2_4891 Depth=3
	v_mov_b32_e32 v61, 0
	v_cmp_ne_u32_e32 vcc, 0, v2
	s_and_saveexec_b64 s[38:39], vcc
	s_cbranch_execz .LBB2_5085
; %bb.5078:                             ;   in Loop: Header=BB2_4891 Depth=3
	v_bfe_u32 v30, v2, 23, 8
	v_cmp_gt_u32_e64 s[40:41], s46, v30
	v_sub_u32_e32 v2, 0x71, v30
	v_cmp_eq_u32_e32 vcc, 0, v30
	v_cndmask_b32_e64 v2, 0, v2, s[40:41]
	v_mov_b32_e32 v4, 0x70
	v_cndmask_b32_e32 v37, v2, v4, vcc
	v_add_u32_e32 v4, 21, v37
	v_or_b32_e32 v3, 0x800000, v28
	v_lshlrev_b64 v[38:39], v4, -1
	v_cndmask_b32_e32 v2, v3, v28, vcc
	v_mov_b32_e32 v3, v29
	v_add_u32_e32 v4, 20, v37
	v_bfi_b32 v38, v38, 0, v2
	v_lshlrev_b64 v[52:53], v4, 1
	v_lshrrev_b64 v[2:3], v37, v[2:3]
	v_bfi_b32 v39, v39, 0, 0
	v_cmp_eq_u64_e64 s[40:41], v[38:39], v[52:53]
	v_mov_b32_e32 v4, v3
	v_mov_b32_e32 v3, v2
	s_and_saveexec_b64 s[48:49], s[40:41]
; %bb.5079:                             ;   in Loop: Header=BB2_4891 Depth=3
	v_bfe_u32 v3, v2, 21, 1
	v_add_co_u32_e64 v3, s[40:41], v2, v3
	v_add_co_u32_e64 v3, s[40:41], -1, v3
; %bb.5080:                             ;   in Loop: Header=BB2_4891 Depth=3
	s_or_b64 exec, exec, s[48:49]
	v_add_u32_e32 v4, 0xffffff81, v30
	v_cndmask_b32_e32 v4, v4, v1, vcc
	v_lshrrev_b32_e32 v28, 23, v2
	v_add3_u32 v37, v37, v4, v28
	v_add_u32_e32 v30, 14, v37
	v_and_b32_e32 v3, 0x1fffff, v3
	v_add_u32_e32 v28, v3, v2
	v_cmp_ne_u32_e32 vcc, 0, v30
                                        ; implicit-def: $vgpr2_vgpr3
                                        ; implicit-def: $vgpr4
	s_and_saveexec_b64 s[40:41], vcc
	s_xor_b64 s[40:41], exec, s[40:41]
; %bb.5081:                             ;   in Loop: Header=BB2_4891 Depth=3
	v_cmp_lt_u64_e32 vcc, s[88:89], v[28:29]
	v_add_u32_e32 v2, 15, v37
	v_cndmask_b32_e32 v4, v30, v2, vcc
	v_cndmask_b32_e64 v2, 0, 1, vcc
	v_lshrrev_b64 v[2:3], v2, v[28:29]
; %bb.5082:                             ;   in Loop: Header=BB2_4891 Depth=3
	s_andn2_saveexec_b64 s[40:41], s[40:41]
; %bb.5083:                             ;   in Loop: Header=BB2_4891 Depth=3
	v_mov_b32_e32 v2, v28
	v_mov_b32_e32 v3, v29
	v_bfe_u32 v4, v28, 23, 1
; %bb.5084:                             ;   in Loop: Header=BB2_4891 Depth=3
	s_or_b64 exec, exec, s[40:41]
	v_lshrrev_b64 v[2:3], 21, v[2:3]
	v_cmp_gt_i32_e32 vcc, 32, v4
	v_cndmask_b32_e32 v3, 0, v3, vcc
	v_cndmask_b32_e32 v2, 3, v2, vcc
	v_cmp_eq_u64_e64 s[40:41], 0, v[2:3]
	v_min_i32_e32 v3, 31, v4
	v_lshlrev_b32_e32 v3, 2, v3
	v_cmp_eq_u32_e32 vcc, 0, v4
	v_and_b32_e32 v3, 0xfc, v3
	v_and_or_b32 v2, v2, 3, v3
	s_and_b64 s[40:41], vcc, s[40:41]
	v_cndmask_b32_e64 v2, v2, 0, s[40:41]
	v_or_b32_e32 v61, v2, v17
.LBB2_5085:                             ;   in Loop: Header=BB2_4891 Depth=3
	s_or_b64 exec, exec, s[38:39]
                                        ; implicit-def: $vgpr17
.LBB2_5086:                             ;   in Loop: Header=BB2_4891 Depth=3
	s_andn2_saveexec_b64 s[40:41], s[36:37]
; %bb.5087:                             ;   in Loop: Header=BB2_4891 Depth=3
	v_or_b32_e32 v61, 0x7b, v17
; %bb.5088:                             ;   in Loop: Header=BB2_4891 Depth=3
	s_or_b64 exec, exec, s[40:41]
                                        ; implicit-def: $vgpr2
.LBB2_5089:                             ;   in Loop: Header=BB2_4891 Depth=3
	s_andn2_saveexec_b64 s[40:41], s[42:43]
	s_cbranch_execz .LBB2_5095
; %bb.5090:                             ;   in Loop: Header=BB2_4891 Depth=3
	v_cmp_ne_u64_e32 vcc, 0, v[28:29]
                                        ; implicit-def: $vgpr61
	s_and_saveexec_b64 s[42:43], vcc
	s_xor_b64 s[42:43], exec, s[42:43]
; %bb.5091:                             ;   in Loop: Header=BB2_4891 Depth=3
	v_or_b32_sdwa v61, v2, s47 dst_sel:DWORD dst_unused:UNUSED_PAD src0_sel:BYTE_3 src1_sel:DWORD
                                        ; implicit-def: $vgpr2
; %bb.5092:                             ;   in Loop: Header=BB2_4891 Depth=3
	s_andn2_saveexec_b64 s[42:43], s[42:43]
; %bb.5093:                             ;   in Loop: Header=BB2_4891 Depth=3
	v_cmp_lt_i32_e32 vcc, -1, v2
	v_cndmask_b32_e32 v61, v6, v22, vcc
; %bb.5094:                             ;   in Loop: Header=BB2_4891 Depth=3
	s_or_b64 exec, exec, s[42:43]
.LBB2_5095:                             ;   in Loop: Header=BB2_4891 Depth=3
	s_or_b64 exec, exec, s[40:41]
	v_cmp_lt_u64_e32 vcc, s[56:57], v[8:9]
	v_mov_b32_e32 v3, 0
	s_and_saveexec_b64 s[40:41], vcc
	s_cbranch_execz .LBB2_5103
; %bb.5096:                             ;   in Loop: Header=BB2_4891 Depth=3
	v_lshrrev_b32_e32 v2, 24, v9
	v_cmp_ne_u32_e32 vcc, s96, v2
	v_bfrev_b32_e32 v3, 1
	s_and_saveexec_b64 s[42:43], vcc
	s_cbranch_execz .LBB2_5102
; %bb.5097:                             ;   in Loop: Header=BB2_4891 Depth=3
	v_and_b32_e32 v3, 0x7c000000, v9
	v_bfe_u32 v4, v9, 24, 2
	v_cmp_ne_u32_e32 vcc, s45, v3
                                        ; implicit-def: $vgpr3
	s_and_saveexec_b64 s[36:37], vcc
	s_xor_b64 s[36:37], exec, s[36:37]
	s_cbranch_execz .LBB2_5099
; %bb.5098:                             ;   in Loop: Header=BB2_4891 Depth=3
	v_ffbh_u32_e32 v3, v4
	v_min_u32_e32 v28, 32, v3
	v_subrev_u32_e32 v3, 29, v28
	v_lshlrev_b64 v[2:3], v3, v[2:3]
	v_bfe_u32 v17, v9, 26, 5
	v_sub_u32_e32 v3, 30, v28
	v_and_b32_e32 v2, 3, v2
	v_cmp_eq_u32_e32 vcc, 0, v17
	v_cndmask_b32_e32 v3, v17, v3, vcc
	v_cndmask_b32_e32 v2, v4, v2, vcc
	v_and_b32_e32 v4, 0x80000000, v9
	v_lshl_add_u32 v3, v3, 23, v4
	v_lshl_or_b32 v2, v2, 21, v3
	v_add_u32_e32 v3, 0x38000000, v2
                                        ; implicit-def: $vgpr4
.LBB2_5099:                             ;   in Loop: Header=BB2_4891 Depth=3
	s_andn2_saveexec_b64 s[36:37], s[36:37]
; %bb.5100:                             ;   in Loop: Header=BB2_4891 Depth=3
	v_cmp_lt_i64_e32 vcc, -1, v[8:9]
	v_cndmask_b32_e32 v2, v7, v0, vcc
	v_cmp_eq_u32_e32 vcc, 0, v4
	v_cndmask_b32_e32 v3, v35, v2, vcc
; %bb.5101:                             ;   in Loop: Header=BB2_4891 Depth=3
	s_or_b64 exec, exec, s[36:37]
.LBB2_5102:                             ;   in Loop: Header=BB2_4891 Depth=3
	s_or_b64 exec, exec, s[42:43]
.LBB2_5103:                             ;   in Loop: Header=BB2_4891 Depth=3
	s_or_b64 exec, exec, s[40:41]
	v_mul_f32_e32 v2, v23, v3
	v_and_b32_e32 v3, 0x7f800000, v2
	v_mov_b32_e32 v4, v29
	v_cmp_ne_u64_e32 vcc, s[76:77], v[3:4]
	v_and_b32_e32 v28, 0x7fffff, v2
                                        ; implicit-def: $vgpr30
	s_and_saveexec_b64 s[40:41], vcc
	s_xor_b64 s[42:43], exec, s[40:41]
	s_cbranch_execz .LBB2_5117
; %bb.5104:                             ;   in Loop: Header=BB2_4891 Depth=3
	v_and_b32_e32 v3, 0x7fffffff, v2
	v_mov_b32_e32 v4, v29
	v_cmp_gt_u64_e32 vcc, s[78:79], v[3:4]
	v_and_b32_sdwa v8, v2, s96 dst_sel:DWORD dst_unused:UNUSED_PAD src0_sel:BYTE_3 src1_sel:DWORD
                                        ; implicit-def: $vgpr30
	s_and_saveexec_b64 s[40:41], vcc
	s_xor_b64 s[36:37], exec, s[40:41]
	s_cbranch_execz .LBB2_5114
; %bb.5105:                             ;   in Loop: Header=BB2_4891 Depth=3
	v_mov_b32_e32 v30, 0
	v_cmp_ne_u32_e32 vcc, 0, v2
	s_and_saveexec_b64 s[38:39], vcc
	s_cbranch_execz .LBB2_5113
; %bb.5106:                             ;   in Loop: Header=BB2_4891 Depth=3
	v_bfe_u32 v9, v2, 23, 8
	v_cmp_gt_u32_e64 s[40:41], s46, v9
	v_sub_u32_e32 v2, 0x71, v9
	v_cmp_eq_u32_e32 vcc, 0, v9
	v_cndmask_b32_e64 v2, 0, v2, s[40:41]
	v_mov_b32_e32 v4, 0x70
	v_cndmask_b32_e32 v17, v2, v4, vcc
	v_add_u32_e32 v4, 21, v17
	v_or_b32_e32 v3, 0x800000, v28
	v_lshlrev_b64 v[37:38], v4, -1
	v_cndmask_b32_e32 v2, v3, v28, vcc
	v_mov_b32_e32 v3, v29
	v_add_u32_e32 v4, 20, v17
	v_bfi_b32 v37, v37, 0, v2
	v_lshlrev_b64 v[52:53], v4, 1
	v_lshrrev_b64 v[2:3], v17, v[2:3]
	v_bfi_b32 v38, v38, 0, 0
	v_cmp_eq_u64_e64 s[40:41], v[37:38], v[52:53]
	v_mov_b32_e32 v4, v3
	v_mov_b32_e32 v3, v2
	s_and_saveexec_b64 s[48:49], s[40:41]
; %bb.5107:                             ;   in Loop: Header=BB2_4891 Depth=3
	v_bfe_u32 v3, v2, 21, 1
	v_add_co_u32_e64 v3, s[40:41], v2, v3
	v_add_co_u32_e64 v3, s[40:41], -1, v3
; %bb.5108:                             ;   in Loop: Header=BB2_4891 Depth=3
	s_or_b64 exec, exec, s[48:49]
	v_add_u32_e32 v4, 0xffffff81, v9
	v_cndmask_b32_e32 v4, v4, v1, vcc
	v_lshrrev_b32_e32 v9, 23, v2
	v_add3_u32 v17, v17, v4, v9
	v_add_u32_e32 v9, 14, v17
	v_and_b32_e32 v3, 0x1fffff, v3
	v_add_u32_e32 v28, v3, v2
	v_cmp_ne_u32_e32 vcc, 0, v9
                                        ; implicit-def: $vgpr2_vgpr3
                                        ; implicit-def: $vgpr4
	s_and_saveexec_b64 s[40:41], vcc
	s_xor_b64 s[40:41], exec, s[40:41]
; %bb.5109:                             ;   in Loop: Header=BB2_4891 Depth=3
	v_cmp_lt_u64_e32 vcc, s[88:89], v[28:29]
	v_add_u32_e32 v2, 15, v17
	v_cndmask_b32_e32 v4, v9, v2, vcc
	v_cndmask_b32_e64 v2, 0, 1, vcc
	v_lshrrev_b64 v[2:3], v2, v[28:29]
; %bb.5110:                             ;   in Loop: Header=BB2_4891 Depth=3
	s_andn2_saveexec_b64 s[40:41], s[40:41]
; %bb.5111:                             ;   in Loop: Header=BB2_4891 Depth=3
	v_mov_b32_e32 v2, v28
	v_mov_b32_e32 v3, v29
	v_bfe_u32 v4, v28, 23, 1
; %bb.5112:                             ;   in Loop: Header=BB2_4891 Depth=3
	s_or_b64 exec, exec, s[40:41]
	v_lshrrev_b64 v[2:3], 21, v[2:3]
	v_cmp_gt_i32_e32 vcc, 32, v4
	v_cndmask_b32_e32 v3, 0, v3, vcc
	v_cndmask_b32_e32 v2, 3, v2, vcc
	v_cmp_eq_u64_e64 s[40:41], 0, v[2:3]
	v_min_i32_e32 v3, 31, v4
	v_lshlrev_b32_e32 v3, 2, v3
	v_cmp_eq_u32_e32 vcc, 0, v4
	v_and_b32_e32 v3, 0xfc, v3
	v_and_or_b32 v2, v2, 3, v3
	s_and_b64 s[40:41], vcc, s[40:41]
	v_cndmask_b32_e64 v2, v2, 0, s[40:41]
	v_or_b32_e32 v30, v2, v8
.LBB2_5113:                             ;   in Loop: Header=BB2_4891 Depth=3
	s_or_b64 exec, exec, s[38:39]
                                        ; implicit-def: $vgpr8
.LBB2_5114:                             ;   in Loop: Header=BB2_4891 Depth=3
	s_andn2_saveexec_b64 s[40:41], s[36:37]
; %bb.5115:                             ;   in Loop: Header=BB2_4891 Depth=3
	v_or_b32_e32 v30, 0x7b, v8
; %bb.5116:                             ;   in Loop: Header=BB2_4891 Depth=3
	s_or_b64 exec, exec, s[40:41]
                                        ; implicit-def: $vgpr2
.LBB2_5117:                             ;   in Loop: Header=BB2_4891 Depth=3
	s_andn2_saveexec_b64 s[40:41], s[42:43]
	s_cbranch_execz .LBB2_5123
; %bb.5118:                             ;   in Loop: Header=BB2_4891 Depth=3
	v_cmp_ne_u64_e32 vcc, 0, v[28:29]
                                        ; implicit-def: $vgpr30
	s_and_saveexec_b64 s[42:43], vcc
	s_xor_b64 s[42:43], exec, s[42:43]
; %bb.5119:                             ;   in Loop: Header=BB2_4891 Depth=3
	v_or_b32_sdwa v30, v2, s47 dst_sel:DWORD dst_unused:UNUSED_PAD src0_sel:BYTE_3 src1_sel:DWORD
                                        ; implicit-def: $vgpr2
; %bb.5120:                             ;   in Loop: Header=BB2_4891 Depth=3
	s_andn2_saveexec_b64 s[42:43], s[42:43]
; %bb.5121:                             ;   in Loop: Header=BB2_4891 Depth=3
	v_cmp_lt_i32_e32 vcc, -1, v2
	v_cndmask_b32_e32 v30, v6, v22, vcc
; %bb.5122:                             ;   in Loop: Header=BB2_4891 Depth=3
	s_or_b64 exec, exec, s[42:43]
.LBB2_5123:                             ;   in Loop: Header=BB2_4891 Depth=3
	s_or_b64 exec, exec, s[40:41]
	v_cmp_ne_u16_sdwa s[42:43], v10, v29 src0_sel:BYTE_0 src1_sel:DWORD
	v_mov_b32_e32 v2, 0
	s_and_saveexec_b64 s[40:41], s[42:43]
	s_cbranch_execz .LBB2_5131
; %bb.5124:                             ;   in Loop: Header=BB2_4891 Depth=3
	v_cmp_ne_u16_sdwa vcc, sext(v10), s97 src0_sel:BYTE_0 src1_sel:DWORD
	v_bfrev_b32_e32 v2, 1
	s_and_saveexec_b64 s[42:43], vcc
	s_cbranch_execz .LBB2_5130
; %bb.5125:                             ;   in Loop: Header=BB2_4891 Depth=3
	v_and_b32_e32 v2, 0x7c, v10
	v_and_b32_e32 v3, 3, v10
	v_cmp_ne_u32_e32 vcc, s85, v2
                                        ; implicit-def: $vgpr2
	s_and_saveexec_b64 s[36:37], vcc
	s_xor_b64 s[36:37], exec, s[36:37]
	s_cbranch_execz .LBB2_5127
; %bb.5126:                             ;   in Loop: Header=BB2_4891 Depth=3
	v_ffbh_u32_e32 v4, v3
	v_min_u32_e32 v4, 32, v4
	v_bfe_u32 v2, v10, 2, 5
	v_subrev_u32_e32 v8, 29, v4
	v_lshlrev_b64 v[8:9], v8, v[10:11]
	v_sub_u32_e32 v4, 30, v4
	v_cmp_eq_u32_e32 vcc, 0, v2
	v_cndmask_b32_e32 v2, v2, v4, vcc
	v_lshlrev_b32_e32 v4, 24, v10
	v_and_b32_e32 v8, 3, v8
	v_and_b32_e32 v4, 0x80000000, v4
	v_cndmask_b32_e32 v3, v3, v8, vcc
	v_lshl_add_u32 v2, v2, 23, v4
	v_lshl_or_b32 v2, v3, 21, v2
	v_add_u32_e32 v2, 0x38000000, v2
                                        ; implicit-def: $vgpr3
.LBB2_5127:                             ;   in Loop: Header=BB2_4891 Depth=3
	s_andn2_saveexec_b64 s[36:37], s[36:37]
; %bb.5128:                             ;   in Loop: Header=BB2_4891 Depth=3
	v_cmp_gt_i16_sdwa vcc, sext(v10), v48 src0_sel:BYTE_0 src1_sel:DWORD
	v_cndmask_b32_e32 v2, v7, v0, vcc
	v_cmp_eq_u32_e32 vcc, 0, v3
	v_cndmask_b32_e32 v2, v35, v2, vcc
; %bb.5129:                             ;   in Loop: Header=BB2_4891 Depth=3
	s_or_b64 exec, exec, s[36:37]
.LBB2_5130:                             ;   in Loop: Header=BB2_4891 Depth=3
	s_or_b64 exec, exec, s[42:43]
.LBB2_5131:                             ;   in Loop: Header=BB2_4891 Depth=3
	s_or_b64 exec, exec, s[40:41]
	v_mul_f32_e32 v2, v23, v2
	v_and_b32_e32 v3, 0x7f800000, v2
	v_mov_b32_e32 v4, v29
	v_cmp_ne_u64_e32 vcc, s[76:77], v[3:4]
	v_and_b32_e32 v28, 0x7fffff, v2
                                        ; implicit-def: $vgpr52
	s_and_saveexec_b64 s[40:41], vcc
	s_xor_b64 s[42:43], exec, s[40:41]
	s_cbranch_execz .LBB2_5145
; %bb.5132:                             ;   in Loop: Header=BB2_4891 Depth=3
	v_and_b32_e32 v3, 0x7fffffff, v2
	v_mov_b32_e32 v4, v29
	v_cmp_gt_u64_e32 vcc, s[78:79], v[3:4]
	v_and_b32_sdwa v8, v2, s96 dst_sel:DWORD dst_unused:UNUSED_PAD src0_sel:BYTE_3 src1_sel:DWORD
                                        ; implicit-def: $vgpr52
	s_and_saveexec_b64 s[40:41], vcc
	s_xor_b64 s[36:37], exec, s[40:41]
	s_cbranch_execz .LBB2_5142
; %bb.5133:                             ;   in Loop: Header=BB2_4891 Depth=3
	v_mov_b32_e32 v52, 0
	v_cmp_ne_u32_e32 vcc, 0, v2
	s_and_saveexec_b64 s[38:39], vcc
	s_cbranch_execz .LBB2_5141
; %bb.5134:                             ;   in Loop: Header=BB2_4891 Depth=3
	v_bfe_u32 v9, v2, 23, 8
	v_cmp_gt_u32_e64 s[40:41], s46, v9
	v_sub_u32_e32 v2, 0x71, v9
	v_cmp_eq_u32_e32 vcc, 0, v9
	v_cndmask_b32_e64 v2, 0, v2, s[40:41]
	v_mov_b32_e32 v4, 0x70
	v_cndmask_b32_e32 v17, v2, v4, vcc
	v_add_u32_e32 v4, 21, v17
	v_or_b32_e32 v3, 0x800000, v28
	v_lshlrev_b64 v[37:38], v4, -1
	v_cndmask_b32_e32 v2, v3, v28, vcc
	v_mov_b32_e32 v3, v29
	v_add_u32_e32 v4, 20, v17
	v_bfi_b32 v37, v37, 0, v2
	v_lshlrev_b64 v[52:53], v4, 1
	v_lshrrev_b64 v[2:3], v17, v[2:3]
	v_bfi_b32 v38, v38, 0, 0
	v_cmp_eq_u64_e64 s[40:41], v[37:38], v[52:53]
	v_mov_b32_e32 v4, v3
	v_mov_b32_e32 v3, v2
	s_and_saveexec_b64 s[48:49], s[40:41]
; %bb.5135:                             ;   in Loop: Header=BB2_4891 Depth=3
	v_bfe_u32 v3, v2, 21, 1
	v_add_co_u32_e64 v3, s[40:41], v2, v3
	v_add_co_u32_e64 v3, s[40:41], -1, v3
; %bb.5136:                             ;   in Loop: Header=BB2_4891 Depth=3
	s_or_b64 exec, exec, s[48:49]
	v_add_u32_e32 v4, 0xffffff81, v9
	v_cndmask_b32_e32 v4, v4, v1, vcc
	v_lshrrev_b32_e32 v9, 23, v2
	v_add3_u32 v17, v17, v4, v9
	v_add_u32_e32 v9, 14, v17
	v_and_b32_e32 v3, 0x1fffff, v3
	v_add_u32_e32 v28, v3, v2
	v_cmp_ne_u32_e32 vcc, 0, v9
                                        ; implicit-def: $vgpr2_vgpr3
                                        ; implicit-def: $vgpr4
	s_and_saveexec_b64 s[40:41], vcc
	s_xor_b64 s[40:41], exec, s[40:41]
; %bb.5137:                             ;   in Loop: Header=BB2_4891 Depth=3
	v_cmp_lt_u64_e32 vcc, s[88:89], v[28:29]
	v_add_u32_e32 v2, 15, v17
	v_cndmask_b32_e32 v4, v9, v2, vcc
	v_cndmask_b32_e64 v2, 0, 1, vcc
	v_lshrrev_b64 v[2:3], v2, v[28:29]
; %bb.5138:                             ;   in Loop: Header=BB2_4891 Depth=3
	s_andn2_saveexec_b64 s[40:41], s[40:41]
; %bb.5139:                             ;   in Loop: Header=BB2_4891 Depth=3
	v_mov_b32_e32 v2, v28
	v_mov_b32_e32 v3, v29
	v_bfe_u32 v4, v28, 23, 1
; %bb.5140:                             ;   in Loop: Header=BB2_4891 Depth=3
	s_or_b64 exec, exec, s[40:41]
	v_lshrrev_b64 v[2:3], 21, v[2:3]
	v_cmp_gt_i32_e32 vcc, 32, v4
	v_cndmask_b32_e32 v3, 0, v3, vcc
	v_cndmask_b32_e32 v2, 3, v2, vcc
	v_cmp_eq_u64_e64 s[40:41], 0, v[2:3]
	v_min_i32_e32 v3, 31, v4
	v_lshlrev_b32_e32 v3, 2, v3
	v_cmp_eq_u32_e32 vcc, 0, v4
	v_and_b32_e32 v3, 0xfc, v3
	v_and_or_b32 v2, v2, 3, v3
	s_and_b64 s[40:41], vcc, s[40:41]
	v_cndmask_b32_e64 v2, v2, 0, s[40:41]
	v_or_b32_e32 v52, v2, v8
.LBB2_5141:                             ;   in Loop: Header=BB2_4891 Depth=3
	s_or_b64 exec, exec, s[38:39]
                                        ; implicit-def: $vgpr8
.LBB2_5142:                             ;   in Loop: Header=BB2_4891 Depth=3
	s_andn2_saveexec_b64 s[40:41], s[36:37]
; %bb.5143:                             ;   in Loop: Header=BB2_4891 Depth=3
	v_or_b32_e32 v52, 0x7b, v8
; %bb.5144:                             ;   in Loop: Header=BB2_4891 Depth=3
	s_or_b64 exec, exec, s[40:41]
                                        ; implicit-def: $vgpr2
.LBB2_5145:                             ;   in Loop: Header=BB2_4891 Depth=3
	s_andn2_saveexec_b64 s[40:41], s[42:43]
	s_cbranch_execz .LBB2_5151
; %bb.5146:                             ;   in Loop: Header=BB2_4891 Depth=3
	v_cmp_ne_u64_e32 vcc, 0, v[28:29]
                                        ; implicit-def: $vgpr52
	s_and_saveexec_b64 s[42:43], vcc
	s_xor_b64 s[42:43], exec, s[42:43]
; %bb.5147:                             ;   in Loop: Header=BB2_4891 Depth=3
	v_or_b32_sdwa v52, v2, s47 dst_sel:DWORD dst_unused:UNUSED_PAD src0_sel:BYTE_3 src1_sel:DWORD
                                        ; implicit-def: $vgpr2
; %bb.5148:                             ;   in Loop: Header=BB2_4891 Depth=3
	s_andn2_saveexec_b64 s[42:43], s[42:43]
; %bb.5149:                             ;   in Loop: Header=BB2_4891 Depth=3
	v_cmp_lt_i32_e32 vcc, -1, v2
	v_cndmask_b32_e32 v52, v6, v22, vcc
; %bb.5150:                             ;   in Loop: Header=BB2_4891 Depth=3
	s_or_b64 exec, exec, s[42:43]
.LBB2_5151:                             ;   in Loop: Header=BB2_4891 Depth=3
	s_or_b64 exec, exec, s[40:41]
	v_lshrrev_b16_e32 v2, 8, v10
	v_cmp_ne_u16_e32 vcc, 0, v2
	v_mov_b32_e32 v3, 0
	s_and_saveexec_b64 s[40:41], vcc
	s_cbranch_execz .LBB2_5159
; %bb.5152:                             ;   in Loop: Header=BB2_4891 Depth=3
	v_cmp_ne_u16_e32 vcc, s96, v2
	v_bfrev_b32_e32 v3, 1
	s_and_saveexec_b64 s[42:43], vcc
	s_cbranch_execz .LBB2_5158
; %bb.5153:                             ;   in Loop: Header=BB2_4891 Depth=3
	v_and_b32_e32 v3, 0x7c, v2
	v_and_b32_e32 v4, 3, v2
	v_cmp_ne_u32_e32 vcc, s85, v3
                                        ; implicit-def: $vgpr3
	s_and_saveexec_b64 s[36:37], vcc
	s_xor_b64 s[36:37], exec, s[36:37]
	s_cbranch_execz .LBB2_5155
; %bb.5154:                             ;   in Loop: Header=BB2_4891 Depth=3
	v_ffbh_u32_e32 v9, v4
	v_min_u32_e32 v9, 32, v9
	v_mov_b32_e32 v3, v29
	v_subrev_u32_e32 v17, 29, v9
	v_bfe_u32 v8, v2, 2, 5
	v_lshlrev_b64 v[2:3], v17, v[2:3]
	v_cmp_eq_u32_e32 vcc, 0, v8
	v_and_b32_e32 v2, 3, v2
	v_sub_u32_e32 v3, 30, v9
	v_cndmask_b32_e32 v2, v4, v2, vcc
	v_lshlrev_b32_e32 v4, 16, v10
	v_cndmask_b32_e32 v3, v8, v3, vcc
	v_and_b32_e32 v4, 0x80000000, v4
	v_lshl_add_u32 v3, v3, 23, v4
	v_lshl_or_b32 v2, v2, 21, v3
	v_add_u32_e32 v3, 0x38000000, v2
                                        ; implicit-def: $vgpr4
.LBB2_5155:                             ;   in Loop: Header=BB2_4891 Depth=3
	s_andn2_saveexec_b64 s[36:37], s[36:37]
; %bb.5156:                             ;   in Loop: Header=BB2_4891 Depth=3
	v_cmp_lt_i16_e32 vcc, -1, v10
	v_cndmask_b32_e32 v2, v7, v0, vcc
	v_cmp_eq_u32_e32 vcc, 0, v4
	v_cndmask_b32_e32 v3, v35, v2, vcc
; %bb.5157:                             ;   in Loop: Header=BB2_4891 Depth=3
	s_or_b64 exec, exec, s[36:37]
.LBB2_5158:                             ;   in Loop: Header=BB2_4891 Depth=3
	s_or_b64 exec, exec, s[42:43]
.LBB2_5159:                             ;   in Loop: Header=BB2_4891 Depth=3
	s_or_b64 exec, exec, s[40:41]
	v_mul_f32_e32 v2, v23, v3
	v_and_b32_e32 v3, 0x7f800000, v2
	v_mov_b32_e32 v4, v29
	v_cmp_ne_u64_e32 vcc, s[76:77], v[3:4]
	v_and_b32_e32 v28, 0x7fffff, v2
                                        ; implicit-def: $vgpr56
	s_and_saveexec_b64 s[40:41], vcc
	s_xor_b64 s[42:43], exec, s[40:41]
	s_cbranch_execz .LBB2_5173
; %bb.5160:                             ;   in Loop: Header=BB2_4891 Depth=3
	v_and_b32_e32 v3, 0x7fffffff, v2
	v_mov_b32_e32 v4, v29
	v_cmp_gt_u64_e32 vcc, s[78:79], v[3:4]
	v_and_b32_sdwa v8, v2, s96 dst_sel:DWORD dst_unused:UNUSED_PAD src0_sel:BYTE_3 src1_sel:DWORD
                                        ; implicit-def: $vgpr56
	s_and_saveexec_b64 s[40:41], vcc
	s_xor_b64 s[36:37], exec, s[40:41]
	s_cbranch_execz .LBB2_5170
; %bb.5161:                             ;   in Loop: Header=BB2_4891 Depth=3
	v_mov_b32_e32 v56, 0
	v_cmp_ne_u32_e32 vcc, 0, v2
	s_and_saveexec_b64 s[38:39], vcc
	s_cbranch_execz .LBB2_5169
; %bb.5162:                             ;   in Loop: Header=BB2_4891 Depth=3
	v_bfe_u32 v9, v2, 23, 8
	v_cmp_gt_u32_e64 s[40:41], s46, v9
	v_sub_u32_e32 v2, 0x71, v9
	v_cmp_eq_u32_e32 vcc, 0, v9
	v_cndmask_b32_e64 v2, 0, v2, s[40:41]
	v_mov_b32_e32 v4, 0x70
	v_cndmask_b32_e32 v17, v2, v4, vcc
	v_add_u32_e32 v4, 21, v17
	v_or_b32_e32 v3, 0x800000, v28
	v_lshlrev_b64 v[37:38], v4, -1
	v_cndmask_b32_e32 v2, v3, v28, vcc
	v_mov_b32_e32 v3, v29
	v_add_u32_e32 v4, 20, v17
	v_bfi_b32 v37, v37, 0, v2
	v_lshlrev_b64 v[56:57], v4, 1
	v_lshrrev_b64 v[2:3], v17, v[2:3]
	v_bfi_b32 v38, v38, 0, 0
	v_cmp_eq_u64_e64 s[40:41], v[37:38], v[56:57]
	v_mov_b32_e32 v4, v3
	v_mov_b32_e32 v3, v2
	s_and_saveexec_b64 s[48:49], s[40:41]
; %bb.5163:                             ;   in Loop: Header=BB2_4891 Depth=3
	v_bfe_u32 v3, v2, 21, 1
	v_add_co_u32_e64 v3, s[40:41], v2, v3
	v_add_co_u32_e64 v3, s[40:41], -1, v3
; %bb.5164:                             ;   in Loop: Header=BB2_4891 Depth=3
	s_or_b64 exec, exec, s[48:49]
	v_add_u32_e32 v4, 0xffffff81, v9
	v_cndmask_b32_e32 v4, v4, v1, vcc
	v_lshrrev_b32_e32 v9, 23, v2
	v_add3_u32 v17, v17, v4, v9
	v_add_u32_e32 v9, 14, v17
	v_and_b32_e32 v3, 0x1fffff, v3
	v_add_u32_e32 v28, v3, v2
	v_cmp_ne_u32_e32 vcc, 0, v9
                                        ; implicit-def: $vgpr2_vgpr3
                                        ; implicit-def: $vgpr4
	s_and_saveexec_b64 s[40:41], vcc
	s_xor_b64 s[40:41], exec, s[40:41]
; %bb.5165:                             ;   in Loop: Header=BB2_4891 Depth=3
	v_cmp_lt_u64_e32 vcc, s[88:89], v[28:29]
	v_add_u32_e32 v2, 15, v17
	v_cndmask_b32_e32 v4, v9, v2, vcc
	v_cndmask_b32_e64 v2, 0, 1, vcc
	v_lshrrev_b64 v[2:3], v2, v[28:29]
; %bb.5166:                             ;   in Loop: Header=BB2_4891 Depth=3
	s_andn2_saveexec_b64 s[40:41], s[40:41]
; %bb.5167:                             ;   in Loop: Header=BB2_4891 Depth=3
	v_mov_b32_e32 v2, v28
	v_mov_b32_e32 v3, v29
	v_bfe_u32 v4, v28, 23, 1
; %bb.5168:                             ;   in Loop: Header=BB2_4891 Depth=3
	s_or_b64 exec, exec, s[40:41]
	v_lshrrev_b64 v[2:3], 21, v[2:3]
	v_cmp_gt_i32_e32 vcc, 32, v4
	v_cndmask_b32_e32 v3, 0, v3, vcc
	v_cndmask_b32_e32 v2, 3, v2, vcc
	v_cmp_eq_u64_e64 s[40:41], 0, v[2:3]
	v_min_i32_e32 v3, 31, v4
	v_lshlrev_b32_e32 v3, 2, v3
	v_cmp_eq_u32_e32 vcc, 0, v4
	v_and_b32_e32 v3, 0xfc, v3
	v_and_or_b32 v2, v2, 3, v3
	s_and_b64 s[40:41], vcc, s[40:41]
	v_cndmask_b32_e64 v2, v2, 0, s[40:41]
	v_or_b32_e32 v56, v2, v8
.LBB2_5169:                             ;   in Loop: Header=BB2_4891 Depth=3
	s_or_b64 exec, exec, s[38:39]
                                        ; implicit-def: $vgpr8
.LBB2_5170:                             ;   in Loop: Header=BB2_4891 Depth=3
	s_andn2_saveexec_b64 s[40:41], s[36:37]
; %bb.5171:                             ;   in Loop: Header=BB2_4891 Depth=3
	v_or_b32_e32 v56, 0x7b, v8
; %bb.5172:                             ;   in Loop: Header=BB2_4891 Depth=3
	s_or_b64 exec, exec, s[40:41]
                                        ; implicit-def: $vgpr2
.LBB2_5173:                             ;   in Loop: Header=BB2_4891 Depth=3
	s_andn2_saveexec_b64 s[40:41], s[42:43]
	s_cbranch_execz .LBB2_5179
; %bb.5174:                             ;   in Loop: Header=BB2_4891 Depth=3
	v_cmp_ne_u64_e32 vcc, 0, v[28:29]
                                        ; implicit-def: $vgpr56
	s_and_saveexec_b64 s[42:43], vcc
	s_xor_b64 s[42:43], exec, s[42:43]
; %bb.5175:                             ;   in Loop: Header=BB2_4891 Depth=3
	v_or_b32_sdwa v56, v2, s47 dst_sel:DWORD dst_unused:UNUSED_PAD src0_sel:BYTE_3 src1_sel:DWORD
                                        ; implicit-def: $vgpr2
; %bb.5176:                             ;   in Loop: Header=BB2_4891 Depth=3
	s_andn2_saveexec_b64 s[42:43], s[42:43]
; %bb.5177:                             ;   in Loop: Header=BB2_4891 Depth=3
	v_cmp_lt_i32_e32 vcc, -1, v2
	v_cndmask_b32_e32 v56, v6, v22, vcc
; %bb.5178:                             ;   in Loop: Header=BB2_4891 Depth=3
	s_or_b64 exec, exec, s[42:43]
.LBB2_5179:                             ;   in Loop: Header=BB2_4891 Depth=3
	s_or_b64 exec, exec, s[40:41]
	v_lshrrev_b32_e32 v2, 16, v10
	v_cmp_ne_u16_sdwa s[42:43], v2, v29 src0_sel:BYTE_0 src1_sel:DWORD
	v_mov_b32_e32 v3, 0
	s_and_saveexec_b64 s[40:41], s[42:43]
	s_cbranch_execz .LBB2_5187
; %bb.5180:                             ;   in Loop: Header=BB2_4891 Depth=3
	v_cmp_ne_u16_sdwa vcc, v2, s96 src0_sel:BYTE_0 src1_sel:DWORD
	v_bfrev_b32_e32 v3, 1
	s_and_saveexec_b64 s[42:43], vcc
	s_cbranch_execz .LBB2_5186
; %bb.5181:                             ;   in Loop: Header=BB2_4891 Depth=3
	v_and_b32_e32 v3, 0x7c0000, v10
	v_bfe_u32 v4, v10, 16, 2
	v_cmp_ne_u32_e32 vcc, s44, v3
                                        ; implicit-def: $vgpr3
	s_and_saveexec_b64 s[36:37], vcc
	s_xor_b64 s[36:37], exec, s[36:37]
	s_cbranch_execz .LBB2_5183
; %bb.5182:                             ;   in Loop: Header=BB2_4891 Depth=3
	v_ffbh_u32_e32 v3, v4
	v_min_u32_e32 v9, 32, v3
	v_subrev_u32_e32 v3, 29, v9
	v_lshlrev_b64 v[2:3], v3, v[2:3]
	v_bfe_u32 v8, v10, 18, 5
	v_and_b32_e32 v2, 3, v2
	v_cmp_eq_u32_e32 vcc, 0, v8
	v_sub_u32_e32 v3, 30, v9
	v_cndmask_b32_e32 v2, v4, v2, vcc
	v_lshlrev_b32_e32 v4, 8, v10
	v_cndmask_b32_e32 v3, v8, v3, vcc
	v_and_b32_e32 v4, 0x80000000, v4
	v_lshl_add_u32 v3, v3, 23, v4
	v_lshl_or_b32 v2, v2, 21, v3
	v_add_u32_e32 v3, 0x38000000, v2
                                        ; implicit-def: $vgpr4
                                        ; implicit-def: $vgpr2
.LBB2_5183:                             ;   in Loop: Header=BB2_4891 Depth=3
	s_andn2_saveexec_b64 s[36:37], s[36:37]
; %bb.5184:                             ;   in Loop: Header=BB2_4891 Depth=3
	v_cmp_gt_i16_sdwa vcc, sext(v2), v48 src0_sel:BYTE_0 src1_sel:DWORD
	v_cndmask_b32_e32 v2, v7, v0, vcc
	v_cmp_eq_u32_e32 vcc, 0, v4
	v_cndmask_b32_e32 v3, v35, v2, vcc
; %bb.5185:                             ;   in Loop: Header=BB2_4891 Depth=3
	s_or_b64 exec, exec, s[36:37]
.LBB2_5186:                             ;   in Loop: Header=BB2_4891 Depth=3
	s_or_b64 exec, exec, s[42:43]
.LBB2_5187:                             ;   in Loop: Header=BB2_4891 Depth=3
	s_or_b64 exec, exec, s[40:41]
	v_mul_f32_e32 v2, v23, v3
	v_and_b32_e32 v3, 0x7f800000, v2
	v_mov_b32_e32 v4, v29
	v_cmp_ne_u64_e32 vcc, s[76:77], v[3:4]
	v_and_b32_e32 v28, 0x7fffff, v2
                                        ; implicit-def: $vgpr59
	s_and_saveexec_b64 s[40:41], vcc
	s_xor_b64 s[42:43], exec, s[40:41]
	s_cbranch_execz .LBB2_5201
; %bb.5188:                             ;   in Loop: Header=BB2_4891 Depth=3
	v_and_b32_e32 v3, 0x7fffffff, v2
	v_mov_b32_e32 v4, v29
	v_cmp_gt_u64_e32 vcc, s[78:79], v[3:4]
	v_and_b32_sdwa v8, v2, s96 dst_sel:DWORD dst_unused:UNUSED_PAD src0_sel:BYTE_3 src1_sel:DWORD
                                        ; implicit-def: $vgpr59
	s_and_saveexec_b64 s[40:41], vcc
	s_xor_b64 s[36:37], exec, s[40:41]
	s_cbranch_execz .LBB2_5198
; %bb.5189:                             ;   in Loop: Header=BB2_4891 Depth=3
	v_mov_b32_e32 v59, 0
	v_cmp_ne_u32_e32 vcc, 0, v2
	s_and_saveexec_b64 s[38:39], vcc
	s_cbranch_execz .LBB2_5197
; %bb.5190:                             ;   in Loop: Header=BB2_4891 Depth=3
	v_bfe_u32 v9, v2, 23, 8
	v_cmp_gt_u32_e64 s[40:41], s46, v9
	v_sub_u32_e32 v2, 0x71, v9
	v_cmp_eq_u32_e32 vcc, 0, v9
	v_cndmask_b32_e64 v2, 0, v2, s[40:41]
	v_mov_b32_e32 v4, 0x70
	v_cndmask_b32_e32 v17, v2, v4, vcc
	v_add_u32_e32 v4, 21, v17
	v_or_b32_e32 v3, 0x800000, v28
	v_lshlrev_b64 v[37:38], v4, -1
	v_cndmask_b32_e32 v2, v3, v28, vcc
	v_mov_b32_e32 v3, v29
	v_add_u32_e32 v4, 20, v17
	v_bfi_b32 v37, v37, 0, v2
	v_lshlrev_b64 v[59:60], v4, 1
	v_lshrrev_b64 v[2:3], v17, v[2:3]
	v_bfi_b32 v38, v38, 0, 0
	v_cmp_eq_u64_e64 s[40:41], v[37:38], v[59:60]
	v_mov_b32_e32 v4, v3
	v_mov_b32_e32 v3, v2
	s_and_saveexec_b64 s[48:49], s[40:41]
; %bb.5191:                             ;   in Loop: Header=BB2_4891 Depth=3
	v_bfe_u32 v3, v2, 21, 1
	v_add_co_u32_e64 v3, s[40:41], v2, v3
	v_add_co_u32_e64 v3, s[40:41], -1, v3
; %bb.5192:                             ;   in Loop: Header=BB2_4891 Depth=3
	s_or_b64 exec, exec, s[48:49]
	v_add_u32_e32 v4, 0xffffff81, v9
	v_cndmask_b32_e32 v4, v4, v1, vcc
	v_lshrrev_b32_e32 v9, 23, v2
	v_add3_u32 v17, v17, v4, v9
	v_add_u32_e32 v9, 14, v17
	v_and_b32_e32 v3, 0x1fffff, v3
	v_add_u32_e32 v28, v3, v2
	v_cmp_ne_u32_e32 vcc, 0, v9
                                        ; implicit-def: $vgpr2_vgpr3
                                        ; implicit-def: $vgpr4
	s_and_saveexec_b64 s[40:41], vcc
	s_xor_b64 s[40:41], exec, s[40:41]
; %bb.5193:                             ;   in Loop: Header=BB2_4891 Depth=3
	v_cmp_lt_u64_e32 vcc, s[88:89], v[28:29]
	v_add_u32_e32 v2, 15, v17
	v_cndmask_b32_e32 v4, v9, v2, vcc
	v_cndmask_b32_e64 v2, 0, 1, vcc
	v_lshrrev_b64 v[2:3], v2, v[28:29]
; %bb.5194:                             ;   in Loop: Header=BB2_4891 Depth=3
	s_andn2_saveexec_b64 s[40:41], s[40:41]
; %bb.5195:                             ;   in Loop: Header=BB2_4891 Depth=3
	v_mov_b32_e32 v2, v28
	v_mov_b32_e32 v3, v29
	v_bfe_u32 v4, v28, 23, 1
; %bb.5196:                             ;   in Loop: Header=BB2_4891 Depth=3
	s_or_b64 exec, exec, s[40:41]
	v_lshrrev_b64 v[2:3], 21, v[2:3]
	v_cmp_gt_i32_e32 vcc, 32, v4
	v_cndmask_b32_e32 v3, 0, v3, vcc
	v_cndmask_b32_e32 v2, 3, v2, vcc
	v_cmp_eq_u64_e64 s[40:41], 0, v[2:3]
	v_min_i32_e32 v3, 31, v4
	v_lshlrev_b32_e32 v3, 2, v3
	v_cmp_eq_u32_e32 vcc, 0, v4
	v_and_b32_e32 v3, 0xfc, v3
	v_and_or_b32 v2, v2, 3, v3
	s_and_b64 s[40:41], vcc, s[40:41]
	v_cndmask_b32_e64 v2, v2, 0, s[40:41]
	v_or_b32_e32 v59, v2, v8
.LBB2_5197:                             ;   in Loop: Header=BB2_4891 Depth=3
	s_or_b64 exec, exec, s[38:39]
                                        ; implicit-def: $vgpr8
.LBB2_5198:                             ;   in Loop: Header=BB2_4891 Depth=3
	s_andn2_saveexec_b64 s[40:41], s[36:37]
; %bb.5199:                             ;   in Loop: Header=BB2_4891 Depth=3
	v_or_b32_e32 v59, 0x7b, v8
; %bb.5200:                             ;   in Loop: Header=BB2_4891 Depth=3
	s_or_b64 exec, exec, s[40:41]
                                        ; implicit-def: $vgpr2
.LBB2_5201:                             ;   in Loop: Header=BB2_4891 Depth=3
	s_andn2_saveexec_b64 s[40:41], s[42:43]
	s_cbranch_execz .LBB2_5207
; %bb.5202:                             ;   in Loop: Header=BB2_4891 Depth=3
	v_cmp_ne_u64_e32 vcc, 0, v[28:29]
                                        ; implicit-def: $vgpr59
	s_and_saveexec_b64 s[42:43], vcc
	s_xor_b64 s[42:43], exec, s[42:43]
; %bb.5203:                             ;   in Loop: Header=BB2_4891 Depth=3
	v_or_b32_sdwa v59, v2, s47 dst_sel:DWORD dst_unused:UNUSED_PAD src0_sel:BYTE_3 src1_sel:DWORD
                                        ; implicit-def: $vgpr2
; %bb.5204:                             ;   in Loop: Header=BB2_4891 Depth=3
	s_andn2_saveexec_b64 s[42:43], s[42:43]
; %bb.5205:                             ;   in Loop: Header=BB2_4891 Depth=3
	v_cmp_lt_i32_e32 vcc, -1, v2
	v_cndmask_b32_e32 v59, v6, v22, vcc
; %bb.5206:                             ;   in Loop: Header=BB2_4891 Depth=3
	s_or_b64 exec, exec, s[42:43]
.LBB2_5207:                             ;   in Loop: Header=BB2_4891 Depth=3
	s_or_b64 exec, exec, s[40:41]
	v_cmp_lt_u32_e32 vcc, s57, v10
	v_mov_b32_e32 v3, 0
	s_and_saveexec_b64 s[40:41], vcc
	s_cbranch_execz .LBB2_5215
; %bb.5208:                             ;   in Loop: Header=BB2_4891 Depth=3
	v_lshrrev_b32_e32 v2, 24, v10
	v_cmp_ne_u32_e32 vcc, s96, v2
	v_bfrev_b32_e32 v3, 1
	s_and_saveexec_b64 s[42:43], vcc
	s_cbranch_execz .LBB2_5214
; %bb.5209:                             ;   in Loop: Header=BB2_4891 Depth=3
	v_and_b32_e32 v3, 0x7c000000, v10
	v_bfe_u32 v4, v10, 24, 2
	v_cmp_ne_u32_e32 vcc, s45, v3
                                        ; implicit-def: $vgpr3
	s_and_saveexec_b64 s[36:37], vcc
	s_xor_b64 s[36:37], exec, s[36:37]
	s_cbranch_execz .LBB2_5211
; %bb.5210:                             ;   in Loop: Header=BB2_4891 Depth=3
	v_ffbh_u32_e32 v3, v4
	v_min_u32_e32 v9, 32, v3
	v_subrev_u32_e32 v3, 29, v9
	v_lshlrev_b64 v[2:3], v3, v[2:3]
	v_bfe_u32 v8, v10, 26, 5
	v_sub_u32_e32 v3, 30, v9
	v_and_b32_e32 v2, 3, v2
	v_cmp_eq_u32_e32 vcc, 0, v8
	v_cndmask_b32_e32 v3, v8, v3, vcc
	v_cndmask_b32_e32 v2, v4, v2, vcc
	v_and_b32_e32 v4, 0x80000000, v10
	v_lshl_add_u32 v3, v3, 23, v4
	v_lshl_or_b32 v2, v2, 21, v3
	v_add_u32_e32 v3, 0x38000000, v2
                                        ; implicit-def: $vgpr4
.LBB2_5211:                             ;   in Loop: Header=BB2_4891 Depth=3
	s_andn2_saveexec_b64 s[36:37], s[36:37]
; %bb.5212:                             ;   in Loop: Header=BB2_4891 Depth=3
	v_cmp_lt_i32_e32 vcc, -1, v10
	v_cndmask_b32_e32 v2, v7, v0, vcc
	v_cmp_eq_u32_e32 vcc, 0, v4
	v_cndmask_b32_e32 v3, v35, v2, vcc
; %bb.5213:                             ;   in Loop: Header=BB2_4891 Depth=3
	s_or_b64 exec, exec, s[36:37]
.LBB2_5214:                             ;   in Loop: Header=BB2_4891 Depth=3
	s_or_b64 exec, exec, s[42:43]
.LBB2_5215:                             ;   in Loop: Header=BB2_4891 Depth=3
	s_or_b64 exec, exec, s[40:41]
	v_mul_f32_e32 v2, v23, v3
	v_and_b32_e32 v3, 0x7f800000, v2
	v_mov_b32_e32 v4, v29
	v_cmp_ne_u64_e32 vcc, s[76:77], v[3:4]
	v_and_b32_e32 v28, 0x7fffff, v2
                                        ; implicit-def: $vgpr60
	s_and_saveexec_b64 s[40:41], vcc
	s_xor_b64 s[42:43], exec, s[40:41]
	s_cbranch_execz .LBB2_5229
; %bb.5216:                             ;   in Loop: Header=BB2_4891 Depth=3
	v_and_b32_e32 v3, 0x7fffffff, v2
	v_mov_b32_e32 v4, v29
	v_cmp_gt_u64_e32 vcc, s[78:79], v[3:4]
	v_and_b32_sdwa v8, v2, s96 dst_sel:DWORD dst_unused:UNUSED_PAD src0_sel:BYTE_3 src1_sel:DWORD
                                        ; implicit-def: $vgpr60
	s_and_saveexec_b64 s[40:41], vcc
	s_xor_b64 s[36:37], exec, s[40:41]
	s_cbranch_execz .LBB2_5226
; %bb.5217:                             ;   in Loop: Header=BB2_4891 Depth=3
	v_mov_b32_e32 v60, 0
	v_cmp_ne_u32_e32 vcc, 0, v2
	s_and_saveexec_b64 s[38:39], vcc
	s_cbranch_execz .LBB2_5225
; %bb.5218:                             ;   in Loop: Header=BB2_4891 Depth=3
	v_bfe_u32 v9, v2, 23, 8
	v_cmp_gt_u32_e64 s[40:41], s46, v9
	v_sub_u32_e32 v2, 0x71, v9
	v_cmp_eq_u32_e32 vcc, 0, v9
	v_cndmask_b32_e64 v2, 0, v2, s[40:41]
	v_mov_b32_e32 v4, 0x70
	v_cndmask_b32_e32 v17, v2, v4, vcc
	v_add_u32_e32 v4, 21, v17
	v_or_b32_e32 v3, 0x800000, v28
	v_lshlrev_b64 v[37:38], v4, -1
	v_cndmask_b32_e32 v2, v3, v28, vcc
	v_mov_b32_e32 v3, v29
	v_add_u32_e32 v4, 20, v17
	v_bfi_b32 v37, v37, 0, v2
	v_lshlrev_b64 v[39:40], v4, 1
	v_lshrrev_b64 v[2:3], v17, v[2:3]
	v_bfi_b32 v38, v38, 0, 0
	v_cmp_eq_u64_e64 s[40:41], v[37:38], v[39:40]
	v_mov_b32_e32 v4, v3
	v_mov_b32_e32 v3, v2
	s_and_saveexec_b64 s[48:49], s[40:41]
; %bb.5219:                             ;   in Loop: Header=BB2_4891 Depth=3
	v_bfe_u32 v3, v2, 21, 1
	v_add_co_u32_e64 v3, s[40:41], v2, v3
	v_add_co_u32_e64 v3, s[40:41], -1, v3
; %bb.5220:                             ;   in Loop: Header=BB2_4891 Depth=3
	s_or_b64 exec, exec, s[48:49]
	v_add_u32_e32 v4, 0xffffff81, v9
	v_cndmask_b32_e32 v4, v4, v1, vcc
	v_lshrrev_b32_e32 v9, 23, v2
	v_add3_u32 v17, v17, v4, v9
	v_add_u32_e32 v9, 14, v17
	v_and_b32_e32 v3, 0x1fffff, v3
	v_add_u32_e32 v28, v3, v2
	v_cmp_ne_u32_e32 vcc, 0, v9
                                        ; implicit-def: $vgpr2_vgpr3
                                        ; implicit-def: $vgpr4
	s_and_saveexec_b64 s[40:41], vcc
	s_xor_b64 s[40:41], exec, s[40:41]
; %bb.5221:                             ;   in Loop: Header=BB2_4891 Depth=3
	v_cmp_lt_u64_e32 vcc, s[88:89], v[28:29]
	v_add_u32_e32 v2, 15, v17
	v_cndmask_b32_e32 v4, v9, v2, vcc
	v_cndmask_b32_e64 v2, 0, 1, vcc
	v_lshrrev_b64 v[2:3], v2, v[28:29]
; %bb.5222:                             ;   in Loop: Header=BB2_4891 Depth=3
	s_andn2_saveexec_b64 s[40:41], s[40:41]
; %bb.5223:                             ;   in Loop: Header=BB2_4891 Depth=3
	v_mov_b32_e32 v2, v28
	v_mov_b32_e32 v3, v29
	v_bfe_u32 v4, v28, 23, 1
; %bb.5224:                             ;   in Loop: Header=BB2_4891 Depth=3
	s_or_b64 exec, exec, s[40:41]
	v_lshrrev_b64 v[2:3], 21, v[2:3]
	v_cmp_gt_i32_e32 vcc, 32, v4
	v_cndmask_b32_e32 v3, 0, v3, vcc
	v_cndmask_b32_e32 v2, 3, v2, vcc
	v_cmp_eq_u64_e64 s[40:41], 0, v[2:3]
	v_min_i32_e32 v3, 31, v4
	v_lshlrev_b32_e32 v3, 2, v3
	v_cmp_eq_u32_e32 vcc, 0, v4
	v_and_b32_e32 v3, 0xfc, v3
	v_and_or_b32 v2, v2, 3, v3
	s_and_b64 s[40:41], vcc, s[40:41]
	v_cndmask_b32_e64 v2, v2, 0, s[40:41]
	v_or_b32_e32 v60, v2, v8
.LBB2_5225:                             ;   in Loop: Header=BB2_4891 Depth=3
	s_or_b64 exec, exec, s[38:39]
                                        ; implicit-def: $vgpr8
.LBB2_5226:                             ;   in Loop: Header=BB2_4891 Depth=3
	s_andn2_saveexec_b64 s[40:41], s[36:37]
; %bb.5227:                             ;   in Loop: Header=BB2_4891 Depth=3
	v_or_b32_e32 v60, 0x7b, v8
; %bb.5228:                             ;   in Loop: Header=BB2_4891 Depth=3
	s_or_b64 exec, exec, s[40:41]
                                        ; implicit-def: $vgpr2
.LBB2_5229:                             ;   in Loop: Header=BB2_4891 Depth=3
	s_andn2_saveexec_b64 s[40:41], s[42:43]
	s_cbranch_execz .LBB2_5235
; %bb.5230:                             ;   in Loop: Header=BB2_4891 Depth=3
	v_cmp_ne_u64_e32 vcc, 0, v[28:29]
                                        ; implicit-def: $vgpr60
	s_and_saveexec_b64 s[42:43], vcc
	s_xor_b64 s[42:43], exec, s[42:43]
; %bb.5231:                             ;   in Loop: Header=BB2_4891 Depth=3
	v_or_b32_sdwa v60, v2, s47 dst_sel:DWORD dst_unused:UNUSED_PAD src0_sel:BYTE_3 src1_sel:DWORD
                                        ; implicit-def: $vgpr2
; %bb.5232:                             ;   in Loop: Header=BB2_4891 Depth=3
	s_andn2_saveexec_b64 s[42:43], s[42:43]
; %bb.5233:                             ;   in Loop: Header=BB2_4891 Depth=3
	v_cmp_lt_i32_e32 vcc, -1, v2
	v_cndmask_b32_e32 v60, v6, v22, vcc
; %bb.5234:                             ;   in Loop: Header=BB2_4891 Depth=3
	s_or_b64 exec, exec, s[42:43]
.LBB2_5235:                             ;   in Loop: Header=BB2_4891 Depth=3
	s_or_b64 exec, exec, s[40:41]
	v_mov_b32_e32 v28, v11
	v_cmp_ne_u16_sdwa s[42:43], v11, v29 src0_sel:BYTE_0 src1_sel:DWORD
	v_mov_b32_e32 v2, 0
	s_and_saveexec_b64 s[40:41], s[42:43]
	s_cbranch_execz .LBB2_5243
; %bb.5236:                             ;   in Loop: Header=BB2_4891 Depth=3
	v_cmp_ne_u16_sdwa vcc, v11, s96 src0_sel:BYTE_0 src1_sel:DWORD
	v_bfrev_b32_e32 v2, 1
	s_and_saveexec_b64 s[42:43], vcc
	s_cbranch_execz .LBB2_5242
; %bb.5237:                             ;   in Loop: Header=BB2_4891 Depth=3
	v_and_b32_e32 v2, 0x7c, v11
	v_and_b32_e32 v3, 3, v11
	v_cmp_ne_u32_e32 vcc, s85, v2
                                        ; implicit-def: $vgpr2
	s_and_saveexec_b64 s[36:37], vcc
	s_xor_b64 s[36:37], exec, s[36:37]
	s_cbranch_execz .LBB2_5239
; %bb.5238:                             ;   in Loop: Header=BB2_4891 Depth=3
	v_ffbh_u32_e32 v4, v3
	v_min_u32_e32 v4, 32, v4
	v_bfe_u32 v2, v11, 2, 5
	v_subrev_u32_e32 v8, 29, v4
	v_lshlrev_b64 v[8:9], v8, v[28:29]
	v_sub_u32_e32 v4, 30, v4
	v_cmp_eq_u32_e32 vcc, 0, v2
	v_cndmask_b32_e32 v2, v2, v4, vcc
	v_lshlrev_b32_e32 v4, 24, v11
	v_and_b32_e32 v8, 3, v8
	v_and_b32_e32 v4, 0x80000000, v4
	v_cndmask_b32_e32 v3, v3, v8, vcc
	v_lshl_add_u32 v2, v2, 23, v4
	v_lshl_or_b32 v2, v3, 21, v2
	v_add_u32_e32 v2, 0x38000000, v2
                                        ; implicit-def: $vgpr3
.LBB2_5239:                             ;   in Loop: Header=BB2_4891 Depth=3
	s_andn2_saveexec_b64 s[36:37], s[36:37]
; %bb.5240:                             ;   in Loop: Header=BB2_4891 Depth=3
	v_cmp_gt_i16_sdwa vcc, sext(v11), v48 src0_sel:BYTE_0 src1_sel:DWORD
	v_cndmask_b32_e32 v2, v7, v0, vcc
	v_cmp_eq_u32_e32 vcc, 0, v3
	v_cndmask_b32_e32 v2, v35, v2, vcc
; %bb.5241:                             ;   in Loop: Header=BB2_4891 Depth=3
	s_or_b64 exec, exec, s[36:37]
.LBB2_5242:                             ;   in Loop: Header=BB2_4891 Depth=3
	s_or_b64 exec, exec, s[42:43]
.LBB2_5243:                             ;   in Loop: Header=BB2_4891 Depth=3
	s_or_b64 exec, exec, s[40:41]
	v_mul_f32_e32 v4, v23, v2
	v_and_b32_e32 v8, 0x7f800000, v4
	v_mov_b32_e32 v9, v29
	v_cmp_ne_u64_e32 vcc, s[76:77], v[8:9]
	v_and_b32_e32 v2, 0x7fffff, v4
	v_mov_b32_e32 v3, v29
                                        ; implicit-def: $vgpr37
	s_and_saveexec_b64 s[40:41], vcc
	s_xor_b64 s[42:43], exec, s[40:41]
	s_cbranch_execz .LBB2_5257
; %bb.5244:                             ;   in Loop: Header=BB2_4891 Depth=3
	v_and_b32_e32 v8, 0x7fffffff, v4
	v_mov_b32_e32 v9, v29
	v_cmp_gt_u64_e32 vcc, s[78:79], v[8:9]
	v_and_b32_sdwa v8, v4, s96 dst_sel:DWORD dst_unused:UNUSED_PAD src0_sel:BYTE_3 src1_sel:DWORD
                                        ; implicit-def: $vgpr37
	s_and_saveexec_b64 s[40:41], vcc
	s_xor_b64 s[36:37], exec, s[40:41]
	s_cbranch_execz .LBB2_5254
; %bb.5245:                             ;   in Loop: Header=BB2_4891 Depth=3
	v_mov_b32_e32 v37, 0
	v_cmp_ne_u32_e32 vcc, 0, v4
	s_and_saveexec_b64 s[38:39], vcc
	s_cbranch_execz .LBB2_5253
; %bb.5246:                             ;   in Loop: Header=BB2_4891 Depth=3
	v_bfe_u32 v9, v4, 23, 8
	v_cmp_gt_u32_e64 s[40:41], s46, v9
	v_sub_u32_e32 v4, 0x71, v9
	v_cmp_eq_u32_e32 vcc, 0, v9
	v_cndmask_b32_e64 v4, 0, v4, s[40:41]
	v_mov_b32_e32 v17, 0x70
	v_cndmask_b32_e32 v17, v4, v17, vcc
	v_or_b32_e32 v37, 0x800000, v2
	v_add_u32_e32 v4, 21, v17
	v_cndmask_b32_e32 v2, v37, v2, vcc
	v_lshlrev_b64 v[37:38], v4, -1
	v_add_u32_e32 v4, 20, v17
	v_bfi_b32 v37, v37, 0, v2
	v_lshlrev_b64 v[39:40], v4, 1
	v_lshrrev_b64 v[2:3], v17, v[2:3]
	v_bfi_b32 v38, v38, 0, 0
	v_cmp_eq_u64_e64 s[40:41], v[37:38], v[39:40]
	v_mov_b32_e32 v4, v3
	v_mov_b32_e32 v3, v2
	s_and_saveexec_b64 s[48:49], s[40:41]
; %bb.5247:                             ;   in Loop: Header=BB2_4891 Depth=3
	v_bfe_u32 v3, v2, 21, 1
	v_add_co_u32_e64 v3, s[40:41], v2, v3
	v_add_co_u32_e64 v3, s[40:41], -1, v3
; %bb.5248:                             ;   in Loop: Header=BB2_4891 Depth=3
	s_or_b64 exec, exec, s[48:49]
	v_add_u32_e32 v4, 0xffffff81, v9
	v_cndmask_b32_e32 v4, v4, v1, vcc
	v_lshrrev_b32_e32 v9, 23, v2
	v_add3_u32 v17, v17, v4, v9
	v_add_u32_e32 v9, 14, v17
	v_and_b32_e32 v3, 0x1fffff, v3
	v_add_u32_e32 v2, v3, v2
	v_mov_b32_e32 v3, v29
	v_cmp_ne_u32_e32 vcc, 0, v9
                                        ; implicit-def: $vgpr4
	s_and_saveexec_b64 s[40:41], vcc
	s_xor_b64 s[40:41], exec, s[40:41]
; %bb.5249:                             ;   in Loop: Header=BB2_4891 Depth=3
	v_cmp_lt_u64_e32 vcc, s[88:89], v[2:3]
	v_add_u32_e32 v4, 15, v17
	v_cndmask_b32_e32 v4, v9, v4, vcc
	v_cndmask_b32_e64 v9, 0, 1, vcc
	v_lshrrev_b64 v[2:3], v9, v[2:3]
; %bb.5250:                             ;   in Loop: Header=BB2_4891 Depth=3
	s_andn2_saveexec_b64 s[40:41], s[40:41]
; %bb.5251:                             ;   in Loop: Header=BB2_4891 Depth=3
	v_bfe_u32 v4, v2, 23, 1
; %bb.5252:                             ;   in Loop: Header=BB2_4891 Depth=3
	s_or_b64 exec, exec, s[40:41]
	v_lshrrev_b64 v[2:3], 21, v[2:3]
	v_cmp_gt_i32_e32 vcc, 32, v4
	v_cndmask_b32_e32 v3, 0, v3, vcc
	v_cndmask_b32_e32 v2, 3, v2, vcc
	v_cmp_eq_u64_e64 s[40:41], 0, v[2:3]
	v_min_i32_e32 v3, 31, v4
	v_lshlrev_b32_e32 v3, 2, v3
	v_cmp_eq_u32_e32 vcc, 0, v4
	v_and_b32_e32 v3, 0xfc, v3
	v_and_or_b32 v2, v2, 3, v3
	s_and_b64 s[40:41], vcc, s[40:41]
	v_cndmask_b32_e64 v2, v2, 0, s[40:41]
	v_or_b32_e32 v37, v2, v8
.LBB2_5253:                             ;   in Loop: Header=BB2_4891 Depth=3
	s_or_b64 exec, exec, s[38:39]
                                        ; implicit-def: $vgpr8
.LBB2_5254:                             ;   in Loop: Header=BB2_4891 Depth=3
	s_andn2_saveexec_b64 s[40:41], s[36:37]
; %bb.5255:                             ;   in Loop: Header=BB2_4891 Depth=3
	v_or_b32_e32 v37, 0x7b, v8
; %bb.5256:                             ;   in Loop: Header=BB2_4891 Depth=3
	s_or_b64 exec, exec, s[40:41]
                                        ; implicit-def: $vgpr4
                                        ; implicit-def: $vgpr2_vgpr3
.LBB2_5257:                             ;   in Loop: Header=BB2_4891 Depth=3
	s_andn2_saveexec_b64 s[40:41], s[42:43]
	s_cbranch_execz .LBB2_5263
; %bb.5258:                             ;   in Loop: Header=BB2_4891 Depth=3
	v_cmp_ne_u64_e32 vcc, 0, v[2:3]
                                        ; implicit-def: $vgpr37
	s_and_saveexec_b64 s[42:43], vcc
	s_xor_b64 s[42:43], exec, s[42:43]
; %bb.5259:                             ;   in Loop: Header=BB2_4891 Depth=3
	v_or_b32_sdwa v37, v4, s47 dst_sel:DWORD dst_unused:UNUSED_PAD src0_sel:BYTE_3 src1_sel:DWORD
                                        ; implicit-def: $vgpr4
; %bb.5260:                             ;   in Loop: Header=BB2_4891 Depth=3
	s_andn2_saveexec_b64 s[42:43], s[42:43]
; %bb.5261:                             ;   in Loop: Header=BB2_4891 Depth=3
	v_cmp_lt_i32_e32 vcc, -1, v4
	v_cndmask_b32_e32 v37, v6, v22, vcc
; %bb.5262:                             ;   in Loop: Header=BB2_4891 Depth=3
	s_or_b64 exec, exec, s[42:43]
.LBB2_5263:                             ;   in Loop: Header=BB2_4891 Depth=3
	s_or_b64 exec, exec, s[40:41]
	v_lshrrev_b16_e32 v2, 8, v28
	v_cmp_ne_u16_e32 vcc, 0, v2
	v_mov_b32_e32 v3, 0
	s_and_saveexec_b64 s[40:41], vcc
	s_cbranch_execz .LBB2_5271
; %bb.5264:                             ;   in Loop: Header=BB2_4891 Depth=3
	v_cmp_ne_u16_e32 vcc, s96, v2
	v_bfrev_b32_e32 v3, 1
	s_and_saveexec_b64 s[42:43], vcc
	s_cbranch_execz .LBB2_5270
; %bb.5265:                             ;   in Loop: Header=BB2_4891 Depth=3
	v_and_b32_e32 v3, 0x7c, v2
	v_and_b32_e32 v4, 3, v2
	v_cmp_ne_u32_e32 vcc, s85, v3
                                        ; implicit-def: $vgpr3
	s_and_saveexec_b64 s[36:37], vcc
	s_xor_b64 s[36:37], exec, s[36:37]
	s_cbranch_execz .LBB2_5267
; %bb.5266:                             ;   in Loop: Header=BB2_4891 Depth=3
	v_ffbh_u32_e32 v9, v4
	v_min_u32_e32 v9, 32, v9
	v_mov_b32_e32 v3, v29
	v_subrev_u32_e32 v17, 29, v9
	v_bfe_u32 v8, v2, 2, 5
	v_lshlrev_b64 v[2:3], v17, v[2:3]
	v_cmp_eq_u32_e32 vcc, 0, v8
	v_and_b32_e32 v2, 3, v2
	v_sub_u32_e32 v3, 30, v9
	v_cndmask_b32_e32 v2, v4, v2, vcc
	v_lshlrev_b32_e32 v4, 16, v28
	v_cndmask_b32_e32 v3, v8, v3, vcc
	v_and_b32_e32 v4, 0x80000000, v4
	v_lshl_add_u32 v3, v3, 23, v4
	v_lshl_or_b32 v2, v2, 21, v3
	v_add_u32_e32 v3, 0x38000000, v2
                                        ; implicit-def: $vgpr4
.LBB2_5267:                             ;   in Loop: Header=BB2_4891 Depth=3
	s_andn2_saveexec_b64 s[36:37], s[36:37]
; %bb.5268:                             ;   in Loop: Header=BB2_4891 Depth=3
	v_cmp_lt_i16_e32 vcc, -1, v28
	v_cndmask_b32_e32 v2, v7, v0, vcc
	v_cmp_eq_u32_e32 vcc, 0, v4
	v_cndmask_b32_e32 v3, v35, v2, vcc
; %bb.5269:                             ;   in Loop: Header=BB2_4891 Depth=3
	s_or_b64 exec, exec, s[36:37]
.LBB2_5270:                             ;   in Loop: Header=BB2_4891 Depth=3
	s_or_b64 exec, exec, s[42:43]
.LBB2_5271:                             ;   in Loop: Header=BB2_4891 Depth=3
	s_or_b64 exec, exec, s[40:41]
	v_mul_f32_e32 v2, v23, v3
	v_and_b32_e32 v3, 0x7f800000, v2
	v_mov_b32_e32 v4, v29
	v_cmp_ne_u64_e32 vcc, s[76:77], v[3:4]
	v_and_b32_e32 v28, 0x7fffff, v2
                                        ; implicit-def: $vgpr53
	s_and_saveexec_b64 s[40:41], vcc
	s_xor_b64 s[42:43], exec, s[40:41]
	s_cbranch_execz .LBB2_5285
; %bb.5272:                             ;   in Loop: Header=BB2_4891 Depth=3
	v_and_b32_e32 v3, 0x7fffffff, v2
	v_mov_b32_e32 v4, v29
	v_cmp_gt_u64_e32 vcc, s[78:79], v[3:4]
	v_and_b32_sdwa v8, v2, s96 dst_sel:DWORD dst_unused:UNUSED_PAD src0_sel:BYTE_3 src1_sel:DWORD
                                        ; implicit-def: $vgpr53
	s_and_saveexec_b64 s[40:41], vcc
	s_xor_b64 s[36:37], exec, s[40:41]
	s_cbranch_execz .LBB2_5282
; %bb.5273:                             ;   in Loop: Header=BB2_4891 Depth=3
	v_mov_b32_e32 v53, 0
	v_cmp_ne_u32_e32 vcc, 0, v2
	s_and_saveexec_b64 s[38:39], vcc
	s_cbranch_execz .LBB2_5281
; %bb.5274:                             ;   in Loop: Header=BB2_4891 Depth=3
	v_bfe_u32 v9, v2, 23, 8
	v_cmp_gt_u32_e64 s[40:41], s46, v9
	v_sub_u32_e32 v2, 0x71, v9
	v_cmp_eq_u32_e32 vcc, 0, v9
	v_cndmask_b32_e64 v2, 0, v2, s[40:41]
	v_mov_b32_e32 v4, 0x70
	v_cndmask_b32_e32 v17, v2, v4, vcc
	v_add_u32_e32 v4, 21, v17
	v_or_b32_e32 v3, 0x800000, v28
	v_lshlrev_b64 v[38:39], v4, -1
	v_cndmask_b32_e32 v2, v3, v28, vcc
	v_mov_b32_e32 v3, v29
	v_add_u32_e32 v4, 20, v17
	v_bfi_b32 v38, v38, 0, v2
	v_lshlrev_b64 v[40:41], v4, 1
	v_lshrrev_b64 v[2:3], v17, v[2:3]
	v_bfi_b32 v39, v39, 0, 0
	v_cmp_eq_u64_e64 s[40:41], v[38:39], v[40:41]
	v_mov_b32_e32 v4, v3
	v_mov_b32_e32 v3, v2
	s_and_saveexec_b64 s[48:49], s[40:41]
; %bb.5275:                             ;   in Loop: Header=BB2_4891 Depth=3
	v_bfe_u32 v3, v2, 21, 1
	v_add_co_u32_e64 v3, s[40:41], v2, v3
	v_add_co_u32_e64 v3, s[40:41], -1, v3
; %bb.5276:                             ;   in Loop: Header=BB2_4891 Depth=3
	s_or_b64 exec, exec, s[48:49]
	v_add_u32_e32 v4, 0xffffff81, v9
	v_cndmask_b32_e32 v4, v4, v1, vcc
	v_lshrrev_b32_e32 v9, 23, v2
	v_add3_u32 v17, v17, v4, v9
	v_add_u32_e32 v9, 14, v17
	v_and_b32_e32 v3, 0x1fffff, v3
	v_add_u32_e32 v28, v3, v2
	v_cmp_ne_u32_e32 vcc, 0, v9
                                        ; implicit-def: $vgpr2_vgpr3
                                        ; implicit-def: $vgpr4
	s_and_saveexec_b64 s[40:41], vcc
	s_xor_b64 s[40:41], exec, s[40:41]
; %bb.5277:                             ;   in Loop: Header=BB2_4891 Depth=3
	v_cmp_lt_u64_e32 vcc, s[88:89], v[28:29]
	v_add_u32_e32 v2, 15, v17
	v_cndmask_b32_e32 v4, v9, v2, vcc
	v_cndmask_b32_e64 v2, 0, 1, vcc
	v_lshrrev_b64 v[2:3], v2, v[28:29]
; %bb.5278:                             ;   in Loop: Header=BB2_4891 Depth=3
	s_andn2_saveexec_b64 s[40:41], s[40:41]
; %bb.5279:                             ;   in Loop: Header=BB2_4891 Depth=3
	v_mov_b32_e32 v2, v28
	v_mov_b32_e32 v3, v29
	v_bfe_u32 v4, v28, 23, 1
; %bb.5280:                             ;   in Loop: Header=BB2_4891 Depth=3
	s_or_b64 exec, exec, s[40:41]
	v_lshrrev_b64 v[2:3], 21, v[2:3]
	v_cmp_gt_i32_e32 vcc, 32, v4
	v_cndmask_b32_e32 v3, 0, v3, vcc
	v_cndmask_b32_e32 v2, 3, v2, vcc
	v_cmp_eq_u64_e64 s[40:41], 0, v[2:3]
	v_min_i32_e32 v3, 31, v4
	v_lshlrev_b32_e32 v3, 2, v3
	v_cmp_eq_u32_e32 vcc, 0, v4
	v_and_b32_e32 v3, 0xfc, v3
	v_and_or_b32 v2, v2, 3, v3
	s_and_b64 s[40:41], vcc, s[40:41]
	v_cndmask_b32_e64 v2, v2, 0, s[40:41]
	v_or_b32_e32 v53, v2, v8
.LBB2_5281:                             ;   in Loop: Header=BB2_4891 Depth=3
	s_or_b64 exec, exec, s[38:39]
                                        ; implicit-def: $vgpr8
.LBB2_5282:                             ;   in Loop: Header=BB2_4891 Depth=3
	s_andn2_saveexec_b64 s[40:41], s[36:37]
; %bb.5283:                             ;   in Loop: Header=BB2_4891 Depth=3
	v_or_b32_e32 v53, 0x7b, v8
; %bb.5284:                             ;   in Loop: Header=BB2_4891 Depth=3
	s_or_b64 exec, exec, s[40:41]
                                        ; implicit-def: $vgpr2
.LBB2_5285:                             ;   in Loop: Header=BB2_4891 Depth=3
	s_andn2_saveexec_b64 s[40:41], s[42:43]
	s_cbranch_execz .LBB2_5291
; %bb.5286:                             ;   in Loop: Header=BB2_4891 Depth=3
	v_cmp_ne_u64_e32 vcc, 0, v[28:29]
                                        ; implicit-def: $vgpr53
	s_and_saveexec_b64 s[42:43], vcc
	s_xor_b64 s[42:43], exec, s[42:43]
; %bb.5287:                             ;   in Loop: Header=BB2_4891 Depth=3
	v_or_b32_sdwa v53, v2, s47 dst_sel:DWORD dst_unused:UNUSED_PAD src0_sel:BYTE_3 src1_sel:DWORD
                                        ; implicit-def: $vgpr2
; %bb.5288:                             ;   in Loop: Header=BB2_4891 Depth=3
	s_andn2_saveexec_b64 s[42:43], s[42:43]
; %bb.5289:                             ;   in Loop: Header=BB2_4891 Depth=3
	v_cmp_lt_i32_e32 vcc, -1, v2
	v_cndmask_b32_e32 v53, v6, v22, vcc
; %bb.5290:                             ;   in Loop: Header=BB2_4891 Depth=3
	s_or_b64 exec, exec, s[42:43]
.LBB2_5291:                             ;   in Loop: Header=BB2_4891 Depth=3
	s_or_b64 exec, exec, s[40:41]
	v_lshrrev_b32_e32 v2, 16, v11
	v_cmp_ne_u16_sdwa s[42:43], v2, v29 src0_sel:BYTE_0 src1_sel:DWORD
	v_mov_b32_e32 v3, 0
	s_and_saveexec_b64 s[40:41], s[42:43]
	s_cbranch_execz .LBB2_5299
; %bb.5292:                             ;   in Loop: Header=BB2_4891 Depth=3
	v_cmp_ne_u16_sdwa vcc, v2, s96 src0_sel:BYTE_0 src1_sel:DWORD
	v_bfrev_b32_e32 v3, 1
	s_and_saveexec_b64 s[42:43], vcc
	s_cbranch_execz .LBB2_5298
; %bb.5293:                             ;   in Loop: Header=BB2_4891 Depth=3
	v_and_b32_e32 v3, 0x7c0000, v11
	v_bfe_u32 v4, v11, 16, 2
	v_cmp_ne_u32_e32 vcc, s44, v3
                                        ; implicit-def: $vgpr3
	s_and_saveexec_b64 s[36:37], vcc
	s_xor_b64 s[36:37], exec, s[36:37]
	s_cbranch_execz .LBB2_5295
; %bb.5294:                             ;   in Loop: Header=BB2_4891 Depth=3
	v_ffbh_u32_e32 v3, v4
	v_min_u32_e32 v9, 32, v3
	v_subrev_u32_e32 v3, 29, v9
	v_lshlrev_b64 v[2:3], v3, v[2:3]
	v_bfe_u32 v8, v11, 18, 5
	v_and_b32_e32 v2, 3, v2
	v_cmp_eq_u32_e32 vcc, 0, v8
	v_sub_u32_e32 v3, 30, v9
	v_cndmask_b32_e32 v2, v4, v2, vcc
	v_lshlrev_b32_e32 v4, 8, v11
	v_cndmask_b32_e32 v3, v8, v3, vcc
	v_and_b32_e32 v4, 0x80000000, v4
	v_lshl_add_u32 v3, v3, 23, v4
	v_lshl_or_b32 v2, v2, 21, v3
	v_add_u32_e32 v3, 0x38000000, v2
                                        ; implicit-def: $vgpr4
                                        ; implicit-def: $vgpr2
.LBB2_5295:                             ;   in Loop: Header=BB2_4891 Depth=3
	s_andn2_saveexec_b64 s[36:37], s[36:37]
; %bb.5296:                             ;   in Loop: Header=BB2_4891 Depth=3
	v_cmp_gt_i16_sdwa vcc, sext(v2), v48 src0_sel:BYTE_0 src1_sel:DWORD
	v_cndmask_b32_e32 v2, v7, v0, vcc
	v_cmp_eq_u32_e32 vcc, 0, v4
	v_cndmask_b32_e32 v3, v35, v2, vcc
; %bb.5297:                             ;   in Loop: Header=BB2_4891 Depth=3
	s_or_b64 exec, exec, s[36:37]
.LBB2_5298:                             ;   in Loop: Header=BB2_4891 Depth=3
	s_or_b64 exec, exec, s[42:43]
.LBB2_5299:                             ;   in Loop: Header=BB2_4891 Depth=3
	s_or_b64 exec, exec, s[40:41]
	v_mul_f32_e32 v2, v23, v3
	v_and_b32_e32 v3, 0x7f800000, v2
	v_mov_b32_e32 v4, v29
	v_cmp_ne_u64_e32 vcc, s[76:77], v[3:4]
	v_and_b32_e32 v28, 0x7fffff, v2
                                        ; implicit-def: $vgpr47
	s_and_saveexec_b64 s[40:41], vcc
	s_xor_b64 s[42:43], exec, s[40:41]
	s_cbranch_execz .LBB2_5313
; %bb.5300:                             ;   in Loop: Header=BB2_4891 Depth=3
	v_and_b32_e32 v3, 0x7fffffff, v2
	v_mov_b32_e32 v4, v29
	v_cmp_gt_u64_e32 vcc, s[78:79], v[3:4]
	v_and_b32_sdwa v8, v2, s96 dst_sel:DWORD dst_unused:UNUSED_PAD src0_sel:BYTE_3 src1_sel:DWORD
                                        ; implicit-def: $vgpr47
	s_and_saveexec_b64 s[40:41], vcc
	s_xor_b64 s[36:37], exec, s[40:41]
	s_cbranch_execz .LBB2_5310
; %bb.5301:                             ;   in Loop: Header=BB2_4891 Depth=3
	v_mov_b32_e32 v47, 0
	v_cmp_ne_u32_e32 vcc, 0, v2
	s_and_saveexec_b64 s[38:39], vcc
	s_cbranch_execz .LBB2_5309
; %bb.5302:                             ;   in Loop: Header=BB2_4891 Depth=3
	v_bfe_u32 v9, v2, 23, 8
	v_cmp_gt_u32_e64 s[40:41], s46, v9
	v_sub_u32_e32 v2, 0x71, v9
	v_cmp_eq_u32_e32 vcc, 0, v9
	v_cndmask_b32_e64 v2, 0, v2, s[40:41]
	v_mov_b32_e32 v4, 0x70
	v_cndmask_b32_e32 v17, v2, v4, vcc
	v_add_u32_e32 v4, 21, v17
	v_or_b32_e32 v3, 0x800000, v28
	v_lshlrev_b64 v[38:39], v4, -1
	v_cndmask_b32_e32 v2, v3, v28, vcc
	v_mov_b32_e32 v3, v29
	v_add_u32_e32 v4, 20, v17
	v_bfi_b32 v38, v38, 0, v2
	v_lshlrev_b64 v[40:41], v4, 1
	v_lshrrev_b64 v[2:3], v17, v[2:3]
	v_bfi_b32 v39, v39, 0, 0
	v_cmp_eq_u64_e64 s[40:41], v[38:39], v[40:41]
	v_mov_b32_e32 v4, v3
	v_mov_b32_e32 v3, v2
	s_and_saveexec_b64 s[48:49], s[40:41]
; %bb.5303:                             ;   in Loop: Header=BB2_4891 Depth=3
	v_bfe_u32 v3, v2, 21, 1
	v_add_co_u32_e64 v3, s[40:41], v2, v3
	v_add_co_u32_e64 v3, s[40:41], -1, v3
; %bb.5304:                             ;   in Loop: Header=BB2_4891 Depth=3
	s_or_b64 exec, exec, s[48:49]
	v_add_u32_e32 v4, 0xffffff81, v9
	v_cndmask_b32_e32 v4, v4, v1, vcc
	v_lshrrev_b32_e32 v9, 23, v2
	v_add3_u32 v17, v17, v4, v9
	v_add_u32_e32 v9, 14, v17
	v_and_b32_e32 v3, 0x1fffff, v3
	v_add_u32_e32 v28, v3, v2
	v_cmp_ne_u32_e32 vcc, 0, v9
                                        ; implicit-def: $vgpr2_vgpr3
                                        ; implicit-def: $vgpr4
	s_and_saveexec_b64 s[40:41], vcc
	s_xor_b64 s[40:41], exec, s[40:41]
; %bb.5305:                             ;   in Loop: Header=BB2_4891 Depth=3
	v_cmp_lt_u64_e32 vcc, s[88:89], v[28:29]
	v_add_u32_e32 v2, 15, v17
	v_cndmask_b32_e32 v4, v9, v2, vcc
	v_cndmask_b32_e64 v2, 0, 1, vcc
	v_lshrrev_b64 v[2:3], v2, v[28:29]
; %bb.5306:                             ;   in Loop: Header=BB2_4891 Depth=3
	s_andn2_saveexec_b64 s[40:41], s[40:41]
; %bb.5307:                             ;   in Loop: Header=BB2_4891 Depth=3
	v_mov_b32_e32 v2, v28
	v_mov_b32_e32 v3, v29
	v_bfe_u32 v4, v28, 23, 1
; %bb.5308:                             ;   in Loop: Header=BB2_4891 Depth=3
	s_or_b64 exec, exec, s[40:41]
	v_lshrrev_b64 v[2:3], 21, v[2:3]
	v_cmp_gt_i32_e32 vcc, 32, v4
	v_cndmask_b32_e32 v3, 0, v3, vcc
	v_cndmask_b32_e32 v2, 3, v2, vcc
	v_cmp_eq_u64_e64 s[40:41], 0, v[2:3]
	v_min_i32_e32 v3, 31, v4
	v_lshlrev_b32_e32 v3, 2, v3
	v_cmp_eq_u32_e32 vcc, 0, v4
	v_and_b32_e32 v3, 0xfc, v3
	v_and_or_b32 v2, v2, 3, v3
	s_and_b64 s[40:41], vcc, s[40:41]
	v_cndmask_b32_e64 v2, v2, 0, s[40:41]
	v_or_b32_e32 v47, v2, v8
.LBB2_5309:                             ;   in Loop: Header=BB2_4891 Depth=3
	s_or_b64 exec, exec, s[38:39]
                                        ; implicit-def: $vgpr8
.LBB2_5310:                             ;   in Loop: Header=BB2_4891 Depth=3
	s_andn2_saveexec_b64 s[40:41], s[36:37]
; %bb.5311:                             ;   in Loop: Header=BB2_4891 Depth=3
	v_or_b32_e32 v47, 0x7b, v8
; %bb.5312:                             ;   in Loop: Header=BB2_4891 Depth=3
	s_or_b64 exec, exec, s[40:41]
                                        ; implicit-def: $vgpr2
.LBB2_5313:                             ;   in Loop: Header=BB2_4891 Depth=3
	s_andn2_saveexec_b64 s[40:41], s[42:43]
	s_cbranch_execz .LBB2_5319
; %bb.5314:                             ;   in Loop: Header=BB2_4891 Depth=3
	v_cmp_ne_u64_e32 vcc, 0, v[28:29]
                                        ; implicit-def: $vgpr47
	s_and_saveexec_b64 s[42:43], vcc
	s_xor_b64 s[42:43], exec, s[42:43]
; %bb.5315:                             ;   in Loop: Header=BB2_4891 Depth=3
	v_or_b32_sdwa v47, v2, s47 dst_sel:DWORD dst_unused:UNUSED_PAD src0_sel:BYTE_3 src1_sel:DWORD
                                        ; implicit-def: $vgpr2
; %bb.5316:                             ;   in Loop: Header=BB2_4891 Depth=3
	s_andn2_saveexec_b64 s[42:43], s[42:43]
; %bb.5317:                             ;   in Loop: Header=BB2_4891 Depth=3
	v_cmp_lt_i32_e32 vcc, -1, v2
	v_cndmask_b32_e32 v47, v6, v22, vcc
; %bb.5318:                             ;   in Loop: Header=BB2_4891 Depth=3
	s_or_b64 exec, exec, s[42:43]
.LBB2_5319:                             ;   in Loop: Header=BB2_4891 Depth=3
	s_or_b64 exec, exec, s[40:41]
	v_cmp_lt_u64_e32 vcc, s[56:57], v[10:11]
	v_mov_b32_e32 v3, 0
	s_and_saveexec_b64 s[40:41], vcc
	s_cbranch_execz .LBB2_5327
; %bb.5320:                             ;   in Loop: Header=BB2_4891 Depth=3
	v_lshrrev_b32_e32 v2, 24, v11
	v_cmp_ne_u32_e32 vcc, s96, v2
	v_bfrev_b32_e32 v3, 1
	s_and_saveexec_b64 s[42:43], vcc
	s_cbranch_execz .LBB2_5326
; %bb.5321:                             ;   in Loop: Header=BB2_4891 Depth=3
	v_and_b32_e32 v3, 0x7c000000, v11
	v_bfe_u32 v4, v11, 24, 2
	v_cmp_ne_u32_e32 vcc, s45, v3
                                        ; implicit-def: $vgpr3
	s_and_saveexec_b64 s[36:37], vcc
	s_xor_b64 s[36:37], exec, s[36:37]
	s_cbranch_execz .LBB2_5323
; %bb.5322:                             ;   in Loop: Header=BB2_4891 Depth=3
	v_ffbh_u32_e32 v3, v4
	v_min_u32_e32 v9, 32, v3
	v_subrev_u32_e32 v3, 29, v9
	v_lshlrev_b64 v[2:3], v3, v[2:3]
	v_bfe_u32 v8, v11, 26, 5
	v_sub_u32_e32 v3, 30, v9
	v_and_b32_e32 v2, 3, v2
	v_cmp_eq_u32_e32 vcc, 0, v8
	v_cndmask_b32_e32 v3, v8, v3, vcc
	v_cndmask_b32_e32 v2, v4, v2, vcc
	v_and_b32_e32 v4, 0x80000000, v11
	v_lshl_add_u32 v3, v3, 23, v4
	v_lshl_or_b32 v2, v2, 21, v3
	v_add_u32_e32 v3, 0x38000000, v2
                                        ; implicit-def: $vgpr4
                                        ; implicit-def: $vgpr10_vgpr11
.LBB2_5323:                             ;   in Loop: Header=BB2_4891 Depth=3
	s_andn2_saveexec_b64 s[36:37], s[36:37]
; %bb.5324:                             ;   in Loop: Header=BB2_4891 Depth=3
	v_cmp_lt_i64_e32 vcc, -1, v[10:11]
	v_cndmask_b32_e32 v2, v7, v0, vcc
	v_cmp_eq_u32_e32 vcc, 0, v4
	v_cndmask_b32_e32 v3, v35, v2, vcc
; %bb.5325:                             ;   in Loop: Header=BB2_4891 Depth=3
	s_or_b64 exec, exec, s[36:37]
.LBB2_5326:                             ;   in Loop: Header=BB2_4891 Depth=3
	s_or_b64 exec, exec, s[42:43]
.LBB2_5327:                             ;   in Loop: Header=BB2_4891 Depth=3
	s_or_b64 exec, exec, s[40:41]
	v_mul_f32_e32 v2, v23, v3
	v_and_b32_e32 v3, 0x7f800000, v2
	v_mov_b32_e32 v4, v29
	v_cmp_ne_u64_e32 vcc, s[76:77], v[3:4]
	v_and_b32_e32 v28, 0x7fffff, v2
                                        ; implicit-def: $vgpr57
	s_and_saveexec_b64 s[40:41], vcc
	s_xor_b64 s[42:43], exec, s[40:41]
	s_cbranch_execz .LBB2_5341
; %bb.5328:                             ;   in Loop: Header=BB2_4891 Depth=3
	v_and_b32_e32 v3, 0x7fffffff, v2
	v_mov_b32_e32 v4, v29
	v_cmp_gt_u64_e32 vcc, s[78:79], v[3:4]
	v_and_b32_sdwa v8, v2, s96 dst_sel:DWORD dst_unused:UNUSED_PAD src0_sel:BYTE_3 src1_sel:DWORD
                                        ; implicit-def: $vgpr57
	s_and_saveexec_b64 s[40:41], vcc
	s_xor_b64 s[36:37], exec, s[40:41]
	s_cbranch_execz .LBB2_5338
; %bb.5329:                             ;   in Loop: Header=BB2_4891 Depth=3
	v_mov_b32_e32 v57, 0
	v_cmp_ne_u32_e32 vcc, 0, v2
	s_and_saveexec_b64 s[38:39], vcc
	s_cbranch_execz .LBB2_5337
; %bb.5330:                             ;   in Loop: Header=BB2_4891 Depth=3
	v_bfe_u32 v9, v2, 23, 8
	v_cmp_gt_u32_e64 s[40:41], s46, v9
	v_sub_u32_e32 v2, 0x71, v9
	v_cmp_eq_u32_e32 vcc, 0, v9
	v_cndmask_b32_e64 v2, 0, v2, s[40:41]
	v_mov_b32_e32 v4, 0x70
	v_cndmask_b32_e32 v10, v2, v4, vcc
	v_add_u32_e32 v4, 21, v10
	v_or_b32_e32 v3, 0x800000, v28
	v_lshlrev_b64 v[38:39], v4, -1
	v_cndmask_b32_e32 v2, v3, v28, vcc
	v_mov_b32_e32 v3, v29
	v_add_u32_e32 v4, 20, v10
	v_bfi_b32 v38, v38, 0, v2
	v_lshlrev_b64 v[40:41], v4, 1
	v_lshrrev_b64 v[2:3], v10, v[2:3]
	v_bfi_b32 v39, v39, 0, 0
	v_cmp_eq_u64_e64 s[40:41], v[38:39], v[40:41]
	v_mov_b32_e32 v4, v3
	v_mov_b32_e32 v3, v2
	s_and_saveexec_b64 s[48:49], s[40:41]
; %bb.5331:                             ;   in Loop: Header=BB2_4891 Depth=3
	v_bfe_u32 v3, v2, 21, 1
	v_add_co_u32_e64 v3, s[40:41], v2, v3
	v_add_co_u32_e64 v3, s[40:41], -1, v3
; %bb.5332:                             ;   in Loop: Header=BB2_4891 Depth=3
	s_or_b64 exec, exec, s[48:49]
	v_add_u32_e32 v4, 0xffffff81, v9
	v_cndmask_b32_e32 v4, v4, v1, vcc
	v_lshrrev_b32_e32 v9, 23, v2
	v_add3_u32 v10, v10, v4, v9
	v_add_u32_e32 v9, 14, v10
	v_and_b32_e32 v3, 0x1fffff, v3
	v_add_u32_e32 v28, v3, v2
	v_cmp_ne_u32_e32 vcc, 0, v9
                                        ; implicit-def: $vgpr2_vgpr3
                                        ; implicit-def: $vgpr4
	s_and_saveexec_b64 s[40:41], vcc
	s_xor_b64 s[40:41], exec, s[40:41]
; %bb.5333:                             ;   in Loop: Header=BB2_4891 Depth=3
	v_cmp_lt_u64_e32 vcc, s[88:89], v[28:29]
	v_add_u32_e32 v2, 15, v10
	v_cndmask_b32_e32 v4, v9, v2, vcc
	v_cndmask_b32_e64 v2, 0, 1, vcc
	v_lshrrev_b64 v[2:3], v2, v[28:29]
; %bb.5334:                             ;   in Loop: Header=BB2_4891 Depth=3
	s_andn2_saveexec_b64 s[40:41], s[40:41]
; %bb.5335:                             ;   in Loop: Header=BB2_4891 Depth=3
	v_mov_b32_e32 v2, v28
	v_mov_b32_e32 v3, v29
	v_bfe_u32 v4, v28, 23, 1
; %bb.5336:                             ;   in Loop: Header=BB2_4891 Depth=3
	s_or_b64 exec, exec, s[40:41]
	v_lshrrev_b64 v[2:3], 21, v[2:3]
	v_cmp_gt_i32_e32 vcc, 32, v4
	v_cndmask_b32_e32 v3, 0, v3, vcc
	v_cndmask_b32_e32 v2, 3, v2, vcc
	v_cmp_eq_u64_e64 s[40:41], 0, v[2:3]
	v_min_i32_e32 v3, 31, v4
	v_lshlrev_b32_e32 v3, 2, v3
	v_cmp_eq_u32_e32 vcc, 0, v4
	v_and_b32_e32 v3, 0xfc, v3
	v_and_or_b32 v2, v2, 3, v3
	s_and_b64 s[40:41], vcc, s[40:41]
	v_cndmask_b32_e64 v2, v2, 0, s[40:41]
	v_or_b32_e32 v57, v2, v8
.LBB2_5337:                             ;   in Loop: Header=BB2_4891 Depth=3
	s_or_b64 exec, exec, s[38:39]
                                        ; implicit-def: $vgpr8
.LBB2_5338:                             ;   in Loop: Header=BB2_4891 Depth=3
	s_andn2_saveexec_b64 s[40:41], s[36:37]
; %bb.5339:                             ;   in Loop: Header=BB2_4891 Depth=3
	v_or_b32_e32 v57, 0x7b, v8
; %bb.5340:                             ;   in Loop: Header=BB2_4891 Depth=3
	s_or_b64 exec, exec, s[40:41]
                                        ; implicit-def: $vgpr2
.LBB2_5341:                             ;   in Loop: Header=BB2_4891 Depth=3
	s_andn2_saveexec_b64 s[40:41], s[42:43]
	s_cbranch_execz .LBB2_5347
; %bb.5342:                             ;   in Loop: Header=BB2_4891 Depth=3
	v_cmp_ne_u64_e32 vcc, 0, v[28:29]
                                        ; implicit-def: $vgpr57
	s_and_saveexec_b64 s[42:43], vcc
	s_xor_b64 s[42:43], exec, s[42:43]
; %bb.5343:                             ;   in Loop: Header=BB2_4891 Depth=3
	v_or_b32_sdwa v57, v2, s47 dst_sel:DWORD dst_unused:UNUSED_PAD src0_sel:BYTE_3 src1_sel:DWORD
                                        ; implicit-def: $vgpr2
; %bb.5344:                             ;   in Loop: Header=BB2_4891 Depth=3
	s_andn2_saveexec_b64 s[42:43], s[42:43]
; %bb.5345:                             ;   in Loop: Header=BB2_4891 Depth=3
	v_cmp_lt_i32_e32 vcc, -1, v2
	v_cndmask_b32_e32 v57, v6, v22, vcc
; %bb.5346:                             ;   in Loop: Header=BB2_4891 Depth=3
	s_or_b64 exec, exec, s[42:43]
.LBB2_5347:                             ;   in Loop: Header=BB2_4891 Depth=3
	s_or_b64 exec, exec, s[40:41]
	global_load_dwordx4 v[8:11], v[44:45], off glc slc
	v_lshl_or_b32 v51, v51, 8, v14
	v_lshlrev_b32_e32 v2, 16, v54
	v_lshlrev_b32_e32 v3, 24, v58
	v_or3_b32 v28, v2, v3, v51
	v_cmp_ne_u32_e32 vcc, 0, v14
	v_mov_b32_e32 v2, 0
	s_and_saveexec_b64 s[42:43], vcc
	s_cbranch_execz .LBB2_5355
; %bb.5348:                             ;   in Loop: Header=BB2_4891 Depth=3
	v_cmp_ne_u32_e32 vcc, s96, v14
	v_bfrev_b32_e32 v2, 1
	s_and_saveexec_b64 s[36:37], vcc
	s_cbranch_execz .LBB2_5354
; %bb.5349:                             ;   in Loop: Header=BB2_4891 Depth=3
	v_and_b32_e32 v2, 0x7c, v14
	v_and_b32_e32 v3, 3, v14
	v_cmp_ne_u32_e32 vcc, s85, v2
                                        ; implicit-def: $vgpr2
	s_and_saveexec_b64 s[40:41], vcc
	s_xor_b64 s[40:41], exec, s[40:41]
	s_cbranch_execz .LBB2_5351
; %bb.5350:                             ;   in Loop: Header=BB2_4891 Depth=3
	v_ffbh_u32_e32 v4, v3
	v_min_u32_e32 v4, 32, v4
	v_bfe_u32 v2, v14, 2, 5
	v_subrev_u32_e32 v17, 29, v4
	v_lshlrev_b64 v[38:39], v17, v[28:29]
	v_sub_u32_e32 v4, 30, v4
	v_cmp_eq_u32_e32 vcc, 0, v2
	v_cndmask_b32_e32 v2, v2, v4, vcc
	v_lshlrev_b32_e32 v4, 24, v14
	v_and_b32_e32 v17, 3, v38
	v_and_b32_e32 v4, 0x80000000, v4
	v_cndmask_b32_e32 v3, v3, v17, vcc
	v_lshl_add_u32 v2, v2, 23, v4
	v_lshl_or_b32 v2, v3, 21, v2
	v_add_u32_e32 v2, 0x38000000, v2
                                        ; implicit-def: $vgpr3
                                        ; implicit-def: $vgpr14
.LBB2_5351:                             ;   in Loop: Header=BB2_4891 Depth=3
	s_andn2_saveexec_b64 s[38:39], s[40:41]
; %bb.5352:                             ;   in Loop: Header=BB2_4891 Depth=3
	v_and_b32_e32 v2, 0x80, v14
	v_cmp_eq_u32_e64 s[40:41], 0, v2
	v_cmp_eq_u32_e32 vcc, 0, v3
	v_cndmask_b32_e64 v2, v7, v0, s[40:41]
	v_cndmask_b32_e32 v2, v35, v2, vcc
; %bb.5353:                             ;   in Loop: Header=BB2_4891 Depth=3
	s_or_b64 exec, exec, s[38:39]
.LBB2_5354:                             ;   in Loop: Header=BB2_4891 Depth=3
	s_or_b64 exec, exec, s[36:37]
.LBB2_5355:                             ;   in Loop: Header=BB2_4891 Depth=3
	s_or_b64 exec, exec, s[42:43]
	s_waitcnt vmcnt(0)
	v_cmp_gt_i16_sdwa s[42:43], v8, s47 src0_sel:BYTE_0 src1_sel:DWORD
	s_mov_b64 s[40:41], 0
	s_and_saveexec_b64 vcc, s[42:43]
	s_xor_b64 s[42:43], exec, vcc
	s_cbranch_execz .LBB2_5874
; %bb.5356:                             ;   in Loop: Header=BB2_4891 Depth=3
	v_cmp_eq_u16_sdwa s[36:37], v8, s96 src0_sel:BYTE_0 src1_sel:DWORD
	s_mov_b64 s[40:41], -1
	s_and_saveexec_b64 vcc, s[36:37]
; %bb.5357:                             ;   in Loop: Header=BB2_4891 Depth=3
	s_xor_b64 s[40:41], exec, -1
; %bb.5358:                             ;   in Loop: Header=BB2_4891 Depth=3
	s_or_b64 exec, exec, vcc
	s_and_b64 s[40:41], s[40:41], exec
	s_or_saveexec_b64 s[42:43], s[42:43]
	v_bfrev_b32_e32 v3, 1
	s_xor_b64 exec, exec, s[42:43]
	s_cbranch_execnz .LBB2_5875
.LBB2_5359:                             ;   in Loop: Header=BB2_4891 Depth=3
	s_or_b64 exec, exec, s[42:43]
	s_and_saveexec_b64 s[36:37], s[40:41]
	s_cbranch_execz .LBB2_5361
.LBB2_5360:                             ;   in Loop: Header=BB2_4891 Depth=3
	v_and_b32_e32 v14, 3, v8
	v_and_b32_e32 v3, 0x7c, v8
	v_cmp_eq_u32_e32 vcc, s85, v3
	v_ffbh_u32_e32 v3, v14
	v_min_u32_e32 v23, 32, v3
	v_subrev_u32_e32 v3, 29, v23
	v_bfe_u32 v17, v8, 2, 5
	v_lshlrev_b64 v[3:4], v3, v[8:9]
	v_cmp_eq_u32_e64 s[40:41], 0, v17
	v_sub_u32_e32 v4, 30, v23
	v_cndmask_b32_e64 v4, v17, v4, s[40:41]
	v_lshlrev_b32_e32 v17, 24, v8
	v_and_b32_e32 v3, 3, v3
	v_and_b32_e32 v17, 0x80000000, v17
	v_cndmask_b32_e64 v3, v14, v3, s[40:41]
	v_lshl_add_u32 v4, v4, 23, v17
	v_cmp_gt_i16_sdwa s[42:43], sext(v8), v48 src0_sel:BYTE_0 src1_sel:DWORD
	v_lshl_or_b32 v3, v3, 21, v4
	v_cmp_eq_u32_e64 s[40:41], 0, v14
	v_cndmask_b32_e64 v4, v7, v0, s[42:43]
	v_add_u32_e32 v3, 0x38000000, v3
	v_cndmask_b32_e64 v4, v35, v4, s[40:41]
	v_cndmask_b32_e32 v3, v3, v4, vcc
.LBB2_5361:                             ;   in Loop: Header=BB2_4891 Depth=3
	s_or_b64 exec, exec, s[36:37]
	v_add_f32_e32 v4, v2, v3
	v_and_b32_e32 v38, 0x7f800000, v4
	v_mov_b32_e32 v39, v29
	v_cmp_ne_u64_e32 vcc, s[76:77], v[38:39]
	v_and_b32_e32 v2, 0x7fffff, v4
	v_mov_b32_e32 v3, v29
                                        ; implicit-def: $vgpr23
	s_and_saveexec_b64 s[40:41], vcc
	s_xor_b64 s[42:43], exec, s[40:41]
	s_cbranch_execz .LBB2_5375
; %bb.5362:                             ;   in Loop: Header=BB2_4891 Depth=3
	v_and_b32_e32 v38, 0x7fffffff, v4
	v_mov_b32_e32 v39, v29
	v_cmp_gt_u64_e32 vcc, s[78:79], v[38:39]
	v_and_b32_sdwa v14, v4, s96 dst_sel:DWORD dst_unused:UNUSED_PAD src0_sel:BYTE_3 src1_sel:DWORD
                                        ; implicit-def: $vgpr23
	s_and_saveexec_b64 s[40:41], vcc
	s_xor_b64 s[36:37], exec, s[40:41]
	s_cbranch_execz .LBB2_5372
; %bb.5363:                             ;   in Loop: Header=BB2_4891 Depth=3
	v_mov_b32_e32 v23, 0
	v_cmp_ne_u32_e32 vcc, 0, v4
	s_and_saveexec_b64 s[38:39], vcc
	s_cbranch_execz .LBB2_5371
; %bb.5364:                             ;   in Loop: Header=BB2_4891 Depth=3
	v_bfe_u32 v17, v4, 23, 8
	v_cmp_gt_u32_e64 s[40:41], s46, v17
	v_sub_u32_e32 v4, 0x71, v17
	v_cmp_eq_u32_e32 vcc, 0, v17
	v_cndmask_b32_e64 v4, 0, v4, s[40:41]
	v_mov_b32_e32 v23, 0x70
	v_cndmask_b32_e32 v23, v4, v23, vcc
	v_or_b32_e32 v38, 0x800000, v2
	v_add_u32_e32 v4, 21, v23
	v_cndmask_b32_e32 v2, v38, v2, vcc
	v_lshlrev_b64 v[38:39], v4, -1
	v_add_u32_e32 v4, 20, v23
	v_bfi_b32 v38, v38, 0, v2
	v_lshlrev_b64 v[40:41], v4, 1
	v_lshrrev_b64 v[2:3], v23, v[2:3]
	v_bfi_b32 v39, v39, 0, 0
	v_cmp_eq_u64_e64 s[40:41], v[38:39], v[40:41]
	v_mov_b32_e32 v4, v3
	v_mov_b32_e32 v3, v2
	s_and_saveexec_b64 s[48:49], s[40:41]
; %bb.5365:                             ;   in Loop: Header=BB2_4891 Depth=3
	v_bfe_u32 v3, v2, 21, 1
	v_add_co_u32_e64 v3, s[40:41], v2, v3
	v_add_co_u32_e64 v3, s[40:41], -1, v3
; %bb.5366:                             ;   in Loop: Header=BB2_4891 Depth=3
	s_or_b64 exec, exec, s[48:49]
	v_add_u32_e32 v4, 0xffffff81, v17
	v_cndmask_b32_e32 v4, v4, v1, vcc
	v_lshrrev_b32_e32 v17, 23, v2
	v_add3_u32 v23, v23, v4, v17
	v_add_u32_e32 v17, 14, v23
	v_and_b32_e32 v3, 0x1fffff, v3
	v_add_u32_e32 v2, v3, v2
	v_mov_b32_e32 v3, v29
	v_cmp_ne_u32_e32 vcc, 0, v17
                                        ; implicit-def: $vgpr4
	s_and_saveexec_b64 s[40:41], vcc
	s_xor_b64 s[40:41], exec, s[40:41]
; %bb.5367:                             ;   in Loop: Header=BB2_4891 Depth=3
	v_cmp_lt_u64_e32 vcc, s[88:89], v[2:3]
	v_add_u32_e32 v4, 15, v23
	v_cndmask_b32_e32 v4, v17, v4, vcc
	v_cndmask_b32_e64 v17, 0, 1, vcc
	v_lshrrev_b64 v[2:3], v17, v[2:3]
; %bb.5368:                             ;   in Loop: Header=BB2_4891 Depth=3
	s_andn2_saveexec_b64 s[40:41], s[40:41]
; %bb.5369:                             ;   in Loop: Header=BB2_4891 Depth=3
	v_bfe_u32 v4, v2, 23, 1
; %bb.5370:                             ;   in Loop: Header=BB2_4891 Depth=3
	s_or_b64 exec, exec, s[40:41]
	v_lshrrev_b64 v[2:3], 21, v[2:3]
	v_cmp_gt_i32_e32 vcc, 32, v4
	v_cndmask_b32_e32 v3, 0, v3, vcc
	v_cndmask_b32_e32 v2, 3, v2, vcc
	v_cmp_eq_u64_e64 s[40:41], 0, v[2:3]
	v_min_i32_e32 v3, 31, v4
	v_lshlrev_b32_e32 v3, 2, v3
	v_cmp_eq_u32_e32 vcc, 0, v4
	v_and_b32_e32 v3, 0xfc, v3
	v_and_or_b32 v2, v2, 3, v3
	s_and_b64 s[40:41], vcc, s[40:41]
	v_cndmask_b32_e64 v2, v2, 0, s[40:41]
	v_or_b32_e32 v23, v2, v14
.LBB2_5371:                             ;   in Loop: Header=BB2_4891 Depth=3
	s_or_b64 exec, exec, s[38:39]
                                        ; implicit-def: $vgpr14
.LBB2_5372:                             ;   in Loop: Header=BB2_4891 Depth=3
	s_andn2_saveexec_b64 s[40:41], s[36:37]
; %bb.5373:                             ;   in Loop: Header=BB2_4891 Depth=3
	v_or_b32_e32 v23, 0x7b, v14
; %bb.5374:                             ;   in Loop: Header=BB2_4891 Depth=3
	s_or_b64 exec, exec, s[40:41]
                                        ; implicit-def: $vgpr4
                                        ; implicit-def: $vgpr2_vgpr3
.LBB2_5375:                             ;   in Loop: Header=BB2_4891 Depth=3
	s_andn2_saveexec_b64 s[40:41], s[42:43]
	s_cbranch_execz .LBB2_5381
; %bb.5376:                             ;   in Loop: Header=BB2_4891 Depth=3
	v_cmp_ne_u64_e32 vcc, 0, v[2:3]
                                        ; implicit-def: $vgpr23
	s_and_saveexec_b64 s[42:43], vcc
	s_xor_b64 s[42:43], exec, s[42:43]
; %bb.5377:                             ;   in Loop: Header=BB2_4891 Depth=3
	v_or_b32_sdwa v23, v4, s47 dst_sel:DWORD dst_unused:UNUSED_PAD src0_sel:BYTE_3 src1_sel:DWORD
                                        ; implicit-def: $vgpr4
; %bb.5378:                             ;   in Loop: Header=BB2_4891 Depth=3
	s_andn2_saveexec_b64 s[42:43], s[42:43]
; %bb.5379:                             ;   in Loop: Header=BB2_4891 Depth=3
	v_cmp_lt_i32_e32 vcc, -1, v4
	v_cndmask_b32_e32 v23, v6, v22, vcc
; %bb.5380:                             ;   in Loop: Header=BB2_4891 Depth=3
	s_or_b64 exec, exec, s[42:43]
.LBB2_5381:                             ;   in Loop: Header=BB2_4891 Depth=3
	s_or_b64 exec, exec, s[40:41]
	v_lshrrev_b16_e32 v2, 8, v51
	v_cmp_ne_u16_e32 vcc, 0, v2
	v_mov_b32_e32 v4, 0
	s_and_saveexec_b64 s[40:41], vcc
	s_cbranch_execz .LBB2_5389
; %bb.5382:                             ;   in Loop: Header=BB2_4891 Depth=3
	v_cmp_ne_u16_e32 vcc, s96, v2
	v_bfrev_b32_e32 v4, 1
	s_and_saveexec_b64 s[42:43], vcc
	s_cbranch_execz .LBB2_5388
; %bb.5383:                             ;   in Loop: Header=BB2_4891 Depth=3
	v_and_b32_e32 v3, 0x7c, v2
	v_and_b32_e32 v14, 3, v2
	v_cmp_ne_u32_e32 vcc, s85, v3
                                        ; implicit-def: $vgpr4
	s_and_saveexec_b64 s[36:37], vcc
	s_xor_b64 s[36:37], exec, s[36:37]
	s_cbranch_execz .LBB2_5385
; %bb.5384:                             ;   in Loop: Header=BB2_4891 Depth=3
	v_ffbh_u32_e32 v17, v14
	v_min_u32_e32 v17, 32, v17
	v_mov_b32_e32 v3, v29
	v_subrev_u32_e32 v38, 29, v17
	v_bfe_u32 v4, v2, 2, 5
	v_lshlrev_b64 v[2:3], v38, v[2:3]
	v_sub_u32_e32 v3, 30, v17
	v_cmp_eq_u32_e32 vcc, 0, v4
	v_cndmask_b32_e32 v3, v4, v3, vcc
	v_lshlrev_b32_e32 v4, 16, v51
	v_and_b32_e32 v2, 3, v2
	v_and_b32_e32 v4, 0x80000000, v4
	v_cndmask_b32_e32 v2, v14, v2, vcc
	v_lshl_add_u32 v3, v3, 23, v4
	v_lshl_or_b32 v2, v2, 21, v3
	v_add_u32_e32 v4, 0x38000000, v2
                                        ; implicit-def: $vgpr14
                                        ; implicit-def: $vgpr51
.LBB2_5385:                             ;   in Loop: Header=BB2_4891 Depth=3
	s_andn2_saveexec_b64 s[36:37], s[36:37]
; %bb.5386:                             ;   in Loop: Header=BB2_4891 Depth=3
	v_cmp_lt_i16_e32 vcc, -1, v51
	v_cndmask_b32_e32 v2, v7, v0, vcc
	v_cmp_eq_u32_e32 vcc, 0, v14
	v_cndmask_b32_e32 v4, v35, v2, vcc
; %bb.5387:                             ;   in Loop: Header=BB2_4891 Depth=3
	s_or_b64 exec, exec, s[36:37]
.LBB2_5388:                             ;   in Loop: Header=BB2_4891 Depth=3
	s_or_b64 exec, exec, s[42:43]
.LBB2_5389:                             ;   in Loop: Header=BB2_4891 Depth=3
	s_or_b64 exec, exec, s[40:41]
	v_lshrrev_b16_e32 v2, 8, v8
	v_cmp_lt_i16_e32 vcc, s47, v2
	s_mov_b64 s[40:41], 0
	s_and_saveexec_b64 s[42:43], vcc
	s_xor_b64 s[42:43], exec, s[42:43]
	s_cbranch_execz .LBB2_5876
; %bb.5390:                             ;   in Loop: Header=BB2_4891 Depth=3
	v_cmp_eq_u16_e32 vcc, s96, v2
	s_mov_b64 s[40:41], -1
	s_and_saveexec_b64 s[36:37], vcc
; %bb.5391:                             ;   in Loop: Header=BB2_4891 Depth=3
	s_xor_b64 s[40:41], exec, -1
; %bb.5392:                             ;   in Loop: Header=BB2_4891 Depth=3
	s_or_b64 exec, exec, s[36:37]
	s_and_b64 s[40:41], s[40:41], exec
	s_or_saveexec_b64 s[42:43], s[42:43]
	v_bfrev_b32_e32 v3, 1
	s_xor_b64 exec, exec, s[42:43]
	s_cbranch_execnz .LBB2_5877
.LBB2_5393:                             ;   in Loop: Header=BB2_4891 Depth=3
	s_or_b64 exec, exec, s[42:43]
	s_and_saveexec_b64 s[36:37], s[40:41]
	s_cbranch_execz .LBB2_5395
.LBB2_5394:                             ;   in Loop: Header=BB2_4891 Depth=3
	v_and_b32_e32 v14, 3, v2
	v_and_b32_e32 v38, 0x7c, v2
	v_cmp_eq_u32_e32 vcc, s85, v38
	v_ffbh_u32_e32 v38, v14
	v_min_u32_e32 v49, 32, v38
	v_mov_b32_e32 v3, v29
	v_subrev_u32_e32 v38, 29, v49
	v_bfe_u32 v17, v2, 2, 5
	v_lshlrev_b64 v[38:39], v38, v[2:3]
	v_cmp_eq_u32_e64 s[40:41], 0, v17
	v_sub_u32_e32 v3, 30, v49
	v_lshlrev_b32_e32 v2, 24, v2
	v_and_b32_e32 v38, 3, v38
	v_cndmask_b32_e64 v3, v17, v3, s[40:41]
	v_and_b32_e32 v2, 0x80000000, v2
	v_cndmask_b32_e64 v17, v14, v38, s[40:41]
	v_lshl_add_u32 v2, v3, 23, v2
	v_cmp_lt_i16_e64 s[42:43], -1, v8
	v_lshl_or_b32 v2, v17, 21, v2
	v_cmp_eq_u32_e64 s[40:41], 0, v14
	v_cndmask_b32_e64 v3, v7, v0, s[42:43]
	v_add_u32_e32 v2, 0x38000000, v2
	v_cndmask_b32_e64 v3, v35, v3, s[40:41]
	v_cndmask_b32_e32 v3, v2, v3, vcc
.LBB2_5395:                             ;   in Loop: Header=BB2_4891 Depth=3
	s_or_b64 exec, exec, s[36:37]
	v_add_f32_e32 v4, v4, v3
	v_and_b32_e32 v38, 0x7f800000, v4
	v_mov_b32_e32 v39, v29
	v_cmp_ne_u64_e32 vcc, s[76:77], v[38:39]
	v_and_b32_e32 v2, 0x7fffff, v4
	v_mov_b32_e32 v3, v29
                                        ; implicit-def: $vgpr51
	s_and_saveexec_b64 s[40:41], vcc
	s_xor_b64 s[42:43], exec, s[40:41]
	s_cbranch_execz .LBB2_5409
; %bb.5396:                             ;   in Loop: Header=BB2_4891 Depth=3
	v_and_b32_e32 v38, 0x7fffffff, v4
	v_mov_b32_e32 v39, v29
	v_cmp_gt_u64_e32 vcc, s[78:79], v[38:39]
	v_and_b32_sdwa v14, v4, s96 dst_sel:DWORD dst_unused:UNUSED_PAD src0_sel:BYTE_3 src1_sel:DWORD
                                        ; implicit-def: $vgpr51
	s_and_saveexec_b64 s[40:41], vcc
	s_xor_b64 s[36:37], exec, s[40:41]
	s_cbranch_execz .LBB2_5406
; %bb.5397:                             ;   in Loop: Header=BB2_4891 Depth=3
	v_mov_b32_e32 v51, 0
	v_cmp_ne_u32_e32 vcc, 0, v4
	s_and_saveexec_b64 s[38:39], vcc
	s_cbranch_execz .LBB2_5405
; %bb.5398:                             ;   in Loop: Header=BB2_4891 Depth=3
	v_bfe_u32 v17, v4, 23, 8
	v_cmp_gt_u32_e64 s[40:41], s46, v17
	v_sub_u32_e32 v4, 0x71, v17
	v_cmp_eq_u32_e32 vcc, 0, v17
	v_cndmask_b32_e64 v4, 0, v4, s[40:41]
	v_mov_b32_e32 v39, 0x70
	v_cndmask_b32_e32 v49, v4, v39, vcc
	v_or_b32_e32 v38, 0x800000, v2
	v_add_u32_e32 v4, 21, v49
	v_cndmask_b32_e32 v2, v38, v2, vcc
	v_lshlrev_b64 v[38:39], v4, -1
	v_add_u32_e32 v4, 20, v49
	v_bfi_b32 v38, v38, 0, v2
	v_lshlrev_b64 v[40:41], v4, 1
	v_lshrrev_b64 v[2:3], v49, v[2:3]
	v_bfi_b32 v39, v39, 0, 0
	v_cmp_eq_u64_e64 s[40:41], v[38:39], v[40:41]
	v_mov_b32_e32 v4, v3
	v_mov_b32_e32 v3, v2
	s_and_saveexec_b64 s[48:49], s[40:41]
; %bb.5399:                             ;   in Loop: Header=BB2_4891 Depth=3
	v_bfe_u32 v3, v2, 21, 1
	v_add_co_u32_e64 v3, s[40:41], v2, v3
	v_add_co_u32_e64 v3, s[40:41], -1, v3
; %bb.5400:                             ;   in Loop: Header=BB2_4891 Depth=3
	s_or_b64 exec, exec, s[48:49]
	v_add_u32_e32 v4, 0xffffff81, v17
	v_cndmask_b32_e32 v4, v4, v1, vcc
	v_lshrrev_b32_e32 v17, 23, v2
	v_add3_u32 v49, v49, v4, v17
	v_add_u32_e32 v17, 14, v49
	v_and_b32_e32 v3, 0x1fffff, v3
	v_add_u32_e32 v2, v3, v2
	v_mov_b32_e32 v3, v29
	v_cmp_ne_u32_e32 vcc, 0, v17
                                        ; implicit-def: $vgpr4
	s_and_saveexec_b64 s[40:41], vcc
	s_xor_b64 s[40:41], exec, s[40:41]
; %bb.5401:                             ;   in Loop: Header=BB2_4891 Depth=3
	v_cmp_lt_u64_e32 vcc, s[88:89], v[2:3]
	v_add_u32_e32 v4, 15, v49
	v_cndmask_b32_e32 v4, v17, v4, vcc
	v_cndmask_b32_e64 v17, 0, 1, vcc
	v_lshrrev_b64 v[2:3], v17, v[2:3]
; %bb.5402:                             ;   in Loop: Header=BB2_4891 Depth=3
	s_andn2_saveexec_b64 s[40:41], s[40:41]
; %bb.5403:                             ;   in Loop: Header=BB2_4891 Depth=3
	v_bfe_u32 v4, v2, 23, 1
; %bb.5404:                             ;   in Loop: Header=BB2_4891 Depth=3
	s_or_b64 exec, exec, s[40:41]
	v_lshrrev_b64 v[2:3], 21, v[2:3]
	v_cmp_gt_i32_e32 vcc, 32, v4
	v_cndmask_b32_e32 v3, 0, v3, vcc
	v_cndmask_b32_e32 v2, 3, v2, vcc
	v_cmp_eq_u64_e64 s[40:41], 0, v[2:3]
	v_min_i32_e32 v3, 31, v4
	v_lshlrev_b32_e32 v3, 2, v3
	v_cmp_eq_u32_e32 vcc, 0, v4
	v_and_b32_e32 v3, 0xfc, v3
	v_and_or_b32 v2, v2, 3, v3
	s_and_b64 s[40:41], vcc, s[40:41]
	v_cndmask_b32_e64 v2, v2, 0, s[40:41]
	v_or_b32_e32 v51, v2, v14
.LBB2_5405:                             ;   in Loop: Header=BB2_4891 Depth=3
	s_or_b64 exec, exec, s[38:39]
                                        ; implicit-def: $vgpr14
.LBB2_5406:                             ;   in Loop: Header=BB2_4891 Depth=3
	s_andn2_saveexec_b64 s[40:41], s[36:37]
; %bb.5407:                             ;   in Loop: Header=BB2_4891 Depth=3
	v_or_b32_e32 v51, 0x7b, v14
; %bb.5408:                             ;   in Loop: Header=BB2_4891 Depth=3
	s_or_b64 exec, exec, s[40:41]
                                        ; implicit-def: $vgpr4
                                        ; implicit-def: $vgpr2_vgpr3
.LBB2_5409:                             ;   in Loop: Header=BB2_4891 Depth=3
	s_andn2_saveexec_b64 s[40:41], s[42:43]
	s_cbranch_execz .LBB2_5415
; %bb.5410:                             ;   in Loop: Header=BB2_4891 Depth=3
	v_cmp_ne_u64_e32 vcc, 0, v[2:3]
                                        ; implicit-def: $vgpr51
	s_and_saveexec_b64 s[42:43], vcc
	s_xor_b64 s[42:43], exec, s[42:43]
; %bb.5411:                             ;   in Loop: Header=BB2_4891 Depth=3
	v_or_b32_sdwa v51, v4, s47 dst_sel:DWORD dst_unused:UNUSED_PAD src0_sel:BYTE_3 src1_sel:DWORD
                                        ; implicit-def: $vgpr4
; %bb.5412:                             ;   in Loop: Header=BB2_4891 Depth=3
	s_andn2_saveexec_b64 s[42:43], s[42:43]
; %bb.5413:                             ;   in Loop: Header=BB2_4891 Depth=3
	v_cmp_lt_i32_e32 vcc, -1, v4
	v_cndmask_b32_e32 v51, v6, v22, vcc
; %bb.5414:                             ;   in Loop: Header=BB2_4891 Depth=3
	s_or_b64 exec, exec, s[42:43]
.LBB2_5415:                             ;   in Loop: Header=BB2_4891 Depth=3
	s_or_b64 exec, exec, s[40:41]
	v_and_b32_sdwa v4, v28, s87 dst_sel:DWORD dst_unused:UNUSED_PAD src0_sel:WORD_1 src1_sel:DWORD
	v_lshrrev_b32_e32 v2, 16, v28
	v_cmp_ne_u16_e32 vcc, 0, v4
	v_mov_b32_e32 v3, 0
	s_and_saveexec_b64 s[40:41], vcc
	s_cbranch_execz .LBB2_5423
; %bb.5416:                             ;   in Loop: Header=BB2_4891 Depth=3
	v_cmp_ne_u16_e32 vcc, s96, v4
	v_bfrev_b32_e32 v3, 1
	s_and_saveexec_b64 s[42:43], vcc
	s_cbranch_execz .LBB2_5422
; %bb.5417:                             ;   in Loop: Header=BB2_4891 Depth=3
	v_and_b32_e32 v3, 0x7c0000, v28
	v_bfe_u32 v4, v28, 16, 2
	v_cmp_ne_u32_e32 vcc, s44, v3
                                        ; implicit-def: $vgpr3
	s_and_saveexec_b64 s[36:37], vcc
	s_xor_b64 s[36:37], exec, s[36:37]
	s_cbranch_execz .LBB2_5419
; %bb.5418:                             ;   in Loop: Header=BB2_4891 Depth=3
	v_ffbh_u32_e32 v3, v4
	v_min_u32_e32 v17, 32, v3
	v_lshrrev_b32_e32 v2, 16, v28
	v_subrev_u32_e32 v3, 29, v17
	v_lshlrev_b64 v[2:3], v3, v[2:3]
	v_bfe_u32 v14, v28, 18, 5
	v_and_b32_e32 v2, 3, v2
	v_cmp_eq_u32_e32 vcc, 0, v14
	v_sub_u32_e32 v3, 30, v17
	v_cndmask_b32_e32 v2, v4, v2, vcc
	v_lshlrev_b32_e32 v4, 8, v28
	v_cndmask_b32_e32 v3, v14, v3, vcc
	v_and_b32_e32 v4, 0x80000000, v4
	v_lshl_add_u32 v3, v3, 23, v4
	v_lshl_or_b32 v2, v2, 21, v3
	v_add_u32_e32 v3, 0x38000000, v2
                                        ; implicit-def: $vgpr4
                                        ; implicit-def: $vgpr2
.LBB2_5419:                             ;   in Loop: Header=BB2_4891 Depth=3
	s_andn2_saveexec_b64 s[36:37], s[36:37]
; %bb.5420:                             ;   in Loop: Header=BB2_4891 Depth=3
	v_cmp_gt_i16_sdwa vcc, sext(v2), v48 src0_sel:BYTE_0 src1_sel:DWORD
	v_cndmask_b32_e32 v2, v7, v0, vcc
	v_cmp_eq_u32_e32 vcc, 0, v4
	v_cndmask_b32_e32 v3, v35, v2, vcc
; %bb.5421:                             ;   in Loop: Header=BB2_4891 Depth=3
	s_or_b64 exec, exec, s[36:37]
.LBB2_5422:                             ;   in Loop: Header=BB2_4891 Depth=3
	s_or_b64 exec, exec, s[42:43]
.LBB2_5423:                             ;   in Loop: Header=BB2_4891 Depth=3
	s_or_b64 exec, exec, s[40:41]
	v_lshrrev_b32_e32 v2, 16, v8
	v_cmp_gt_i16_sdwa s[42:43], v2, s47 src0_sel:BYTE_0 src1_sel:DWORD
	s_mov_b64 s[40:41], 0
	s_and_saveexec_b64 vcc, s[42:43]
	s_xor_b64 s[42:43], exec, vcc
	s_cbranch_execz .LBB2_5878
; %bb.5424:                             ;   in Loop: Header=BB2_4891 Depth=3
	v_cmp_eq_u16_sdwa s[36:37], v2, s96 src0_sel:BYTE_0 src1_sel:DWORD
	s_mov_b64 s[40:41], -1
	s_and_saveexec_b64 vcc, s[36:37]
; %bb.5425:                             ;   in Loop: Header=BB2_4891 Depth=3
	s_xor_b64 s[40:41], exec, -1
; %bb.5426:                             ;   in Loop: Header=BB2_4891 Depth=3
	s_or_b64 exec, exec, vcc
	s_and_b64 s[40:41], s[40:41], exec
	s_or_saveexec_b64 s[42:43], s[42:43]
	v_bfrev_b32_e32 v4, 1
	s_xor_b64 exec, exec, s[42:43]
	s_cbranch_execnz .LBB2_5879
.LBB2_5427:                             ;   in Loop: Header=BB2_4891 Depth=3
	s_or_b64 exec, exec, s[42:43]
	s_and_saveexec_b64 s[36:37], s[40:41]
	s_cbranch_execz .LBB2_5429
.LBB2_5428:                             ;   in Loop: Header=BB2_4891 Depth=3
	v_and_b32_e32 v4, 3, v2
	v_and_b32_e32 v17, 0x7c0000, v8
	v_cmp_eq_u32_e32 vcc, s44, v17
	v_ffbh_u32_e32 v17, v4
	v_min_u32_e32 v17, 32, v17
	v_subrev_u32_e32 v38, 29, v17
	v_lshlrev_b64 v[38:39], v38, v[2:3]
	v_bfe_u32 v14, v8, 18, 5
	v_cmp_eq_u32_e64 s[40:41], 0, v14
	v_sub_u32_e32 v17, 30, v17
	v_and_b32_e32 v38, 3, v38
	v_cndmask_b32_e64 v14, v14, v17, s[40:41]
	v_cndmask_b32_e64 v17, v4, v38, s[40:41]
	v_lshlrev_b32_e32 v38, 24, v2
	v_and_b32_e32 v38, 0x80000000, v38
	v_lshl_add_u32 v14, v14, 23, v38
	v_cmp_gt_i16_sdwa s[42:43], sext(v2), v48 src0_sel:BYTE_0 src1_sel:DWORD
	v_lshl_or_b32 v14, v17, 21, v14
	v_cmp_eq_u32_e64 s[40:41], 0, v4
	v_cndmask_b32_e64 v2, v7, v0, s[42:43]
	v_add_u32_e32 v14, 0x38000000, v14
	v_cndmask_b32_e64 v2, v35, v2, s[40:41]
	v_cndmask_b32_e32 v4, v14, v2, vcc
.LBB2_5429:                             ;   in Loop: Header=BB2_4891 Depth=3
	s_or_b64 exec, exec, s[36:37]
	v_add_f32_e32 v4, v3, v4
	v_and_b32_e32 v38, 0x7f800000, v4
	v_mov_b32_e32 v39, v29
	v_cmp_ne_u64_e32 vcc, s[76:77], v[38:39]
	v_and_b32_e32 v2, 0x7fffff, v4
	v_mov_b32_e32 v3, v29
                                        ; implicit-def: $vgpr54
	s_and_saveexec_b64 s[40:41], vcc
	s_xor_b64 s[42:43], exec, s[40:41]
	s_cbranch_execz .LBB2_5443
; %bb.5430:                             ;   in Loop: Header=BB2_4891 Depth=3
	v_and_b32_e32 v38, 0x7fffffff, v4
	v_mov_b32_e32 v39, v29
	v_cmp_gt_u64_e32 vcc, s[78:79], v[38:39]
	v_and_b32_sdwa v14, v4, s96 dst_sel:DWORD dst_unused:UNUSED_PAD src0_sel:BYTE_3 src1_sel:DWORD
                                        ; implicit-def: $vgpr54
	s_and_saveexec_b64 s[40:41], vcc
	s_xor_b64 s[36:37], exec, s[40:41]
	s_cbranch_execz .LBB2_5440
; %bb.5431:                             ;   in Loop: Header=BB2_4891 Depth=3
	v_mov_b32_e32 v54, 0
	v_cmp_ne_u32_e32 vcc, 0, v4
	s_and_saveexec_b64 s[38:39], vcc
	s_cbranch_execz .LBB2_5439
; %bb.5432:                             ;   in Loop: Header=BB2_4891 Depth=3
	v_bfe_u32 v17, v4, 23, 8
	v_cmp_gt_u32_e64 s[40:41], s46, v17
	v_sub_u32_e32 v4, 0x71, v17
	v_cmp_eq_u32_e32 vcc, 0, v17
	v_cndmask_b32_e64 v4, 0, v4, s[40:41]
	v_mov_b32_e32 v39, 0x70
	v_cndmask_b32_e32 v49, v4, v39, vcc
	v_or_b32_e32 v38, 0x800000, v2
	v_add_u32_e32 v4, 21, v49
	v_cndmask_b32_e32 v2, v38, v2, vcc
	v_lshlrev_b64 v[38:39], v4, -1
	v_add_u32_e32 v4, 20, v49
	v_bfi_b32 v38, v38, 0, v2
	v_lshlrev_b64 v[40:41], v4, 1
	v_lshrrev_b64 v[2:3], v49, v[2:3]
	v_bfi_b32 v39, v39, 0, 0
	v_cmp_eq_u64_e64 s[40:41], v[38:39], v[40:41]
	v_mov_b32_e32 v4, v3
	v_mov_b32_e32 v3, v2
	s_and_saveexec_b64 s[48:49], s[40:41]
; %bb.5433:                             ;   in Loop: Header=BB2_4891 Depth=3
	v_bfe_u32 v3, v2, 21, 1
	v_add_co_u32_e64 v3, s[40:41], v2, v3
	v_add_co_u32_e64 v3, s[40:41], -1, v3
; %bb.5434:                             ;   in Loop: Header=BB2_4891 Depth=3
	s_or_b64 exec, exec, s[48:49]
	v_add_u32_e32 v4, 0xffffff81, v17
	v_cndmask_b32_e32 v4, v4, v1, vcc
	v_lshrrev_b32_e32 v17, 23, v2
	v_add3_u32 v49, v49, v4, v17
	v_add_u32_e32 v17, 14, v49
	v_and_b32_e32 v3, 0x1fffff, v3
	v_add_u32_e32 v2, v3, v2
	v_mov_b32_e32 v3, v29
	v_cmp_ne_u32_e32 vcc, 0, v17
                                        ; implicit-def: $vgpr4
	s_and_saveexec_b64 s[40:41], vcc
	s_xor_b64 s[40:41], exec, s[40:41]
; %bb.5435:                             ;   in Loop: Header=BB2_4891 Depth=3
	v_cmp_lt_u64_e32 vcc, s[88:89], v[2:3]
	v_add_u32_e32 v4, 15, v49
	v_cndmask_b32_e32 v4, v17, v4, vcc
	v_cndmask_b32_e64 v17, 0, 1, vcc
	v_lshrrev_b64 v[2:3], v17, v[2:3]
; %bb.5436:                             ;   in Loop: Header=BB2_4891 Depth=3
	s_andn2_saveexec_b64 s[40:41], s[40:41]
; %bb.5437:                             ;   in Loop: Header=BB2_4891 Depth=3
	v_bfe_u32 v4, v2, 23, 1
; %bb.5438:                             ;   in Loop: Header=BB2_4891 Depth=3
	s_or_b64 exec, exec, s[40:41]
	v_lshrrev_b64 v[2:3], 21, v[2:3]
	v_cmp_gt_i32_e32 vcc, 32, v4
	v_cndmask_b32_e32 v3, 0, v3, vcc
	v_cndmask_b32_e32 v2, 3, v2, vcc
	v_cmp_eq_u64_e64 s[40:41], 0, v[2:3]
	v_min_i32_e32 v3, 31, v4
	v_lshlrev_b32_e32 v3, 2, v3
	v_cmp_eq_u32_e32 vcc, 0, v4
	v_and_b32_e32 v3, 0xfc, v3
	v_and_or_b32 v2, v2, 3, v3
	s_and_b64 s[40:41], vcc, s[40:41]
	v_cndmask_b32_e64 v2, v2, 0, s[40:41]
	v_or_b32_e32 v54, v2, v14
.LBB2_5439:                             ;   in Loop: Header=BB2_4891 Depth=3
	s_or_b64 exec, exec, s[38:39]
                                        ; implicit-def: $vgpr14
.LBB2_5440:                             ;   in Loop: Header=BB2_4891 Depth=3
	s_andn2_saveexec_b64 s[40:41], s[36:37]
; %bb.5441:                             ;   in Loop: Header=BB2_4891 Depth=3
	v_or_b32_e32 v54, 0x7b, v14
; %bb.5442:                             ;   in Loop: Header=BB2_4891 Depth=3
	s_or_b64 exec, exec, s[40:41]
                                        ; implicit-def: $vgpr4
                                        ; implicit-def: $vgpr2_vgpr3
.LBB2_5443:                             ;   in Loop: Header=BB2_4891 Depth=3
	s_andn2_saveexec_b64 s[40:41], s[42:43]
	s_cbranch_execz .LBB2_5449
; %bb.5444:                             ;   in Loop: Header=BB2_4891 Depth=3
	v_cmp_ne_u64_e32 vcc, 0, v[2:3]
                                        ; implicit-def: $vgpr54
	s_and_saveexec_b64 s[42:43], vcc
	s_xor_b64 s[42:43], exec, s[42:43]
; %bb.5445:                             ;   in Loop: Header=BB2_4891 Depth=3
	v_or_b32_sdwa v54, v4, s47 dst_sel:DWORD dst_unused:UNUSED_PAD src0_sel:BYTE_3 src1_sel:DWORD
                                        ; implicit-def: $vgpr4
; %bb.5446:                             ;   in Loop: Header=BB2_4891 Depth=3
	s_andn2_saveexec_b64 s[42:43], s[42:43]
; %bb.5447:                             ;   in Loop: Header=BB2_4891 Depth=3
	v_cmp_lt_i32_e32 vcc, -1, v4
	v_cndmask_b32_e32 v54, v6, v22, vcc
; %bb.5448:                             ;   in Loop: Header=BB2_4891 Depth=3
	s_or_b64 exec, exec, s[42:43]
.LBB2_5449:                             ;   in Loop: Header=BB2_4891 Depth=3
	s_or_b64 exec, exec, s[40:41]
	v_cmp_lt_u32_e32 vcc, s57, v28
	v_mov_b32_e32 v3, 0
	s_and_saveexec_b64 s[40:41], vcc
	s_cbranch_execz .LBB2_5457
; %bb.5450:                             ;   in Loop: Header=BB2_4891 Depth=3
	v_lshrrev_b32_e32 v2, 24, v28
	v_cmp_ne_u32_e32 vcc, s96, v2
	v_bfrev_b32_e32 v3, 1
	s_and_saveexec_b64 s[42:43], vcc
	s_cbranch_execz .LBB2_5456
; %bb.5451:                             ;   in Loop: Header=BB2_4891 Depth=3
	v_and_b32_e32 v3, 0x7c000000, v28
	v_bfe_u32 v4, v28, 24, 2
	v_cmp_ne_u32_e32 vcc, s45, v3
                                        ; implicit-def: $vgpr3
	s_and_saveexec_b64 s[36:37], vcc
	s_xor_b64 s[36:37], exec, s[36:37]
	s_cbranch_execz .LBB2_5453
; %bb.5452:                             ;   in Loop: Header=BB2_4891 Depth=3
	v_ffbh_u32_e32 v3, v4
	v_min_u32_e32 v17, 32, v3
	v_subrev_u32_e32 v3, 29, v17
	v_lshlrev_b64 v[2:3], v3, v[2:3]
	v_bfe_u32 v14, v28, 26, 5
	v_sub_u32_e32 v3, 30, v17
	v_and_b32_e32 v2, 3, v2
	v_cmp_eq_u32_e32 vcc, 0, v14
	v_cndmask_b32_e32 v3, v14, v3, vcc
	v_cndmask_b32_e32 v2, v4, v2, vcc
	v_and_b32_e32 v4, 0x80000000, v28
	v_lshl_add_u32 v3, v3, 23, v4
	v_lshl_or_b32 v2, v2, 21, v3
	v_add_u32_e32 v3, 0x38000000, v2
                                        ; implicit-def: $vgpr4
.LBB2_5453:                             ;   in Loop: Header=BB2_4891 Depth=3
	s_andn2_saveexec_b64 s[36:37], s[36:37]
; %bb.5454:                             ;   in Loop: Header=BB2_4891 Depth=3
	v_cmp_lt_i32_e32 vcc, -1, v28
	v_cndmask_b32_e32 v2, v7, v0, vcc
	v_cmp_eq_u32_e32 vcc, 0, v4
	v_cndmask_b32_e32 v3, v35, v2, vcc
; %bb.5455:                             ;   in Loop: Header=BB2_4891 Depth=3
	s_or_b64 exec, exec, s[36:37]
.LBB2_5456:                             ;   in Loop: Header=BB2_4891 Depth=3
	s_or_b64 exec, exec, s[42:43]
.LBB2_5457:                             ;   in Loop: Header=BB2_4891 Depth=3
	s_or_b64 exec, exec, s[40:41]
	v_bfe_u32 v4, v8, 24, 2
	v_and_b32_e32 v17, 0x7c000000, v8
	v_cmp_eq_u32_e32 vcc, s45, v17
	v_ffbh_u32_e32 v17, v4
	v_min_u32_e32 v17, 32, v17
	v_lshrrev_b32_e32 v2, 24, v8
	v_subrev_u32_e32 v28, 29, v17
	v_lshlrev_b64 v[38:39], v28, v[2:3]
	v_bfe_u32 v14, v8, 26, 5
	v_cmp_eq_u32_e64 s[40:41], 0, v14
	v_sub_u32_e32 v17, 30, v17
	v_and_b32_e32 v28, 3, v38
	v_cndmask_b32_e64 v14, v14, v17, s[40:41]
	v_cndmask_b32_e64 v17, v4, v28, s[40:41]
	v_and_b32_e32 v28, 0x80000000, v8
	v_lshl_add_u32 v14, v14, 23, v28
	v_cmp_lt_i32_e64 s[42:43], -1, v8
	v_lshl_or_b32 v14, v17, 21, v14
	v_cmp_eq_u32_e64 s[40:41], 0, v4
	v_cndmask_b32_e64 v4, v7, v0, s[42:43]
	v_add_u32_e32 v14, 0x38000000, v14
	v_cndmask_b32_e64 v4, v35, v4, s[40:41]
	v_cndmask_b32_e32 v4, v14, v4, vcc
	v_cmp_ne_u32_e32 vcc, s96, v2
	v_bfrev_b32_e32 v2, 1
	v_cndmask_b32_e32 v2, v2, v4, vcc
	v_cmp_lt_u32_e32 vcc, s57, v8
	v_cndmask_b32_e32 v2, 0, v2, vcc
	v_add_f32_e32 v2, v2, v3
	v_and_b32_e32 v3, 0x7f800000, v2
	v_mov_b32_e32 v4, v29
	v_cmp_ne_u64_e32 vcc, s[76:77], v[3:4]
	v_and_b32_e32 v28, 0x7fffff, v2
                                        ; implicit-def: $vgpr58
	s_and_saveexec_b64 s[40:41], vcc
	s_xor_b64 s[42:43], exec, s[40:41]
	s_cbranch_execz .LBB2_5471
; %bb.5458:                             ;   in Loop: Header=BB2_4891 Depth=3
	v_and_b32_e32 v3, 0x7fffffff, v2
	v_mov_b32_e32 v4, v29
	v_cmp_gt_u64_e32 vcc, s[78:79], v[3:4]
	v_and_b32_sdwa v14, v2, s96 dst_sel:DWORD dst_unused:UNUSED_PAD src0_sel:BYTE_3 src1_sel:DWORD
                                        ; implicit-def: $vgpr58
	s_and_saveexec_b64 s[40:41], vcc
	s_xor_b64 s[36:37], exec, s[40:41]
	s_cbranch_execz .LBB2_5468
; %bb.5459:                             ;   in Loop: Header=BB2_4891 Depth=3
	v_mov_b32_e32 v58, 0
	v_cmp_ne_u32_e32 vcc, 0, v2
	s_and_saveexec_b64 s[38:39], vcc
	s_cbranch_execz .LBB2_5467
; %bb.5460:                             ;   in Loop: Header=BB2_4891 Depth=3
	v_bfe_u32 v17, v2, 23, 8
	v_cmp_gt_u32_e64 s[40:41], s46, v17
	v_sub_u32_e32 v2, 0x71, v17
	v_cmp_eq_u32_e32 vcc, 0, v17
	v_cndmask_b32_e64 v2, 0, v2, s[40:41]
	v_mov_b32_e32 v4, 0x70
	v_cndmask_b32_e32 v49, v2, v4, vcc
	v_add_u32_e32 v4, 21, v49
	v_or_b32_e32 v3, 0x800000, v28
	v_lshlrev_b64 v[38:39], v4, -1
	v_cndmask_b32_e32 v2, v3, v28, vcc
	v_mov_b32_e32 v3, v29
	v_add_u32_e32 v4, 20, v49
	v_bfi_b32 v38, v38, 0, v2
	v_lshlrev_b64 v[40:41], v4, 1
	v_lshrrev_b64 v[2:3], v49, v[2:3]
	v_bfi_b32 v39, v39, 0, 0
	v_cmp_eq_u64_e64 s[40:41], v[38:39], v[40:41]
	v_mov_b32_e32 v4, v3
	v_mov_b32_e32 v3, v2
	s_and_saveexec_b64 s[48:49], s[40:41]
; %bb.5461:                             ;   in Loop: Header=BB2_4891 Depth=3
	v_bfe_u32 v3, v2, 21, 1
	v_add_co_u32_e64 v3, s[40:41], v2, v3
	v_add_co_u32_e64 v3, s[40:41], -1, v3
; %bb.5462:                             ;   in Loop: Header=BB2_4891 Depth=3
	s_or_b64 exec, exec, s[48:49]
	v_add_u32_e32 v4, 0xffffff81, v17
	v_cndmask_b32_e32 v4, v4, v1, vcc
	v_lshrrev_b32_e32 v17, 23, v2
	v_add3_u32 v49, v49, v4, v17
	v_add_u32_e32 v17, 14, v49
	v_and_b32_e32 v3, 0x1fffff, v3
	v_add_u32_e32 v28, v3, v2
	v_cmp_ne_u32_e32 vcc, 0, v17
                                        ; implicit-def: $vgpr2_vgpr3
                                        ; implicit-def: $vgpr4
	s_and_saveexec_b64 s[40:41], vcc
	s_xor_b64 s[40:41], exec, s[40:41]
; %bb.5463:                             ;   in Loop: Header=BB2_4891 Depth=3
	v_cmp_lt_u64_e32 vcc, s[88:89], v[28:29]
	v_add_u32_e32 v2, 15, v49
	v_cndmask_b32_e32 v4, v17, v2, vcc
	v_cndmask_b32_e64 v2, 0, 1, vcc
	v_lshrrev_b64 v[2:3], v2, v[28:29]
; %bb.5464:                             ;   in Loop: Header=BB2_4891 Depth=3
	s_andn2_saveexec_b64 s[40:41], s[40:41]
; %bb.5465:                             ;   in Loop: Header=BB2_4891 Depth=3
	v_mov_b32_e32 v2, v28
	v_mov_b32_e32 v3, v29
	v_bfe_u32 v4, v28, 23, 1
; %bb.5466:                             ;   in Loop: Header=BB2_4891 Depth=3
	s_or_b64 exec, exec, s[40:41]
	v_lshrrev_b64 v[2:3], 21, v[2:3]
	v_cmp_gt_i32_e32 vcc, 32, v4
	v_cndmask_b32_e32 v3, 0, v3, vcc
	v_cndmask_b32_e32 v2, 3, v2, vcc
	v_cmp_eq_u64_e64 s[40:41], 0, v[2:3]
	v_min_i32_e32 v3, 31, v4
	v_lshlrev_b32_e32 v3, 2, v3
	v_cmp_eq_u32_e32 vcc, 0, v4
	v_and_b32_e32 v3, 0xfc, v3
	v_and_or_b32 v2, v2, 3, v3
	s_and_b64 s[40:41], vcc, s[40:41]
	v_cndmask_b32_e64 v2, v2, 0, s[40:41]
	v_or_b32_e32 v58, v2, v14
.LBB2_5467:                             ;   in Loop: Header=BB2_4891 Depth=3
	s_or_b64 exec, exec, s[38:39]
                                        ; implicit-def: $vgpr14
.LBB2_5468:                             ;   in Loop: Header=BB2_4891 Depth=3
	s_andn2_saveexec_b64 s[40:41], s[36:37]
; %bb.5469:                             ;   in Loop: Header=BB2_4891 Depth=3
	v_or_b32_e32 v58, 0x7b, v14
; %bb.5470:                             ;   in Loop: Header=BB2_4891 Depth=3
	s_or_b64 exec, exec, s[40:41]
                                        ; implicit-def: $vgpr2
.LBB2_5471:                             ;   in Loop: Header=BB2_4891 Depth=3
	s_andn2_saveexec_b64 s[40:41], s[42:43]
	s_cbranch_execz .LBB2_5477
; %bb.5472:                             ;   in Loop: Header=BB2_4891 Depth=3
	v_cmp_ne_u64_e32 vcc, 0, v[28:29]
                                        ; implicit-def: $vgpr58
	s_and_saveexec_b64 s[42:43], vcc
	s_xor_b64 s[42:43], exec, s[42:43]
; %bb.5473:                             ;   in Loop: Header=BB2_4891 Depth=3
	v_or_b32_sdwa v58, v2, s47 dst_sel:DWORD dst_unused:UNUSED_PAD src0_sel:BYTE_3 src1_sel:DWORD
                                        ; implicit-def: $vgpr2
; %bb.5474:                             ;   in Loop: Header=BB2_4891 Depth=3
	s_andn2_saveexec_b64 s[42:43], s[42:43]
; %bb.5475:                             ;   in Loop: Header=BB2_4891 Depth=3
	v_cmp_lt_i32_e32 vcc, -1, v2
	v_cndmask_b32_e32 v58, v6, v22, vcc
; %bb.5476:                             ;   in Loop: Header=BB2_4891 Depth=3
	s_or_b64 exec, exec, s[42:43]
.LBB2_5477:                             ;   in Loop: Header=BB2_4891 Depth=3
	s_or_b64 exec, exec, s[40:41]
	v_lshl_or_b32 v17, v15, 8, v5
	v_lshlrev_b32_e32 v2, 16, v61
	v_lshlrev_b32_e32 v3, 24, v30
	v_or3_b32 v28, v2, v3, v17
	v_cmp_ne_u32_e32 vcc, 0, v5
	v_mov_b32_e32 v2, 0
	s_and_saveexec_b64 s[42:43], vcc
	s_cbranch_execz .LBB2_5485
; %bb.5478:                             ;   in Loop: Header=BB2_4891 Depth=3
	v_cmp_ne_u32_e32 vcc, s96, v5
	v_bfrev_b32_e32 v2, 1
	s_and_saveexec_b64 s[36:37], vcc
	s_cbranch_execz .LBB2_5484
; %bb.5479:                             ;   in Loop: Header=BB2_4891 Depth=3
	v_and_b32_e32 v2, 0x7c, v5
	v_and_b32_e32 v3, 3, v5
	v_cmp_ne_u32_e32 vcc, s85, v2
                                        ; implicit-def: $vgpr2
	s_and_saveexec_b64 s[40:41], vcc
	s_xor_b64 s[40:41], exec, s[40:41]
	s_cbranch_execz .LBB2_5481
; %bb.5480:                             ;   in Loop: Header=BB2_4891 Depth=3
	v_ffbh_u32_e32 v4, v3
	v_min_u32_e32 v4, 32, v4
	v_bfe_u32 v2, v5, 2, 5
	v_subrev_u32_e32 v14, 29, v4
	v_lshlrev_b64 v[14:15], v14, v[28:29]
	v_sub_u32_e32 v4, 30, v4
	v_cmp_eq_u32_e32 vcc, 0, v2
	v_cndmask_b32_e32 v2, v2, v4, vcc
	v_lshlrev_b32_e32 v4, 24, v5
	v_and_b32_e32 v14, 3, v14
	v_and_b32_e32 v4, 0x80000000, v4
	v_cndmask_b32_e32 v3, v3, v14, vcc
	v_lshl_add_u32 v2, v2, 23, v4
	v_lshl_or_b32 v2, v3, 21, v2
	v_add_u32_e32 v2, 0x38000000, v2
                                        ; implicit-def: $vgpr3
                                        ; implicit-def: $vgpr5
.LBB2_5481:                             ;   in Loop: Header=BB2_4891 Depth=3
	s_andn2_saveexec_b64 s[38:39], s[40:41]
; %bb.5482:                             ;   in Loop: Header=BB2_4891 Depth=3
	v_and_b32_e32 v2, 0x80, v5
	v_cmp_eq_u32_e64 s[40:41], 0, v2
	v_cmp_eq_u32_e32 vcc, 0, v3
	v_cndmask_b32_e64 v2, v7, v0, s[40:41]
	v_cndmask_b32_e32 v2, v35, v2, vcc
; %bb.5483:                             ;   in Loop: Header=BB2_4891 Depth=3
	s_or_b64 exec, exec, s[38:39]
.LBB2_5484:                             ;   in Loop: Header=BB2_4891 Depth=3
	s_or_b64 exec, exec, s[36:37]
.LBB2_5485:                             ;   in Loop: Header=BB2_4891 Depth=3
	s_or_b64 exec, exec, s[42:43]
	v_cmp_gt_i16_sdwa s[42:43], v9, s47 src0_sel:BYTE_0 src1_sel:DWORD
	s_mov_b64 s[40:41], 0
	s_and_saveexec_b64 vcc, s[42:43]
	s_xor_b64 s[42:43], exec, vcc
	s_cbranch_execz .LBB2_5489
; %bb.5486:                             ;   in Loop: Header=BB2_4891 Depth=3
	v_cmp_eq_u16_sdwa s[36:37], v9, s96 src0_sel:BYTE_0 src1_sel:DWORD
	s_mov_b64 s[40:41], -1
	s_and_saveexec_b64 vcc, s[36:37]
; %bb.5487:                             ;   in Loop: Header=BB2_4891 Depth=3
	s_xor_b64 s[40:41], exec, -1
; %bb.5488:                             ;   in Loop: Header=BB2_4891 Depth=3
	s_or_b64 exec, exec, vcc
	s_and_b64 s[40:41], s[40:41], exec
.LBB2_5489:                             ;   in Loop: Header=BB2_4891 Depth=3
	s_or_saveexec_b64 s[42:43], s[42:43]
	v_bfrev_b32_e32 v3, 1
	s_xor_b64 exec, exec, s[42:43]
; %bb.5490:                             ;   in Loop: Header=BB2_4891 Depth=3
	v_cmp_ne_u16_sdwa vcc, v9, v29 src0_sel:BYTE_0 src1_sel:DWORD
	s_andn2_b64 s[40:41], s[40:41], exec
	s_and_b64 vcc, vcc, exec
	v_mov_b32_e32 v3, 0
	s_or_b64 s[40:41], s[40:41], vcc
; %bb.5491:                             ;   in Loop: Header=BB2_4891 Depth=3
	s_or_b64 exec, exec, s[42:43]
	v_mov_b32_e32 v4, v9
	v_mov_b32_e32 v5, v29
	s_and_saveexec_b64 s[36:37], s[40:41]
	s_cbranch_execz .LBB2_5493
; %bb.5492:                             ;   in Loop: Header=BB2_4891 Depth=3
	v_and_b32_e32 v3, 3, v9
	v_and_b32_e32 v14, 0x7c, v9
	v_cmp_eq_u32_e32 vcc, s85, v14
	v_ffbh_u32_e32 v14, v3
	v_min_u32_e32 v38, 32, v14
	v_subrev_u32_e32 v14, 29, v38
	v_bfe_u32 v30, v9, 2, 5
	v_lshlrev_b64 v[14:15], v14, v[4:5]
	v_cmp_eq_u32_e64 s[40:41], 0, v30
	v_sub_u32_e32 v5, 30, v38
	v_lshlrev_b32_e32 v15, 24, v9
	v_and_b32_e32 v14, 3, v14
	v_cndmask_b32_e64 v5, v30, v5, s[40:41]
	v_and_b32_e32 v15, 0x80000000, v15
	v_cndmask_b32_e64 v14, v3, v14, s[40:41]
	v_lshl_add_u32 v5, v5, 23, v15
	v_cmp_gt_i16_sdwa s[42:43], sext(v9), v48 src0_sel:BYTE_0 src1_sel:DWORD
	v_lshl_or_b32 v5, v14, 21, v5
	v_cmp_eq_u32_e64 s[40:41], 0, v3
	v_cndmask_b32_e64 v3, v7, v0, s[42:43]
	v_add_u32_e32 v5, 0x38000000, v5
	v_cndmask_b32_e64 v3, v35, v3, s[40:41]
	v_cndmask_b32_e32 v3, v5, v3, vcc
.LBB2_5493:                             ;   in Loop: Header=BB2_4891 Depth=3
	s_or_b64 exec, exec, s[36:37]
	v_add_f32_e32 v15, v2, v3
	v_and_b32_e32 v38, 0x7f800000, v15
	v_mov_b32_e32 v39, v29
	v_cmp_ne_u64_e32 vcc, s[76:77], v[38:39]
	v_and_b32_e32 v2, 0x7fffff, v15
	v_mov_b32_e32 v3, v29
                                        ; implicit-def: $vgpr14
	s_and_saveexec_b64 s[40:41], vcc
	s_xor_b64 s[42:43], exec, s[40:41]
	s_cbranch_execz .LBB2_5507
; %bb.5494:                             ;   in Loop: Header=BB2_4891 Depth=3
	v_and_b32_e32 v38, 0x7fffffff, v15
	v_mov_b32_e32 v39, v29
	v_cmp_gt_u64_e32 vcc, s[78:79], v[38:39]
	v_and_b32_sdwa v5, v15, s96 dst_sel:DWORD dst_unused:UNUSED_PAD src0_sel:BYTE_3 src1_sel:DWORD
                                        ; implicit-def: $vgpr14
	s_and_saveexec_b64 s[40:41], vcc
	s_xor_b64 s[36:37], exec, s[40:41]
	s_cbranch_execz .LBB2_5504
; %bb.5495:                             ;   in Loop: Header=BB2_4891 Depth=3
	v_mov_b32_e32 v14, 0
	v_cmp_ne_u32_e32 vcc, 0, v15
	s_and_saveexec_b64 s[38:39], vcc
	s_cbranch_execz .LBB2_5503
; %bb.5496:                             ;   in Loop: Header=BB2_4891 Depth=3
	v_bfe_u32 v30, v15, 23, 8
	v_cmp_gt_u32_e64 s[40:41], s46, v30
	v_sub_u32_e32 v14, 0x71, v30
	v_cmp_eq_u32_e32 vcc, 0, v30
	v_cndmask_b32_e64 v14, 0, v14, s[40:41]
	v_mov_b32_e32 v38, 0x70
	v_cndmask_b32_e32 v49, v14, v38, vcc
	v_or_b32_e32 v15, 0x800000, v2
	v_add_u32_e32 v14, 21, v49
	v_cndmask_b32_e32 v2, v15, v2, vcc
	v_lshlrev_b64 v[14:15], v14, -1
	v_add_u32_e32 v38, 20, v49
	v_bfi_b32 v14, v14, 0, v2
	v_lshlrev_b64 v[38:39], v38, 1
	v_lshrrev_b64 v[2:3], v49, v[2:3]
	v_bfi_b32 v15, v15, 0, 0
	v_cmp_eq_u64_e64 s[40:41], v[14:15], v[38:39]
	v_mov_b32_e32 v15, v3
	v_mov_b32_e32 v14, v2
	s_and_saveexec_b64 s[48:49], s[40:41]
; %bb.5497:                             ;   in Loop: Header=BB2_4891 Depth=3
	v_bfe_u32 v3, v2, 21, 1
	v_add_co_u32_e64 v3, s[40:41], v2, v3
	v_add_co_u32_e64 v14, s[40:41], -1, v3
; %bb.5498:                             ;   in Loop: Header=BB2_4891 Depth=3
	s_or_b64 exec, exec, s[48:49]
	v_add_u32_e32 v3, 0xffffff81, v30
	v_cndmask_b32_e32 v3, v3, v1, vcc
	v_lshrrev_b32_e32 v15, 23, v2
	v_add3_u32 v30, v49, v3, v15
	v_add_u32_e32 v15, 14, v30
	v_and_b32_e32 v3, 0x1fffff, v14
	v_add_u32_e32 v2, v3, v2
	v_mov_b32_e32 v3, v29
	v_cmp_ne_u32_e32 vcc, 0, v15
                                        ; implicit-def: $vgpr14
	s_and_saveexec_b64 s[40:41], vcc
	s_xor_b64 s[40:41], exec, s[40:41]
; %bb.5499:                             ;   in Loop: Header=BB2_4891 Depth=3
	v_cmp_lt_u64_e32 vcc, s[88:89], v[2:3]
	v_add_u32_e32 v14, 15, v30
	v_cndmask_b32_e32 v14, v15, v14, vcc
	v_cndmask_b32_e64 v15, 0, 1, vcc
	v_lshrrev_b64 v[2:3], v15, v[2:3]
; %bb.5500:                             ;   in Loop: Header=BB2_4891 Depth=3
	s_andn2_saveexec_b64 s[40:41], s[40:41]
; %bb.5501:                             ;   in Loop: Header=BB2_4891 Depth=3
	v_bfe_u32 v14, v2, 23, 1
; %bb.5502:                             ;   in Loop: Header=BB2_4891 Depth=3
	s_or_b64 exec, exec, s[40:41]
	v_lshrrev_b64 v[2:3], 21, v[2:3]
	v_cmp_gt_i32_e32 vcc, 32, v14
	v_cndmask_b32_e32 v3, 0, v3, vcc
	v_cndmask_b32_e32 v2, 3, v2, vcc
	v_cmp_eq_u64_e64 s[40:41], 0, v[2:3]
	v_min_i32_e32 v3, 31, v14
	v_lshlrev_b32_e32 v3, 2, v3
	v_cmp_eq_u32_e32 vcc, 0, v14
	v_and_b32_e32 v3, 0xfc, v3
	v_and_or_b32 v2, v2, 3, v3
	s_and_b64 s[40:41], vcc, s[40:41]
	v_cndmask_b32_e64 v2, v2, 0, s[40:41]
	v_or_b32_e32 v14, v2, v5
.LBB2_5503:                             ;   in Loop: Header=BB2_4891 Depth=3
	s_or_b64 exec, exec, s[38:39]
                                        ; implicit-def: $vgpr5
.LBB2_5504:                             ;   in Loop: Header=BB2_4891 Depth=3
	s_andn2_saveexec_b64 s[40:41], s[36:37]
; %bb.5505:                             ;   in Loop: Header=BB2_4891 Depth=3
	v_or_b32_e32 v14, 0x7b, v5
; %bb.5506:                             ;   in Loop: Header=BB2_4891 Depth=3
	s_or_b64 exec, exec, s[40:41]
                                        ; implicit-def: $vgpr15
                                        ; implicit-def: $vgpr2_vgpr3
.LBB2_5507:                             ;   in Loop: Header=BB2_4891 Depth=3
	s_andn2_saveexec_b64 s[40:41], s[42:43]
	s_cbranch_execz .LBB2_5513
; %bb.5508:                             ;   in Loop: Header=BB2_4891 Depth=3
	v_cmp_ne_u64_e32 vcc, 0, v[2:3]
                                        ; implicit-def: $vgpr14
	s_and_saveexec_b64 s[42:43], vcc
	s_xor_b64 s[42:43], exec, s[42:43]
; %bb.5509:                             ;   in Loop: Header=BB2_4891 Depth=3
	v_or_b32_sdwa v14, v15, s47 dst_sel:DWORD dst_unused:UNUSED_PAD src0_sel:BYTE_3 src1_sel:DWORD
                                        ; implicit-def: $vgpr15
; %bb.5510:                             ;   in Loop: Header=BB2_4891 Depth=3
	s_andn2_saveexec_b64 s[42:43], s[42:43]
; %bb.5511:                             ;   in Loop: Header=BB2_4891 Depth=3
	v_cmp_lt_i32_e32 vcc, -1, v15
	v_cndmask_b32_e32 v14, v6, v22, vcc
; %bb.5512:                             ;   in Loop: Header=BB2_4891 Depth=3
	s_or_b64 exec, exec, s[42:43]
.LBB2_5513:                             ;   in Loop: Header=BB2_4891 Depth=3
	s_or_b64 exec, exec, s[40:41]
	v_lshrrev_b16_e32 v2, 8, v17
	v_cmp_ne_u16_e32 vcc, 0, v2
	v_mov_b32_e32 v5, 0
	s_and_saveexec_b64 s[40:41], vcc
	s_cbranch_execz .LBB2_5521
; %bb.5514:                             ;   in Loop: Header=BB2_4891 Depth=3
	v_cmp_ne_u16_e32 vcc, s96, v2
	v_bfrev_b32_e32 v5, 1
	s_and_saveexec_b64 s[42:43], vcc
	s_cbranch_execz .LBB2_5520
; %bb.5515:                             ;   in Loop: Header=BB2_4891 Depth=3
	v_and_b32_e32 v3, 0x7c, v2
	v_and_b32_e32 v15, 3, v2
	v_cmp_ne_u32_e32 vcc, s85, v3
                                        ; implicit-def: $vgpr5
	s_and_saveexec_b64 s[36:37], vcc
	s_xor_b64 s[36:37], exec, s[36:37]
	s_cbranch_execz .LBB2_5517
; %bb.5516:                             ;   in Loop: Header=BB2_4891 Depth=3
	v_ffbh_u32_e32 v30, v15
	v_min_u32_e32 v30, 32, v30
	v_mov_b32_e32 v3, v29
	v_subrev_u32_e32 v38, 29, v30
	v_bfe_u32 v5, v2, 2, 5
	v_lshlrev_b64 v[2:3], v38, v[2:3]
	v_sub_u32_e32 v3, 30, v30
	v_cmp_eq_u32_e32 vcc, 0, v5
	v_cndmask_b32_e32 v3, v5, v3, vcc
	v_lshlrev_b32_e32 v5, 16, v17
	v_and_b32_e32 v2, 3, v2
	v_and_b32_e32 v5, 0x80000000, v5
	v_cndmask_b32_e32 v2, v15, v2, vcc
	v_lshl_add_u32 v3, v3, 23, v5
	v_lshl_or_b32 v2, v2, 21, v3
	v_add_u32_e32 v5, 0x38000000, v2
                                        ; implicit-def: $vgpr15
                                        ; implicit-def: $vgpr17
.LBB2_5517:                             ;   in Loop: Header=BB2_4891 Depth=3
	s_andn2_saveexec_b64 s[36:37], s[36:37]
; %bb.5518:                             ;   in Loop: Header=BB2_4891 Depth=3
	v_cmp_lt_i16_e32 vcc, -1, v17
	v_cndmask_b32_e32 v2, v7, v0, vcc
	v_cmp_eq_u32_e32 vcc, 0, v15
	v_cndmask_b32_e32 v5, v35, v2, vcc
; %bb.5519:                             ;   in Loop: Header=BB2_4891 Depth=3
	s_or_b64 exec, exec, s[36:37]
.LBB2_5520:                             ;   in Loop: Header=BB2_4891 Depth=3
	s_or_b64 exec, exec, s[42:43]
.LBB2_5521:                             ;   in Loop: Header=BB2_4891 Depth=3
	s_or_b64 exec, exec, s[40:41]
	v_lshrrev_b16_e32 v2, 8, v4
	v_cmp_lt_i16_e32 vcc, s47, v2
	s_mov_b64 s[40:41], 0
	s_and_saveexec_b64 s[42:43], vcc
	s_xor_b64 s[42:43], exec, s[42:43]
	s_cbranch_execz .LBB2_5880
; %bb.5522:                             ;   in Loop: Header=BB2_4891 Depth=3
	v_cmp_eq_u16_e32 vcc, s96, v2
	s_mov_b64 s[40:41], -1
	s_and_saveexec_b64 s[36:37], vcc
; %bb.5523:                             ;   in Loop: Header=BB2_4891 Depth=3
	s_xor_b64 s[40:41], exec, -1
; %bb.5524:                             ;   in Loop: Header=BB2_4891 Depth=3
	s_or_b64 exec, exec, s[36:37]
	s_and_b64 s[40:41], s[40:41], exec
	s_or_saveexec_b64 s[42:43], s[42:43]
	v_bfrev_b32_e32 v3, 1
	s_xor_b64 exec, exec, s[42:43]
	s_cbranch_execnz .LBB2_5881
.LBB2_5525:                             ;   in Loop: Header=BB2_4891 Depth=3
	s_or_b64 exec, exec, s[42:43]
	s_and_saveexec_b64 s[36:37], s[40:41]
	s_cbranch_execz .LBB2_5527
.LBB2_5526:                             ;   in Loop: Header=BB2_4891 Depth=3
	v_and_b32_e32 v15, 3, v2
	v_and_b32_e32 v30, 0x7c, v2
	v_cmp_eq_u32_e32 vcc, s85, v30
	v_ffbh_u32_e32 v30, v15
	v_min_u32_e32 v30, 32, v30
	v_mov_b32_e32 v3, v29
	v_subrev_u32_e32 v38, 29, v30
	v_bfe_u32 v17, v2, 2, 5
	v_lshlrev_b64 v[38:39], v38, v[2:3]
	v_cmp_eq_u32_e64 s[40:41], 0, v17
	v_sub_u32_e32 v3, 30, v30
	v_lshlrev_b32_e32 v2, 24, v2
	v_and_b32_e32 v30, 3, v38
	v_cndmask_b32_e64 v3, v17, v3, s[40:41]
	v_and_b32_e32 v2, 0x80000000, v2
	v_cndmask_b32_e64 v17, v15, v30, s[40:41]
	v_lshl_add_u32 v2, v3, 23, v2
	v_cmp_lt_i16_e64 s[42:43], -1, v4
	v_lshl_or_b32 v2, v17, 21, v2
	v_cmp_eq_u32_e64 s[40:41], 0, v15
	v_cndmask_b32_e64 v3, v7, v0, s[42:43]
	v_add_u32_e32 v2, 0x38000000, v2
	v_cndmask_b32_e64 v3, v35, v3, s[40:41]
	v_cndmask_b32_e32 v3, v2, v3, vcc
.LBB2_5527:                             ;   in Loop: Header=BB2_4891 Depth=3
	s_or_b64 exec, exec, s[36:37]
	v_add_f32_e32 v4, v5, v3
	v_and_b32_e32 v38, 0x7f800000, v4
	v_mov_b32_e32 v39, v29
	v_cmp_ne_u64_e32 vcc, s[76:77], v[38:39]
	v_and_b32_e32 v2, 0x7fffff, v4
	v_mov_b32_e32 v3, v29
                                        ; implicit-def: $vgpr15
	s_and_saveexec_b64 s[40:41], vcc
	s_xor_b64 s[42:43], exec, s[40:41]
	s_cbranch_execz .LBB2_5541
; %bb.5528:                             ;   in Loop: Header=BB2_4891 Depth=3
	v_and_b32_e32 v38, 0x7fffffff, v4
	v_mov_b32_e32 v39, v29
	v_cmp_gt_u64_e32 vcc, s[78:79], v[38:39]
	v_and_b32_sdwa v5, v4, s96 dst_sel:DWORD dst_unused:UNUSED_PAD src0_sel:BYTE_3 src1_sel:DWORD
                                        ; implicit-def: $vgpr15
	s_and_saveexec_b64 s[40:41], vcc
	s_xor_b64 s[36:37], exec, s[40:41]
	s_cbranch_execz .LBB2_5538
; %bb.5529:                             ;   in Loop: Header=BB2_4891 Depth=3
	v_mov_b32_e32 v15, 0
	v_cmp_ne_u32_e32 vcc, 0, v4
	s_and_saveexec_b64 s[38:39], vcc
	s_cbranch_execz .LBB2_5537
; %bb.5530:                             ;   in Loop: Header=BB2_4891 Depth=3
	v_bfe_u32 v15, v4, 23, 8
	v_cmp_gt_u32_e64 s[40:41], s46, v15
	v_sub_u32_e32 v4, 0x71, v15
	v_cmp_eq_u32_e32 vcc, 0, v15
	v_cndmask_b32_e64 v4, 0, v4, s[40:41]
	v_mov_b32_e32 v17, 0x70
	v_cndmask_b32_e32 v17, v4, v17, vcc
	v_add_u32_e32 v4, 21, v17
	v_or_b32_e32 v30, 0x800000, v2
	v_lshlrev_b64 v[38:39], v4, -1
	v_cndmask_b32_e32 v2, v30, v2, vcc
	v_add_u32_e32 v4, 20, v17
	v_bfi_b32 v38, v38, 0, v2
	v_lshlrev_b64 v[40:41], v4, 1
	v_lshrrev_b64 v[2:3], v17, v[2:3]
	v_bfi_b32 v39, v39, 0, 0
	v_cmp_eq_u64_e64 s[40:41], v[38:39], v[40:41]
	v_mov_b32_e32 v4, v3
	v_mov_b32_e32 v3, v2
	s_and_saveexec_b64 s[48:49], s[40:41]
; %bb.5531:                             ;   in Loop: Header=BB2_4891 Depth=3
	v_bfe_u32 v3, v2, 21, 1
	v_add_co_u32_e64 v3, s[40:41], v2, v3
	v_add_co_u32_e64 v3, s[40:41], -1, v3
; %bb.5532:                             ;   in Loop: Header=BB2_4891 Depth=3
	s_or_b64 exec, exec, s[48:49]
	v_add_u32_e32 v4, 0xffffff81, v15
	v_cndmask_b32_e32 v4, v4, v1, vcc
	v_lshrrev_b32_e32 v15, 23, v2
	v_add3_u32 v17, v17, v4, v15
	v_add_u32_e32 v15, 14, v17
	v_and_b32_e32 v3, 0x1fffff, v3
	v_add_u32_e32 v2, v3, v2
	v_mov_b32_e32 v3, v29
	v_cmp_ne_u32_e32 vcc, 0, v15
                                        ; implicit-def: $vgpr4
	s_and_saveexec_b64 s[40:41], vcc
	s_xor_b64 s[40:41], exec, s[40:41]
; %bb.5533:                             ;   in Loop: Header=BB2_4891 Depth=3
	v_cmp_lt_u64_e32 vcc, s[88:89], v[2:3]
	v_add_u32_e32 v4, 15, v17
	v_cndmask_b32_e32 v4, v15, v4, vcc
	v_cndmask_b32_e64 v15, 0, 1, vcc
	v_lshrrev_b64 v[2:3], v15, v[2:3]
; %bb.5534:                             ;   in Loop: Header=BB2_4891 Depth=3
	s_andn2_saveexec_b64 s[40:41], s[40:41]
; %bb.5535:                             ;   in Loop: Header=BB2_4891 Depth=3
	v_bfe_u32 v4, v2, 23, 1
; %bb.5536:                             ;   in Loop: Header=BB2_4891 Depth=3
	s_or_b64 exec, exec, s[40:41]
	v_lshrrev_b64 v[2:3], 21, v[2:3]
	v_cmp_gt_i32_e32 vcc, 32, v4
	v_cndmask_b32_e32 v3, 0, v3, vcc
	v_cndmask_b32_e32 v2, 3, v2, vcc
	v_cmp_eq_u64_e64 s[40:41], 0, v[2:3]
	v_min_i32_e32 v3, 31, v4
	v_lshlrev_b32_e32 v3, 2, v3
	v_cmp_eq_u32_e32 vcc, 0, v4
	v_and_b32_e32 v3, 0xfc, v3
	v_and_or_b32 v2, v2, 3, v3
	s_and_b64 s[40:41], vcc, s[40:41]
	v_cndmask_b32_e64 v2, v2, 0, s[40:41]
	v_or_b32_e32 v15, v2, v5
.LBB2_5537:                             ;   in Loop: Header=BB2_4891 Depth=3
	s_or_b64 exec, exec, s[38:39]
                                        ; implicit-def: $vgpr5
.LBB2_5538:                             ;   in Loop: Header=BB2_4891 Depth=3
	s_andn2_saveexec_b64 s[40:41], s[36:37]
; %bb.5539:                             ;   in Loop: Header=BB2_4891 Depth=3
	v_or_b32_e32 v15, 0x7b, v5
; %bb.5540:                             ;   in Loop: Header=BB2_4891 Depth=3
	s_or_b64 exec, exec, s[40:41]
                                        ; implicit-def: $vgpr4
                                        ; implicit-def: $vgpr2_vgpr3
.LBB2_5541:                             ;   in Loop: Header=BB2_4891 Depth=3
	s_andn2_saveexec_b64 s[40:41], s[42:43]
	s_cbranch_execz .LBB2_5547
; %bb.5542:                             ;   in Loop: Header=BB2_4891 Depth=3
	v_cmp_ne_u64_e32 vcc, 0, v[2:3]
                                        ; implicit-def: $vgpr15
	s_and_saveexec_b64 s[42:43], vcc
	s_xor_b64 s[42:43], exec, s[42:43]
; %bb.5543:                             ;   in Loop: Header=BB2_4891 Depth=3
	v_or_b32_sdwa v15, v4, s47 dst_sel:DWORD dst_unused:UNUSED_PAD src0_sel:BYTE_3 src1_sel:DWORD
                                        ; implicit-def: $vgpr4
; %bb.5544:                             ;   in Loop: Header=BB2_4891 Depth=3
	s_andn2_saveexec_b64 s[42:43], s[42:43]
; %bb.5545:                             ;   in Loop: Header=BB2_4891 Depth=3
	v_cmp_lt_i32_e32 vcc, -1, v4
	v_cndmask_b32_e32 v15, v6, v22, vcc
; %bb.5546:                             ;   in Loop: Header=BB2_4891 Depth=3
	s_or_b64 exec, exec, s[42:43]
.LBB2_5547:                             ;   in Loop: Header=BB2_4891 Depth=3
	s_or_b64 exec, exec, s[40:41]
	v_and_b32_sdwa v4, v28, s87 dst_sel:DWORD dst_unused:UNUSED_PAD src0_sel:WORD_1 src1_sel:DWORD
	v_lshrrev_b32_e32 v2, 16, v28
	v_cmp_ne_u16_e32 vcc, 0, v4
	v_mov_b32_e32 v3, 0
	s_and_saveexec_b64 s[40:41], vcc
	s_cbranch_execz .LBB2_5555
; %bb.5548:                             ;   in Loop: Header=BB2_4891 Depth=3
	v_cmp_ne_u16_e32 vcc, s96, v4
	v_bfrev_b32_e32 v3, 1
	s_and_saveexec_b64 s[42:43], vcc
	s_cbranch_execz .LBB2_5554
; %bb.5549:                             ;   in Loop: Header=BB2_4891 Depth=3
	v_and_b32_e32 v3, 0x7c0000, v28
	v_bfe_u32 v4, v28, 16, 2
	v_cmp_ne_u32_e32 vcc, s44, v3
                                        ; implicit-def: $vgpr3
	s_and_saveexec_b64 s[36:37], vcc
	s_xor_b64 s[36:37], exec, s[36:37]
	s_cbranch_execz .LBB2_5551
; %bb.5550:                             ;   in Loop: Header=BB2_4891 Depth=3
	v_ffbh_u32_e32 v3, v4
	v_min_u32_e32 v17, 32, v3
	v_subrev_u32_e32 v3, 29, v17
	v_lshlrev_b64 v[2:3], v3, v[2:3]
	v_bfe_u32 v5, v28, 18, 5
	v_and_b32_e32 v2, 3, v2
	v_cmp_eq_u32_e32 vcc, 0, v5
	v_sub_u32_e32 v3, 30, v17
	v_cndmask_b32_e32 v2, v4, v2, vcc
	v_lshlrev_b32_e32 v4, 8, v28
	v_cndmask_b32_e32 v3, v5, v3, vcc
	v_and_b32_e32 v4, 0x80000000, v4
	v_lshl_add_u32 v3, v3, 23, v4
	v_lshl_or_b32 v2, v2, 21, v3
	v_add_u32_e32 v3, 0x38000000, v2
                                        ; implicit-def: $vgpr4
                                        ; implicit-def: $vgpr2
.LBB2_5551:                             ;   in Loop: Header=BB2_4891 Depth=3
	s_andn2_saveexec_b64 s[36:37], s[36:37]
; %bb.5552:                             ;   in Loop: Header=BB2_4891 Depth=3
	v_cmp_gt_i16_sdwa vcc, sext(v2), v48 src0_sel:BYTE_0 src1_sel:DWORD
	v_cndmask_b32_e32 v2, v7, v0, vcc
	v_cmp_eq_u32_e32 vcc, 0, v4
	v_cndmask_b32_e32 v3, v35, v2, vcc
; %bb.5553:                             ;   in Loop: Header=BB2_4891 Depth=3
	s_or_b64 exec, exec, s[36:37]
.LBB2_5554:                             ;   in Loop: Header=BB2_4891 Depth=3
	s_or_b64 exec, exec, s[42:43]
.LBB2_5555:                             ;   in Loop: Header=BB2_4891 Depth=3
	s_or_b64 exec, exec, s[40:41]
	v_lshrrev_b32_e32 v2, 16, v9
	v_cmp_gt_i16_sdwa s[42:43], v2, s47 src0_sel:BYTE_0 src1_sel:DWORD
	s_mov_b64 s[40:41], 0
	s_and_saveexec_b64 vcc, s[42:43]
	s_xor_b64 s[42:43], exec, vcc
	s_cbranch_execz .LBB2_5882
; %bb.5556:                             ;   in Loop: Header=BB2_4891 Depth=3
	v_cmp_eq_u16_sdwa s[36:37], v2, s96 src0_sel:BYTE_0 src1_sel:DWORD
	s_mov_b64 s[40:41], -1
	s_and_saveexec_b64 vcc, s[36:37]
; %bb.5557:                             ;   in Loop: Header=BB2_4891 Depth=3
	s_xor_b64 s[40:41], exec, -1
; %bb.5558:                             ;   in Loop: Header=BB2_4891 Depth=3
	s_or_b64 exec, exec, vcc
	s_and_b64 s[40:41], s[40:41], exec
	s_or_saveexec_b64 s[42:43], s[42:43]
	v_bfrev_b32_e32 v4, 1
	s_xor_b64 exec, exec, s[42:43]
	s_cbranch_execnz .LBB2_5883
.LBB2_5559:                             ;   in Loop: Header=BB2_4891 Depth=3
	s_or_b64 exec, exec, s[42:43]
	s_and_saveexec_b64 s[36:37], s[40:41]
	s_cbranch_execz .LBB2_5561
.LBB2_5560:                             ;   in Loop: Header=BB2_4891 Depth=3
	v_and_b32_e32 v17, 3, v2
	v_and_b32_e32 v4, 0x7c0000, v9
	v_cmp_eq_u32_e32 vcc, s44, v4
	v_ffbh_u32_e32 v4, v17
	v_min_u32_e32 v38, 32, v4
	v_subrev_u32_e32 v4, 29, v38
	v_bfe_u32 v30, v9, 18, 5
	v_lshlrev_b64 v[4:5], v4, v[2:3]
	v_cmp_eq_u32_e64 s[40:41], 0, v30
	v_sub_u32_e32 v5, 30, v38
	v_cndmask_b32_e64 v5, v30, v5, s[40:41]
	v_lshlrev_b32_e32 v30, 24, v2
	v_and_b32_e32 v4, 3, v4
	v_and_b32_e32 v30, 0x80000000, v30
	v_cndmask_b32_e64 v4, v17, v4, s[40:41]
	v_lshl_add_u32 v5, v5, 23, v30
	v_cmp_gt_i16_sdwa s[42:43], sext(v2), v48 src0_sel:BYTE_0 src1_sel:DWORD
	v_lshl_or_b32 v4, v4, 21, v5
	v_cmp_eq_u32_e64 s[40:41], 0, v17
	v_cndmask_b32_e64 v2, v7, v0, s[42:43]
	v_add_u32_e32 v4, 0x38000000, v4
	v_cndmask_b32_e64 v2, v35, v2, s[40:41]
	v_cndmask_b32_e32 v4, v4, v2, vcc
.LBB2_5561:                             ;   in Loop: Header=BB2_4891 Depth=3
	s_or_b64 exec, exec, s[36:37]
	v_add_f32_e32 v4, v3, v4
	v_and_b32_e32 v38, 0x7f800000, v4
	v_mov_b32_e32 v39, v29
	v_cmp_ne_u64_e32 vcc, s[76:77], v[38:39]
	v_and_b32_e32 v2, 0x7fffff, v4
	v_mov_b32_e32 v3, v29
                                        ; implicit-def: $vgpr30
	s_and_saveexec_b64 s[40:41], vcc
	s_xor_b64 s[42:43], exec, s[40:41]
	s_cbranch_execz .LBB2_5575
; %bb.5562:                             ;   in Loop: Header=BB2_4891 Depth=3
	v_and_b32_e32 v38, 0x7fffffff, v4
	v_mov_b32_e32 v39, v29
	v_cmp_gt_u64_e32 vcc, s[78:79], v[38:39]
	v_and_b32_sdwa v5, v4, s96 dst_sel:DWORD dst_unused:UNUSED_PAD src0_sel:BYTE_3 src1_sel:DWORD
                                        ; implicit-def: $vgpr30
	s_and_saveexec_b64 s[40:41], vcc
	s_xor_b64 s[36:37], exec, s[40:41]
	s_cbranch_execz .LBB2_5572
; %bb.5563:                             ;   in Loop: Header=BB2_4891 Depth=3
	v_mov_b32_e32 v30, 0
	v_cmp_ne_u32_e32 vcc, 0, v4
	s_and_saveexec_b64 s[38:39], vcc
	s_cbranch_execz .LBB2_5571
; %bb.5564:                             ;   in Loop: Header=BB2_4891 Depth=3
	v_bfe_u32 v17, v4, 23, 8
	v_cmp_gt_u32_e64 s[40:41], s46, v17
	v_sub_u32_e32 v4, 0x71, v17
	v_cmp_eq_u32_e32 vcc, 0, v17
	v_cndmask_b32_e64 v4, 0, v4, s[40:41]
	v_mov_b32_e32 v30, 0x70
	v_cndmask_b32_e32 v30, v4, v30, vcc
	v_or_b32_e32 v38, 0x800000, v2
	v_add_u32_e32 v4, 21, v30
	v_cndmask_b32_e32 v2, v38, v2, vcc
	v_lshlrev_b64 v[38:39], v4, -1
	v_add_u32_e32 v4, 20, v30
	v_bfi_b32 v38, v38, 0, v2
	v_lshlrev_b64 v[40:41], v4, 1
	v_lshrrev_b64 v[2:3], v30, v[2:3]
	v_bfi_b32 v39, v39, 0, 0
	v_cmp_eq_u64_e64 s[40:41], v[38:39], v[40:41]
	v_mov_b32_e32 v4, v3
	v_mov_b32_e32 v3, v2
	s_and_saveexec_b64 s[48:49], s[40:41]
; %bb.5565:                             ;   in Loop: Header=BB2_4891 Depth=3
	v_bfe_u32 v3, v2, 21, 1
	v_add_co_u32_e64 v3, s[40:41], v2, v3
	v_add_co_u32_e64 v3, s[40:41], -1, v3
; %bb.5566:                             ;   in Loop: Header=BB2_4891 Depth=3
	s_or_b64 exec, exec, s[48:49]
	v_add_u32_e32 v4, 0xffffff81, v17
	v_cndmask_b32_e32 v4, v4, v1, vcc
	v_lshrrev_b32_e32 v17, 23, v2
	v_add3_u32 v30, v30, v4, v17
	v_add_u32_e32 v17, 14, v30
	v_and_b32_e32 v3, 0x1fffff, v3
	v_add_u32_e32 v2, v3, v2
	v_mov_b32_e32 v3, v29
	v_cmp_ne_u32_e32 vcc, 0, v17
                                        ; implicit-def: $vgpr4
	s_and_saveexec_b64 s[40:41], vcc
	s_xor_b64 s[40:41], exec, s[40:41]
; %bb.5567:                             ;   in Loop: Header=BB2_4891 Depth=3
	v_cmp_lt_u64_e32 vcc, s[88:89], v[2:3]
	v_add_u32_e32 v4, 15, v30
	v_cndmask_b32_e32 v4, v17, v4, vcc
	v_cndmask_b32_e64 v17, 0, 1, vcc
	v_lshrrev_b64 v[2:3], v17, v[2:3]
; %bb.5568:                             ;   in Loop: Header=BB2_4891 Depth=3
	s_andn2_saveexec_b64 s[40:41], s[40:41]
; %bb.5569:                             ;   in Loop: Header=BB2_4891 Depth=3
	v_bfe_u32 v4, v2, 23, 1
; %bb.5570:                             ;   in Loop: Header=BB2_4891 Depth=3
	s_or_b64 exec, exec, s[40:41]
	v_lshrrev_b64 v[2:3], 21, v[2:3]
	v_cmp_gt_i32_e32 vcc, 32, v4
	v_cndmask_b32_e32 v3, 0, v3, vcc
	v_cndmask_b32_e32 v2, 3, v2, vcc
	v_cmp_eq_u64_e64 s[40:41], 0, v[2:3]
	v_min_i32_e32 v3, 31, v4
	v_lshlrev_b32_e32 v3, 2, v3
	v_cmp_eq_u32_e32 vcc, 0, v4
	v_and_b32_e32 v3, 0xfc, v3
	v_and_or_b32 v2, v2, 3, v3
	s_and_b64 s[40:41], vcc, s[40:41]
	v_cndmask_b32_e64 v2, v2, 0, s[40:41]
	v_or_b32_e32 v30, v2, v5
.LBB2_5571:                             ;   in Loop: Header=BB2_4891 Depth=3
	s_or_b64 exec, exec, s[38:39]
                                        ; implicit-def: $vgpr5
.LBB2_5572:                             ;   in Loop: Header=BB2_4891 Depth=3
	s_andn2_saveexec_b64 s[40:41], s[36:37]
; %bb.5573:                             ;   in Loop: Header=BB2_4891 Depth=3
	v_or_b32_e32 v30, 0x7b, v5
; %bb.5574:                             ;   in Loop: Header=BB2_4891 Depth=3
	s_or_b64 exec, exec, s[40:41]
                                        ; implicit-def: $vgpr4
                                        ; implicit-def: $vgpr2_vgpr3
.LBB2_5575:                             ;   in Loop: Header=BB2_4891 Depth=3
	s_andn2_saveexec_b64 s[40:41], s[42:43]
	s_cbranch_execz .LBB2_5581
; %bb.5576:                             ;   in Loop: Header=BB2_4891 Depth=3
	v_cmp_ne_u64_e32 vcc, 0, v[2:3]
                                        ; implicit-def: $vgpr30
	s_and_saveexec_b64 s[42:43], vcc
	s_xor_b64 s[42:43], exec, s[42:43]
; %bb.5577:                             ;   in Loop: Header=BB2_4891 Depth=3
	v_or_b32_sdwa v30, v4, s47 dst_sel:DWORD dst_unused:UNUSED_PAD src0_sel:BYTE_3 src1_sel:DWORD
                                        ; implicit-def: $vgpr4
; %bb.5578:                             ;   in Loop: Header=BB2_4891 Depth=3
	s_andn2_saveexec_b64 s[42:43], s[42:43]
; %bb.5579:                             ;   in Loop: Header=BB2_4891 Depth=3
	v_cmp_lt_i32_e32 vcc, -1, v4
	v_cndmask_b32_e32 v30, v6, v22, vcc
; %bb.5580:                             ;   in Loop: Header=BB2_4891 Depth=3
	s_or_b64 exec, exec, s[42:43]
.LBB2_5581:                             ;   in Loop: Header=BB2_4891 Depth=3
	s_or_b64 exec, exec, s[40:41]
	v_cmp_lt_u32_e32 vcc, s57, v28
	v_mov_b32_e32 v3, 0
	s_and_saveexec_b64 s[40:41], vcc
	s_cbranch_execz .LBB2_5589
; %bb.5582:                             ;   in Loop: Header=BB2_4891 Depth=3
	v_lshrrev_b32_e32 v2, 24, v28
	v_cmp_ne_u32_e32 vcc, s96, v2
	v_bfrev_b32_e32 v3, 1
	s_and_saveexec_b64 s[42:43], vcc
	s_cbranch_execz .LBB2_5588
; %bb.5583:                             ;   in Loop: Header=BB2_4891 Depth=3
	v_and_b32_e32 v3, 0x7c000000, v28
	v_bfe_u32 v4, v28, 24, 2
	v_cmp_ne_u32_e32 vcc, s45, v3
                                        ; implicit-def: $vgpr3
	s_and_saveexec_b64 s[36:37], vcc
	s_xor_b64 s[36:37], exec, s[36:37]
	s_cbranch_execz .LBB2_5585
; %bb.5584:                             ;   in Loop: Header=BB2_4891 Depth=3
	v_ffbh_u32_e32 v3, v4
	v_min_u32_e32 v17, 32, v3
	v_subrev_u32_e32 v3, 29, v17
	v_lshlrev_b64 v[2:3], v3, v[2:3]
	v_bfe_u32 v5, v28, 26, 5
	v_sub_u32_e32 v3, 30, v17
	v_and_b32_e32 v2, 3, v2
	v_cmp_eq_u32_e32 vcc, 0, v5
	v_cndmask_b32_e32 v3, v5, v3, vcc
	v_cndmask_b32_e32 v2, v4, v2, vcc
	v_and_b32_e32 v4, 0x80000000, v28
	v_lshl_add_u32 v3, v3, 23, v4
	v_lshl_or_b32 v2, v2, 21, v3
	v_add_u32_e32 v3, 0x38000000, v2
                                        ; implicit-def: $vgpr4
.LBB2_5585:                             ;   in Loop: Header=BB2_4891 Depth=3
	s_andn2_saveexec_b64 s[36:37], s[36:37]
; %bb.5586:                             ;   in Loop: Header=BB2_4891 Depth=3
	v_cmp_lt_i32_e32 vcc, -1, v28
	v_cndmask_b32_e32 v2, v7, v0, vcc
	v_cmp_eq_u32_e32 vcc, 0, v4
	v_cndmask_b32_e32 v3, v35, v2, vcc
; %bb.5587:                             ;   in Loop: Header=BB2_4891 Depth=3
	s_or_b64 exec, exec, s[36:37]
.LBB2_5588:                             ;   in Loop: Header=BB2_4891 Depth=3
	s_or_b64 exec, exec, s[42:43]
.LBB2_5589:                             ;   in Loop: Header=BB2_4891 Depth=3
	s_or_b64 exec, exec, s[40:41]
	v_bfe_u32 v17, v9, 24, 2
	v_and_b32_e32 v4, 0x7c000000, v9
	v_cmp_eq_u32_e32 vcc, s45, v4
	v_ffbh_u32_e32 v4, v17
	v_min_u32_e32 v38, 32, v4
	v_lshrrev_b32_e32 v2, 24, v9
	v_subrev_u32_e32 v4, 29, v38
	v_bfe_u32 v28, v9, 26, 5
	v_lshlrev_b64 v[4:5], v4, v[2:3]
	v_cmp_eq_u32_e64 s[40:41], 0, v28
	v_sub_u32_e32 v5, 30, v38
	v_and_b32_e32 v4, 3, v4
	v_cndmask_b32_e64 v5, v28, v5, s[40:41]
	v_and_b32_e32 v28, 0x80000000, v9
	v_cmp_lt_i64_e64 s[42:43], -1, v[8:9]
	v_cndmask_b32_e64 v4, v17, v4, s[40:41]
	v_lshl_add_u32 v5, v5, 23, v28
	v_lshl_or_b32 v4, v4, 21, v5
	v_cmp_eq_u32_e64 s[40:41], 0, v17
	v_cndmask_b32_e64 v5, v7, v0, s[42:43]
	v_add_u32_e32 v4, 0x38000000, v4
	v_cndmask_b32_e64 v5, v35, v5, s[40:41]
	v_cndmask_b32_e32 v4, v4, v5, vcc
	v_cmp_ne_u32_e32 vcc, s96, v2
	v_bfrev_b32_e32 v2, 1
	v_cndmask_b32_e32 v2, v2, v4, vcc
	v_cmp_lt_u64_e32 vcc, s[56:57], v[8:9]
	v_mov_b32_e32 v4, v29
	v_cndmask_b32_e32 v2, 0, v2, vcc
	v_add_f32_e32 v2, v2, v3
	v_and_b32_e32 v3, 0x7f800000, v2
	v_cmp_ne_u64_e32 vcc, s[76:77], v[3:4]
	v_and_b32_e32 v28, 0x7fffff, v2
                                        ; implicit-def: $vgpr61
	s_and_saveexec_b64 s[40:41], vcc
	s_xor_b64 s[42:43], exec, s[40:41]
	s_cbranch_execz .LBB2_5603
; %bb.5590:                             ;   in Loop: Header=BB2_4891 Depth=3
	v_and_b32_e32 v3, 0x7fffffff, v2
	v_mov_b32_e32 v4, v29
	v_cmp_gt_u64_e32 vcc, s[78:79], v[3:4]
	v_and_b32_sdwa v5, v2, s96 dst_sel:DWORD dst_unused:UNUSED_PAD src0_sel:BYTE_3 src1_sel:DWORD
                                        ; implicit-def: $vgpr61
	s_and_saveexec_b64 s[40:41], vcc
	s_xor_b64 s[36:37], exec, s[40:41]
	s_cbranch_execz .LBB2_5600
; %bb.5591:                             ;   in Loop: Header=BB2_4891 Depth=3
	v_mov_b32_e32 v61, 0
	v_cmp_ne_u32_e32 vcc, 0, v2
	s_and_saveexec_b64 s[38:39], vcc
	s_cbranch_execz .LBB2_5599
; %bb.5592:                             ;   in Loop: Header=BB2_4891 Depth=3
	v_bfe_u32 v8, v2, 23, 8
	v_cmp_gt_u32_e64 s[40:41], s46, v8
	v_sub_u32_e32 v2, 0x71, v8
	v_cmp_eq_u32_e32 vcc, 0, v8
	v_cndmask_b32_e64 v2, 0, v2, s[40:41]
	v_mov_b32_e32 v4, 0x70
	v_cndmask_b32_e32 v9, v2, v4, vcc
	v_add_u32_e32 v4, 21, v9
	v_or_b32_e32 v3, 0x800000, v28
	v_lshlrev_b64 v[38:39], v4, -1
	v_cndmask_b32_e32 v2, v3, v28, vcc
	v_mov_b32_e32 v3, v29
	v_add_u32_e32 v4, 20, v9
	v_bfi_b32 v38, v38, 0, v2
	v_lshlrev_b64 v[40:41], v4, 1
	v_lshrrev_b64 v[2:3], v9, v[2:3]
	v_bfi_b32 v39, v39, 0, 0
	v_cmp_eq_u64_e64 s[40:41], v[38:39], v[40:41]
	v_mov_b32_e32 v4, v3
	v_mov_b32_e32 v3, v2
	s_and_saveexec_b64 s[48:49], s[40:41]
; %bb.5593:                             ;   in Loop: Header=BB2_4891 Depth=3
	v_bfe_u32 v3, v2, 21, 1
	v_add_co_u32_e64 v3, s[40:41], v2, v3
	v_add_co_u32_e64 v3, s[40:41], -1, v3
; %bb.5594:                             ;   in Loop: Header=BB2_4891 Depth=3
	s_or_b64 exec, exec, s[48:49]
	v_add_u32_e32 v4, 0xffffff81, v8
	v_cndmask_b32_e32 v4, v4, v1, vcc
	v_lshrrev_b32_e32 v8, 23, v2
	v_add3_u32 v9, v9, v4, v8
	v_add_u32_e32 v8, 14, v9
	v_and_b32_e32 v3, 0x1fffff, v3
	v_add_u32_e32 v28, v3, v2
	v_cmp_ne_u32_e32 vcc, 0, v8
                                        ; implicit-def: $vgpr2_vgpr3
                                        ; implicit-def: $vgpr4
	s_and_saveexec_b64 s[40:41], vcc
	s_xor_b64 s[40:41], exec, s[40:41]
; %bb.5595:                             ;   in Loop: Header=BB2_4891 Depth=3
	v_cmp_lt_u64_e32 vcc, s[88:89], v[28:29]
	v_add_u32_e32 v2, 15, v9
	v_cndmask_b32_e32 v4, v8, v2, vcc
	v_cndmask_b32_e64 v2, 0, 1, vcc
	v_lshrrev_b64 v[2:3], v2, v[28:29]
; %bb.5596:                             ;   in Loop: Header=BB2_4891 Depth=3
	s_andn2_saveexec_b64 s[40:41], s[40:41]
; %bb.5597:                             ;   in Loop: Header=BB2_4891 Depth=3
	v_mov_b32_e32 v2, v28
	v_mov_b32_e32 v3, v29
	v_bfe_u32 v4, v28, 23, 1
; %bb.5598:                             ;   in Loop: Header=BB2_4891 Depth=3
	s_or_b64 exec, exec, s[40:41]
	v_lshrrev_b64 v[2:3], 21, v[2:3]
	v_cmp_gt_i32_e32 vcc, 32, v4
	v_cndmask_b32_e32 v3, 0, v3, vcc
	v_cndmask_b32_e32 v2, 3, v2, vcc
	v_cmp_eq_u64_e64 s[40:41], 0, v[2:3]
	v_min_i32_e32 v3, 31, v4
	v_lshlrev_b32_e32 v3, 2, v3
	v_cmp_eq_u32_e32 vcc, 0, v4
	v_and_b32_e32 v3, 0xfc, v3
	v_and_or_b32 v2, v2, 3, v3
	s_and_b64 s[40:41], vcc, s[40:41]
	v_cndmask_b32_e64 v2, v2, 0, s[40:41]
	v_or_b32_e32 v61, v2, v5
.LBB2_5599:                             ;   in Loop: Header=BB2_4891 Depth=3
	s_or_b64 exec, exec, s[38:39]
                                        ; implicit-def: $vgpr5
.LBB2_5600:                             ;   in Loop: Header=BB2_4891 Depth=3
	s_andn2_saveexec_b64 s[40:41], s[36:37]
; %bb.5601:                             ;   in Loop: Header=BB2_4891 Depth=3
	v_or_b32_e32 v61, 0x7b, v5
; %bb.5602:                             ;   in Loop: Header=BB2_4891 Depth=3
	s_or_b64 exec, exec, s[40:41]
                                        ; implicit-def: $vgpr2
.LBB2_5603:                             ;   in Loop: Header=BB2_4891 Depth=3
	s_andn2_saveexec_b64 s[40:41], s[42:43]
	s_cbranch_execz .LBB2_5609
; %bb.5604:                             ;   in Loop: Header=BB2_4891 Depth=3
	v_cmp_ne_u64_e32 vcc, 0, v[28:29]
                                        ; implicit-def: $vgpr61
	s_and_saveexec_b64 s[42:43], vcc
	s_xor_b64 s[42:43], exec, s[42:43]
; %bb.5605:                             ;   in Loop: Header=BB2_4891 Depth=3
	v_or_b32_sdwa v61, v2, s47 dst_sel:DWORD dst_unused:UNUSED_PAD src0_sel:BYTE_3 src1_sel:DWORD
                                        ; implicit-def: $vgpr2
; %bb.5606:                             ;   in Loop: Header=BB2_4891 Depth=3
	s_andn2_saveexec_b64 s[42:43], s[42:43]
; %bb.5607:                             ;   in Loop: Header=BB2_4891 Depth=3
	v_cmp_lt_i32_e32 vcc, -1, v2
	v_cndmask_b32_e32 v61, v6, v22, vcc
; %bb.5608:                             ;   in Loop: Header=BB2_4891 Depth=3
	s_or_b64 exec, exec, s[42:43]
.LBB2_5609:                             ;   in Loop: Header=BB2_4891 Depth=3
	s_or_b64 exec, exec, s[40:41]
	v_lshl_or_b32 v5, v56, 8, v52
	v_lshlrev_b32_e32 v2, 16, v59
	v_lshlrev_b32_e32 v3, 24, v60
	v_or3_b32 v28, v2, v3, v5
	v_cmp_ne_u32_e32 vcc, 0, v52
	v_mov_b32_e32 v2, 0
	s_and_saveexec_b64 s[42:43], vcc
	s_cbranch_execz .LBB2_5617
; %bb.5610:                             ;   in Loop: Header=BB2_4891 Depth=3
	v_cmp_ne_u32_e32 vcc, s96, v52
	v_bfrev_b32_e32 v2, 1
	s_and_saveexec_b64 s[36:37], vcc
	s_cbranch_execz .LBB2_5616
; %bb.5611:                             ;   in Loop: Header=BB2_4891 Depth=3
	v_and_b32_e32 v2, 0x7c, v52
	v_and_b32_e32 v3, 3, v52
	v_cmp_ne_u32_e32 vcc, s85, v2
                                        ; implicit-def: $vgpr2
	s_and_saveexec_b64 s[40:41], vcc
	s_xor_b64 s[40:41], exec, s[40:41]
	s_cbranch_execz .LBB2_5613
; %bb.5612:                             ;   in Loop: Header=BB2_4891 Depth=3
	v_ffbh_u32_e32 v4, v3
	v_min_u32_e32 v4, 32, v4
	v_bfe_u32 v2, v52, 2, 5
	v_subrev_u32_e32 v8, 29, v4
	v_lshlrev_b64 v[8:9], v8, v[28:29]
	v_sub_u32_e32 v4, 30, v4
	v_cmp_eq_u32_e32 vcc, 0, v2
	v_cndmask_b32_e32 v2, v2, v4, vcc
	v_lshlrev_b32_e32 v4, 24, v52
	v_and_b32_e32 v8, 3, v8
	v_and_b32_e32 v4, 0x80000000, v4
	v_cndmask_b32_e32 v3, v3, v8, vcc
	v_lshl_add_u32 v2, v2, 23, v4
	v_lshl_or_b32 v2, v3, 21, v2
	v_add_u32_e32 v2, 0x38000000, v2
                                        ; implicit-def: $vgpr3
                                        ; implicit-def: $vgpr52
.LBB2_5613:                             ;   in Loop: Header=BB2_4891 Depth=3
	s_andn2_saveexec_b64 s[38:39], s[40:41]
; %bb.5614:                             ;   in Loop: Header=BB2_4891 Depth=3
	v_and_b32_e32 v2, 0x80, v52
	v_cmp_eq_u32_e64 s[40:41], 0, v2
	v_cmp_eq_u32_e32 vcc, 0, v3
	v_cndmask_b32_e64 v2, v7, v0, s[40:41]
	v_cndmask_b32_e32 v2, v35, v2, vcc
; %bb.5615:                             ;   in Loop: Header=BB2_4891 Depth=3
	s_or_b64 exec, exec, s[38:39]
.LBB2_5616:                             ;   in Loop: Header=BB2_4891 Depth=3
	s_or_b64 exec, exec, s[36:37]
.LBB2_5617:                             ;   in Loop: Header=BB2_4891 Depth=3
	s_or_b64 exec, exec, s[42:43]
	v_cmp_gt_i16_sdwa s[42:43], v10, s47 src0_sel:BYTE_0 src1_sel:DWORD
	s_mov_b64 s[40:41], 0
	s_and_saveexec_b64 vcc, s[42:43]
	s_xor_b64 s[42:43], exec, vcc
	s_cbranch_execz .LBB2_5884
; %bb.5618:                             ;   in Loop: Header=BB2_4891 Depth=3
	v_cmp_eq_u16_sdwa s[36:37], v10, s96 src0_sel:BYTE_0 src1_sel:DWORD
	s_mov_b64 s[40:41], -1
	s_and_saveexec_b64 vcc, s[36:37]
; %bb.5619:                             ;   in Loop: Header=BB2_4891 Depth=3
	s_xor_b64 s[40:41], exec, -1
; %bb.5620:                             ;   in Loop: Header=BB2_4891 Depth=3
	s_or_b64 exec, exec, vcc
	s_and_b64 s[40:41], s[40:41], exec
	s_or_saveexec_b64 s[42:43], s[42:43]
	v_bfrev_b32_e32 v3, 1
	s_xor_b64 exec, exec, s[42:43]
	s_cbranch_execnz .LBB2_5885
.LBB2_5621:                             ;   in Loop: Header=BB2_4891 Depth=3
	s_or_b64 exec, exec, s[42:43]
	s_and_saveexec_b64 s[36:37], s[40:41]
	s_cbranch_execz .LBB2_5623
.LBB2_5622:                             ;   in Loop: Header=BB2_4891 Depth=3
	v_and_b32_e32 v8, 3, v10
	v_and_b32_e32 v3, 0x7c, v10
	v_cmp_eq_u32_e32 vcc, s85, v3
	v_ffbh_u32_e32 v3, v8
	v_min_u32_e32 v17, 32, v3
	v_subrev_u32_e32 v3, 29, v17
	v_bfe_u32 v9, v10, 2, 5
	v_lshlrev_b64 v[3:4], v3, v[10:11]
	v_cmp_eq_u32_e64 s[40:41], 0, v9
	v_sub_u32_e32 v4, 30, v17
	v_cndmask_b32_e64 v4, v9, v4, s[40:41]
	v_lshlrev_b32_e32 v9, 24, v10
	v_and_b32_e32 v3, 3, v3
	v_and_b32_e32 v9, 0x80000000, v9
	v_cndmask_b32_e64 v3, v8, v3, s[40:41]
	v_lshl_add_u32 v4, v4, 23, v9
	v_cmp_gt_i16_sdwa s[42:43], sext(v10), v48 src0_sel:BYTE_0 src1_sel:DWORD
	v_lshl_or_b32 v3, v3, 21, v4
	v_cmp_eq_u32_e64 s[40:41], 0, v8
	v_cndmask_b32_e64 v4, v7, v0, s[42:43]
	v_add_u32_e32 v3, 0x38000000, v3
	v_cndmask_b32_e64 v4, v35, v4, s[40:41]
	v_cndmask_b32_e32 v3, v3, v4, vcc
.LBB2_5623:                             ;   in Loop: Header=BB2_4891 Depth=3
	s_or_b64 exec, exec, s[36:37]
	v_add_f32_e32 v4, v2, v3
	v_and_b32_e32 v8, 0x7f800000, v4
	v_mov_b32_e32 v9, v29
	v_cmp_ne_u64_e32 vcc, s[76:77], v[8:9]
	v_and_b32_e32 v2, 0x7fffff, v4
	v_mov_b32_e32 v3, v29
                                        ; implicit-def: $vgpr52
	s_and_saveexec_b64 s[40:41], vcc
	s_xor_b64 s[42:43], exec, s[40:41]
	s_cbranch_execz .LBB2_5637
; %bb.5624:                             ;   in Loop: Header=BB2_4891 Depth=3
	v_and_b32_e32 v8, 0x7fffffff, v4
	v_mov_b32_e32 v9, v29
	v_cmp_gt_u64_e32 vcc, s[78:79], v[8:9]
	v_and_b32_sdwa v8, v4, s96 dst_sel:DWORD dst_unused:UNUSED_PAD src0_sel:BYTE_3 src1_sel:DWORD
                                        ; implicit-def: $vgpr52
	s_and_saveexec_b64 s[40:41], vcc
	s_xor_b64 s[36:37], exec, s[40:41]
	s_cbranch_execz .LBB2_5634
; %bb.5625:                             ;   in Loop: Header=BB2_4891 Depth=3
	v_mov_b32_e32 v52, 0
	v_cmp_ne_u32_e32 vcc, 0, v4
	s_and_saveexec_b64 s[38:39], vcc
	s_cbranch_execz .LBB2_5633
; %bb.5626:                             ;   in Loop: Header=BB2_4891 Depth=3
	v_bfe_u32 v9, v4, 23, 8
	v_cmp_gt_u32_e64 s[40:41], s46, v9
	v_sub_u32_e32 v4, 0x71, v9
	v_cmp_eq_u32_e32 vcc, 0, v9
	v_cndmask_b32_e64 v4, 0, v4, s[40:41]
	v_mov_b32_e32 v17, 0x70
	v_cndmask_b32_e32 v17, v4, v17, vcc
	v_or_b32_e32 v38, 0x800000, v2
	v_add_u32_e32 v4, 21, v17
	v_cndmask_b32_e32 v2, v38, v2, vcc
	v_lshlrev_b64 v[38:39], v4, -1
	v_add_u32_e32 v4, 20, v17
	v_bfi_b32 v38, v38, 0, v2
	v_lshlrev_b64 v[40:41], v4, 1
	v_lshrrev_b64 v[2:3], v17, v[2:3]
	v_bfi_b32 v39, v39, 0, 0
	v_cmp_eq_u64_e64 s[40:41], v[38:39], v[40:41]
	v_mov_b32_e32 v4, v3
	v_mov_b32_e32 v3, v2
	s_and_saveexec_b64 s[48:49], s[40:41]
; %bb.5627:                             ;   in Loop: Header=BB2_4891 Depth=3
	v_bfe_u32 v3, v2, 21, 1
	v_add_co_u32_e64 v3, s[40:41], v2, v3
	v_add_co_u32_e64 v3, s[40:41], -1, v3
; %bb.5628:                             ;   in Loop: Header=BB2_4891 Depth=3
	s_or_b64 exec, exec, s[48:49]
	v_add_u32_e32 v4, 0xffffff81, v9
	v_cndmask_b32_e32 v4, v4, v1, vcc
	v_lshrrev_b32_e32 v9, 23, v2
	v_add3_u32 v17, v17, v4, v9
	v_add_u32_e32 v9, 14, v17
	v_and_b32_e32 v3, 0x1fffff, v3
	v_add_u32_e32 v2, v3, v2
	v_mov_b32_e32 v3, v29
	v_cmp_ne_u32_e32 vcc, 0, v9
                                        ; implicit-def: $vgpr4
	s_and_saveexec_b64 s[40:41], vcc
	s_xor_b64 s[40:41], exec, s[40:41]
; %bb.5629:                             ;   in Loop: Header=BB2_4891 Depth=3
	v_cmp_lt_u64_e32 vcc, s[88:89], v[2:3]
	v_add_u32_e32 v4, 15, v17
	v_cndmask_b32_e32 v4, v9, v4, vcc
	v_cndmask_b32_e64 v9, 0, 1, vcc
	v_lshrrev_b64 v[2:3], v9, v[2:3]
; %bb.5630:                             ;   in Loop: Header=BB2_4891 Depth=3
	s_andn2_saveexec_b64 s[40:41], s[40:41]
; %bb.5631:                             ;   in Loop: Header=BB2_4891 Depth=3
	v_bfe_u32 v4, v2, 23, 1
; %bb.5632:                             ;   in Loop: Header=BB2_4891 Depth=3
	s_or_b64 exec, exec, s[40:41]
	v_lshrrev_b64 v[2:3], 21, v[2:3]
	v_cmp_gt_i32_e32 vcc, 32, v4
	v_cndmask_b32_e32 v3, 0, v3, vcc
	v_cndmask_b32_e32 v2, 3, v2, vcc
	v_cmp_eq_u64_e64 s[40:41], 0, v[2:3]
	v_min_i32_e32 v3, 31, v4
	v_lshlrev_b32_e32 v3, 2, v3
	v_cmp_eq_u32_e32 vcc, 0, v4
	v_and_b32_e32 v3, 0xfc, v3
	v_and_or_b32 v2, v2, 3, v3
	s_and_b64 s[40:41], vcc, s[40:41]
	v_cndmask_b32_e64 v2, v2, 0, s[40:41]
	v_or_b32_e32 v52, v2, v8
.LBB2_5633:                             ;   in Loop: Header=BB2_4891 Depth=3
	s_or_b64 exec, exec, s[38:39]
                                        ; implicit-def: $vgpr8
.LBB2_5634:                             ;   in Loop: Header=BB2_4891 Depth=3
	s_andn2_saveexec_b64 s[40:41], s[36:37]
; %bb.5635:                             ;   in Loop: Header=BB2_4891 Depth=3
	v_or_b32_e32 v52, 0x7b, v8
; %bb.5636:                             ;   in Loop: Header=BB2_4891 Depth=3
	s_or_b64 exec, exec, s[40:41]
                                        ; implicit-def: $vgpr4
                                        ; implicit-def: $vgpr2_vgpr3
.LBB2_5637:                             ;   in Loop: Header=BB2_4891 Depth=3
	s_andn2_saveexec_b64 s[40:41], s[42:43]
	s_cbranch_execz .LBB2_5643
; %bb.5638:                             ;   in Loop: Header=BB2_4891 Depth=3
	v_cmp_ne_u64_e32 vcc, 0, v[2:3]
                                        ; implicit-def: $vgpr52
	s_and_saveexec_b64 s[42:43], vcc
	s_xor_b64 s[42:43], exec, s[42:43]
; %bb.5639:                             ;   in Loop: Header=BB2_4891 Depth=3
	v_or_b32_sdwa v52, v4, s47 dst_sel:DWORD dst_unused:UNUSED_PAD src0_sel:BYTE_3 src1_sel:DWORD
                                        ; implicit-def: $vgpr4
; %bb.5640:                             ;   in Loop: Header=BB2_4891 Depth=3
	s_andn2_saveexec_b64 s[42:43], s[42:43]
; %bb.5641:                             ;   in Loop: Header=BB2_4891 Depth=3
	v_cmp_lt_i32_e32 vcc, -1, v4
	v_cndmask_b32_e32 v52, v6, v22, vcc
; %bb.5642:                             ;   in Loop: Header=BB2_4891 Depth=3
	s_or_b64 exec, exec, s[42:43]
.LBB2_5643:                             ;   in Loop: Header=BB2_4891 Depth=3
	s_or_b64 exec, exec, s[40:41]
	v_lshrrev_b16_e32 v2, 8, v5
	v_cmp_ne_u16_e32 vcc, 0, v2
	v_mov_b32_e32 v4, 0
	s_and_saveexec_b64 s[40:41], vcc
	s_cbranch_execz .LBB2_5651
; %bb.5644:                             ;   in Loop: Header=BB2_4891 Depth=3
	v_cmp_ne_u16_e32 vcc, s96, v2
	v_bfrev_b32_e32 v4, 1
	s_and_saveexec_b64 s[42:43], vcc
	s_cbranch_execz .LBB2_5650
; %bb.5645:                             ;   in Loop: Header=BB2_4891 Depth=3
	v_and_b32_e32 v3, 0x7c, v2
	v_and_b32_e32 v8, 3, v2
	v_cmp_ne_u32_e32 vcc, s85, v3
                                        ; implicit-def: $vgpr4
	s_and_saveexec_b64 s[36:37], vcc
	s_xor_b64 s[36:37], exec, s[36:37]
	s_cbranch_execz .LBB2_5647
; %bb.5646:                             ;   in Loop: Header=BB2_4891 Depth=3
	v_ffbh_u32_e32 v9, v8
	v_min_u32_e32 v9, 32, v9
	v_mov_b32_e32 v3, v29
	v_subrev_u32_e32 v17, 29, v9
	v_bfe_u32 v4, v2, 2, 5
	v_lshlrev_b64 v[2:3], v17, v[2:3]
	v_sub_u32_e32 v3, 30, v9
	v_cmp_eq_u32_e32 vcc, 0, v4
	v_cndmask_b32_e32 v3, v4, v3, vcc
	v_lshlrev_b32_e32 v4, 16, v5
	v_and_b32_e32 v2, 3, v2
	v_and_b32_e32 v4, 0x80000000, v4
	v_cndmask_b32_e32 v2, v8, v2, vcc
	v_lshl_add_u32 v3, v3, 23, v4
	v_lshl_or_b32 v2, v2, 21, v3
	v_add_u32_e32 v4, 0x38000000, v2
                                        ; implicit-def: $vgpr8
                                        ; implicit-def: $vgpr5
.LBB2_5647:                             ;   in Loop: Header=BB2_4891 Depth=3
	s_andn2_saveexec_b64 s[36:37], s[36:37]
; %bb.5648:                             ;   in Loop: Header=BB2_4891 Depth=3
	v_cmp_lt_i16_e32 vcc, -1, v5
	v_cndmask_b32_e32 v2, v7, v0, vcc
	v_cmp_eq_u32_e32 vcc, 0, v8
	v_cndmask_b32_e32 v4, v35, v2, vcc
; %bb.5649:                             ;   in Loop: Header=BB2_4891 Depth=3
	s_or_b64 exec, exec, s[36:37]
.LBB2_5650:                             ;   in Loop: Header=BB2_4891 Depth=3
	s_or_b64 exec, exec, s[42:43]
.LBB2_5651:                             ;   in Loop: Header=BB2_4891 Depth=3
	s_or_b64 exec, exec, s[40:41]
	v_lshrrev_b16_e32 v2, 8, v10
	v_cmp_lt_i16_e32 vcc, s47, v2
	s_mov_b64 s[40:41], 0
	s_and_saveexec_b64 s[42:43], vcc
	s_xor_b64 s[42:43], exec, s[42:43]
	s_cbranch_execz .LBB2_5886
; %bb.5652:                             ;   in Loop: Header=BB2_4891 Depth=3
	v_cmp_eq_u16_e32 vcc, s96, v2
	s_mov_b64 s[40:41], -1
	s_and_saveexec_b64 s[36:37], vcc
; %bb.5653:                             ;   in Loop: Header=BB2_4891 Depth=3
	s_xor_b64 s[40:41], exec, -1
; %bb.5654:                             ;   in Loop: Header=BB2_4891 Depth=3
	s_or_b64 exec, exec, s[36:37]
	s_and_b64 s[40:41], s[40:41], exec
	s_or_saveexec_b64 s[42:43], s[42:43]
	v_bfrev_b32_e32 v3, 1
	s_xor_b64 exec, exec, s[42:43]
	s_cbranch_execnz .LBB2_5887
.LBB2_5655:                             ;   in Loop: Header=BB2_4891 Depth=3
	s_or_b64 exec, exec, s[42:43]
	s_and_saveexec_b64 s[36:37], s[40:41]
	s_cbranch_execz .LBB2_5657
.LBB2_5656:                             ;   in Loop: Header=BB2_4891 Depth=3
	v_and_b32_e32 v5, 3, v2
	v_and_b32_e32 v8, 0x7c, v2
	v_cmp_eq_u32_e32 vcc, s85, v8
	v_ffbh_u32_e32 v8, v5
	v_min_u32_e32 v38, 32, v8
	v_mov_b32_e32 v3, v29
	v_subrev_u32_e32 v8, 29, v38
	v_bfe_u32 v17, v2, 2, 5
	v_lshlrev_b64 v[8:9], v8, v[2:3]
	v_cmp_eq_u32_e64 s[40:41], 0, v17
	v_sub_u32_e32 v3, 30, v38
	v_lshlrev_b32_e32 v2, 24, v2
	v_and_b32_e32 v8, 3, v8
	v_cndmask_b32_e64 v3, v17, v3, s[40:41]
	v_and_b32_e32 v2, 0x80000000, v2
	v_cndmask_b32_e64 v8, v5, v8, s[40:41]
	v_lshl_add_u32 v2, v3, 23, v2
	v_cmp_lt_i16_e64 s[42:43], -1, v10
	v_lshl_or_b32 v2, v8, 21, v2
	v_cmp_eq_u32_e64 s[40:41], 0, v5
	v_cndmask_b32_e64 v3, v7, v0, s[42:43]
	v_add_u32_e32 v2, 0x38000000, v2
	v_cndmask_b32_e64 v3, v35, v3, s[40:41]
	v_cndmask_b32_e32 v3, v2, v3, vcc
.LBB2_5657:                             ;   in Loop: Header=BB2_4891 Depth=3
	s_or_b64 exec, exec, s[36:37]
	v_add_f32_e32 v4, v4, v3
	v_and_b32_e32 v8, 0x7f800000, v4
	v_mov_b32_e32 v9, v29
	v_cmp_ne_u64_e32 vcc, s[76:77], v[8:9]
	v_and_b32_e32 v2, 0x7fffff, v4
	v_mov_b32_e32 v3, v29
                                        ; implicit-def: $vgpr56
	s_and_saveexec_b64 s[40:41], vcc
	s_xor_b64 s[42:43], exec, s[40:41]
	s_cbranch_execz .LBB2_5671
; %bb.5658:                             ;   in Loop: Header=BB2_4891 Depth=3
	v_and_b32_e32 v8, 0x7fffffff, v4
	v_mov_b32_e32 v9, v29
	v_cmp_gt_u64_e32 vcc, s[78:79], v[8:9]
	v_and_b32_sdwa v5, v4, s96 dst_sel:DWORD dst_unused:UNUSED_PAD src0_sel:BYTE_3 src1_sel:DWORD
                                        ; implicit-def: $vgpr56
	s_and_saveexec_b64 s[40:41], vcc
	s_xor_b64 s[36:37], exec, s[40:41]
	s_cbranch_execz .LBB2_5668
; %bb.5659:                             ;   in Loop: Header=BB2_4891 Depth=3
	v_mov_b32_e32 v56, 0
	v_cmp_ne_u32_e32 vcc, 0, v4
	s_and_saveexec_b64 s[38:39], vcc
	s_cbranch_execz .LBB2_5667
; %bb.5660:                             ;   in Loop: Header=BB2_4891 Depth=3
	v_bfe_u32 v8, v4, 23, 8
	v_cmp_gt_u32_e64 s[40:41], s46, v8
	v_sub_u32_e32 v4, 0x71, v8
	v_cmp_eq_u32_e32 vcc, 0, v8
	v_cndmask_b32_e64 v4, 0, v4, s[40:41]
	v_mov_b32_e32 v9, 0x70
	v_cndmask_b32_e32 v9, v4, v9, vcc
	v_add_u32_e32 v4, 21, v9
	v_or_b32_e32 v17, 0x800000, v2
	v_lshlrev_b64 v[38:39], v4, -1
	v_cndmask_b32_e32 v2, v17, v2, vcc
	v_add_u32_e32 v4, 20, v9
	v_bfi_b32 v38, v38, 0, v2
	v_lshlrev_b64 v[40:41], v4, 1
	v_lshrrev_b64 v[2:3], v9, v[2:3]
	v_bfi_b32 v39, v39, 0, 0
	v_cmp_eq_u64_e64 s[40:41], v[38:39], v[40:41]
	v_mov_b32_e32 v4, v3
	v_mov_b32_e32 v3, v2
	s_and_saveexec_b64 s[48:49], s[40:41]
; %bb.5661:                             ;   in Loop: Header=BB2_4891 Depth=3
	v_bfe_u32 v3, v2, 21, 1
	v_add_co_u32_e64 v3, s[40:41], v2, v3
	v_add_co_u32_e64 v3, s[40:41], -1, v3
; %bb.5662:                             ;   in Loop: Header=BB2_4891 Depth=3
	s_or_b64 exec, exec, s[48:49]
	v_add_u32_e32 v4, 0xffffff81, v8
	v_cndmask_b32_e32 v4, v4, v1, vcc
	v_lshrrev_b32_e32 v8, 23, v2
	v_add3_u32 v9, v9, v4, v8
	v_add_u32_e32 v8, 14, v9
	v_and_b32_e32 v3, 0x1fffff, v3
	v_add_u32_e32 v2, v3, v2
	v_mov_b32_e32 v3, v29
	v_cmp_ne_u32_e32 vcc, 0, v8
                                        ; implicit-def: $vgpr4
	s_and_saveexec_b64 s[40:41], vcc
	s_xor_b64 s[40:41], exec, s[40:41]
; %bb.5663:                             ;   in Loop: Header=BB2_4891 Depth=3
	v_cmp_lt_u64_e32 vcc, s[88:89], v[2:3]
	v_add_u32_e32 v4, 15, v9
	v_cndmask_b32_e32 v4, v8, v4, vcc
	v_cndmask_b32_e64 v8, 0, 1, vcc
	v_lshrrev_b64 v[2:3], v8, v[2:3]
; %bb.5664:                             ;   in Loop: Header=BB2_4891 Depth=3
	s_andn2_saveexec_b64 s[40:41], s[40:41]
; %bb.5665:                             ;   in Loop: Header=BB2_4891 Depth=3
	v_bfe_u32 v4, v2, 23, 1
; %bb.5666:                             ;   in Loop: Header=BB2_4891 Depth=3
	s_or_b64 exec, exec, s[40:41]
	v_lshrrev_b64 v[2:3], 21, v[2:3]
	v_cmp_gt_i32_e32 vcc, 32, v4
	v_cndmask_b32_e32 v3, 0, v3, vcc
	v_cndmask_b32_e32 v2, 3, v2, vcc
	v_cmp_eq_u64_e64 s[40:41], 0, v[2:3]
	v_min_i32_e32 v3, 31, v4
	v_lshlrev_b32_e32 v3, 2, v3
	v_cmp_eq_u32_e32 vcc, 0, v4
	v_and_b32_e32 v3, 0xfc, v3
	v_and_or_b32 v2, v2, 3, v3
	s_and_b64 s[40:41], vcc, s[40:41]
	v_cndmask_b32_e64 v2, v2, 0, s[40:41]
	v_or_b32_e32 v56, v2, v5
.LBB2_5667:                             ;   in Loop: Header=BB2_4891 Depth=3
	s_or_b64 exec, exec, s[38:39]
                                        ; implicit-def: $vgpr5
.LBB2_5668:                             ;   in Loop: Header=BB2_4891 Depth=3
	s_andn2_saveexec_b64 s[40:41], s[36:37]
; %bb.5669:                             ;   in Loop: Header=BB2_4891 Depth=3
	v_or_b32_e32 v56, 0x7b, v5
; %bb.5670:                             ;   in Loop: Header=BB2_4891 Depth=3
	s_or_b64 exec, exec, s[40:41]
                                        ; implicit-def: $vgpr4
                                        ; implicit-def: $vgpr2_vgpr3
.LBB2_5671:                             ;   in Loop: Header=BB2_4891 Depth=3
	s_andn2_saveexec_b64 s[40:41], s[42:43]
	s_cbranch_execz .LBB2_5677
; %bb.5672:                             ;   in Loop: Header=BB2_4891 Depth=3
	v_cmp_ne_u64_e32 vcc, 0, v[2:3]
                                        ; implicit-def: $vgpr56
	s_and_saveexec_b64 s[42:43], vcc
	s_xor_b64 s[42:43], exec, s[42:43]
; %bb.5673:                             ;   in Loop: Header=BB2_4891 Depth=3
	v_or_b32_sdwa v56, v4, s47 dst_sel:DWORD dst_unused:UNUSED_PAD src0_sel:BYTE_3 src1_sel:DWORD
                                        ; implicit-def: $vgpr4
; %bb.5674:                             ;   in Loop: Header=BB2_4891 Depth=3
	s_andn2_saveexec_b64 s[42:43], s[42:43]
; %bb.5675:                             ;   in Loop: Header=BB2_4891 Depth=3
	v_cmp_lt_i32_e32 vcc, -1, v4
	v_cndmask_b32_e32 v56, v6, v22, vcc
; %bb.5676:                             ;   in Loop: Header=BB2_4891 Depth=3
	s_or_b64 exec, exec, s[42:43]
.LBB2_5677:                             ;   in Loop: Header=BB2_4891 Depth=3
	s_or_b64 exec, exec, s[40:41]
	v_and_b32_sdwa v4, v28, s87 dst_sel:DWORD dst_unused:UNUSED_PAD src0_sel:WORD_1 src1_sel:DWORD
	v_lshrrev_b32_e32 v2, 16, v28
	v_cmp_ne_u16_e32 vcc, 0, v4
	v_mov_b32_e32 v3, 0
	s_and_saveexec_b64 s[40:41], vcc
	s_cbranch_execz .LBB2_5685
; %bb.5678:                             ;   in Loop: Header=BB2_4891 Depth=3
	v_cmp_ne_u16_e32 vcc, s96, v4
	v_bfrev_b32_e32 v3, 1
	s_and_saveexec_b64 s[42:43], vcc
	s_cbranch_execz .LBB2_5684
; %bb.5679:                             ;   in Loop: Header=BB2_4891 Depth=3
	v_and_b32_e32 v3, 0x7c0000, v28
	v_bfe_u32 v4, v28, 16, 2
	v_cmp_ne_u32_e32 vcc, s44, v3
                                        ; implicit-def: $vgpr3
	s_and_saveexec_b64 s[36:37], vcc
	s_xor_b64 s[36:37], exec, s[36:37]
	s_cbranch_execz .LBB2_5681
; %bb.5680:                             ;   in Loop: Header=BB2_4891 Depth=3
	v_ffbh_u32_e32 v3, v4
	v_min_u32_e32 v8, 32, v3
	v_subrev_u32_e32 v3, 29, v8
	v_lshlrev_b64 v[2:3], v3, v[2:3]
	v_bfe_u32 v5, v28, 18, 5
	v_and_b32_e32 v2, 3, v2
	v_cmp_eq_u32_e32 vcc, 0, v5
	v_sub_u32_e32 v3, 30, v8
	v_cndmask_b32_e32 v2, v4, v2, vcc
	v_lshlrev_b32_e32 v4, 8, v28
	v_cndmask_b32_e32 v3, v5, v3, vcc
	v_and_b32_e32 v4, 0x80000000, v4
	v_lshl_add_u32 v3, v3, 23, v4
	v_lshl_or_b32 v2, v2, 21, v3
	v_add_u32_e32 v3, 0x38000000, v2
                                        ; implicit-def: $vgpr4
                                        ; implicit-def: $vgpr2
.LBB2_5681:                             ;   in Loop: Header=BB2_4891 Depth=3
	s_andn2_saveexec_b64 s[36:37], s[36:37]
; %bb.5682:                             ;   in Loop: Header=BB2_4891 Depth=3
	v_cmp_gt_i16_sdwa vcc, sext(v2), v48 src0_sel:BYTE_0 src1_sel:DWORD
	v_cndmask_b32_e32 v2, v7, v0, vcc
	v_cmp_eq_u32_e32 vcc, 0, v4
	v_cndmask_b32_e32 v3, v35, v2, vcc
; %bb.5683:                             ;   in Loop: Header=BB2_4891 Depth=3
	s_or_b64 exec, exec, s[36:37]
.LBB2_5684:                             ;   in Loop: Header=BB2_4891 Depth=3
	s_or_b64 exec, exec, s[42:43]
.LBB2_5685:                             ;   in Loop: Header=BB2_4891 Depth=3
	s_or_b64 exec, exec, s[40:41]
	v_lshrrev_b32_e32 v2, 16, v10
	v_cmp_gt_i16_sdwa s[42:43], v2, s47 src0_sel:BYTE_0 src1_sel:DWORD
	s_mov_b64 s[40:41], 0
	s_and_saveexec_b64 vcc, s[42:43]
	s_xor_b64 s[42:43], exec, vcc
	s_cbranch_execz .LBB2_5888
; %bb.5686:                             ;   in Loop: Header=BB2_4891 Depth=3
	v_cmp_eq_u16_sdwa s[36:37], v2, s96 src0_sel:BYTE_0 src1_sel:DWORD
	s_mov_b64 s[40:41], -1
	s_and_saveexec_b64 vcc, s[36:37]
; %bb.5687:                             ;   in Loop: Header=BB2_4891 Depth=3
	s_xor_b64 s[40:41], exec, -1
; %bb.5688:                             ;   in Loop: Header=BB2_4891 Depth=3
	s_or_b64 exec, exec, vcc
	s_and_b64 s[40:41], s[40:41], exec
	s_or_saveexec_b64 s[42:43], s[42:43]
	v_bfrev_b32_e32 v4, 1
	s_xor_b64 exec, exec, s[42:43]
	s_cbranch_execnz .LBB2_5889
.LBB2_5689:                             ;   in Loop: Header=BB2_4891 Depth=3
	s_or_b64 exec, exec, s[42:43]
	s_and_saveexec_b64 s[36:37], s[40:41]
	s_cbranch_execz .LBB2_5691
.LBB2_5690:                             ;   in Loop: Header=BB2_4891 Depth=3
	v_and_b32_e32 v8, 3, v2
	v_and_b32_e32 v4, 0x7c0000, v10
	v_cmp_eq_u32_e32 vcc, s44, v4
	v_ffbh_u32_e32 v4, v8
	v_min_u32_e32 v17, 32, v4
	v_subrev_u32_e32 v4, 29, v17
	v_bfe_u32 v9, v10, 18, 5
	v_lshlrev_b64 v[4:5], v4, v[2:3]
	v_cmp_eq_u32_e64 s[40:41], 0, v9
	v_sub_u32_e32 v5, 30, v17
	v_cndmask_b32_e64 v5, v9, v5, s[40:41]
	v_lshlrev_b32_e32 v9, 24, v2
	v_and_b32_e32 v4, 3, v4
	v_and_b32_e32 v9, 0x80000000, v9
	v_cndmask_b32_e64 v4, v8, v4, s[40:41]
	v_lshl_add_u32 v5, v5, 23, v9
	v_cmp_gt_i16_sdwa s[42:43], sext(v2), v48 src0_sel:BYTE_0 src1_sel:DWORD
	v_lshl_or_b32 v4, v4, 21, v5
	v_cmp_eq_u32_e64 s[40:41], 0, v8
	v_cndmask_b32_e64 v2, v7, v0, s[42:43]
	v_add_u32_e32 v4, 0x38000000, v4
	v_cndmask_b32_e64 v2, v35, v2, s[40:41]
	v_cndmask_b32_e32 v4, v4, v2, vcc
.LBB2_5691:                             ;   in Loop: Header=BB2_4891 Depth=3
	s_or_b64 exec, exec, s[36:37]
	v_add_f32_e32 v4, v3, v4
	v_and_b32_e32 v8, 0x7f800000, v4
	v_mov_b32_e32 v9, v29
	v_cmp_ne_u64_e32 vcc, s[76:77], v[8:9]
	v_and_b32_e32 v2, 0x7fffff, v4
	v_mov_b32_e32 v3, v29
                                        ; implicit-def: $vgpr59
	s_and_saveexec_b64 s[40:41], vcc
	s_xor_b64 s[42:43], exec, s[40:41]
	s_cbranch_execz .LBB2_5705
; %bb.5692:                             ;   in Loop: Header=BB2_4891 Depth=3
	v_and_b32_e32 v8, 0x7fffffff, v4
	v_mov_b32_e32 v9, v29
	v_cmp_gt_u64_e32 vcc, s[78:79], v[8:9]
	v_and_b32_sdwa v5, v4, s96 dst_sel:DWORD dst_unused:UNUSED_PAD src0_sel:BYTE_3 src1_sel:DWORD
                                        ; implicit-def: $vgpr59
	s_and_saveexec_b64 s[40:41], vcc
	s_xor_b64 s[36:37], exec, s[40:41]
	s_cbranch_execz .LBB2_5702
; %bb.5693:                             ;   in Loop: Header=BB2_4891 Depth=3
	v_mov_b32_e32 v59, 0
	v_cmp_ne_u32_e32 vcc, 0, v4
	s_and_saveexec_b64 s[38:39], vcc
	s_cbranch_execz .LBB2_5701
; %bb.5694:                             ;   in Loop: Header=BB2_4891 Depth=3
	v_bfe_u32 v8, v4, 23, 8
	v_cmp_gt_u32_e64 s[40:41], s46, v8
	v_sub_u32_e32 v4, 0x71, v8
	v_cmp_eq_u32_e32 vcc, 0, v8
	v_cndmask_b32_e64 v4, 0, v4, s[40:41]
	v_mov_b32_e32 v9, 0x70
	v_cndmask_b32_e32 v9, v4, v9, vcc
	v_add_u32_e32 v4, 21, v9
	v_or_b32_e32 v17, 0x800000, v2
	v_lshlrev_b64 v[38:39], v4, -1
	v_cndmask_b32_e32 v2, v17, v2, vcc
	v_add_u32_e32 v4, 20, v9
	v_bfi_b32 v38, v38, 0, v2
	v_lshlrev_b64 v[40:41], v4, 1
	v_lshrrev_b64 v[2:3], v9, v[2:3]
	v_bfi_b32 v39, v39, 0, 0
	v_cmp_eq_u64_e64 s[40:41], v[38:39], v[40:41]
	v_mov_b32_e32 v4, v3
	v_mov_b32_e32 v3, v2
	s_and_saveexec_b64 s[48:49], s[40:41]
; %bb.5695:                             ;   in Loop: Header=BB2_4891 Depth=3
	v_bfe_u32 v3, v2, 21, 1
	v_add_co_u32_e64 v3, s[40:41], v2, v3
	v_add_co_u32_e64 v3, s[40:41], -1, v3
; %bb.5696:                             ;   in Loop: Header=BB2_4891 Depth=3
	s_or_b64 exec, exec, s[48:49]
	v_add_u32_e32 v4, 0xffffff81, v8
	v_cndmask_b32_e32 v4, v4, v1, vcc
	v_lshrrev_b32_e32 v8, 23, v2
	v_add3_u32 v9, v9, v4, v8
	v_add_u32_e32 v8, 14, v9
	v_and_b32_e32 v3, 0x1fffff, v3
	v_add_u32_e32 v2, v3, v2
	v_mov_b32_e32 v3, v29
	v_cmp_ne_u32_e32 vcc, 0, v8
                                        ; implicit-def: $vgpr4
	s_and_saveexec_b64 s[40:41], vcc
	s_xor_b64 s[40:41], exec, s[40:41]
; %bb.5697:                             ;   in Loop: Header=BB2_4891 Depth=3
	v_cmp_lt_u64_e32 vcc, s[88:89], v[2:3]
	v_add_u32_e32 v4, 15, v9
	v_cndmask_b32_e32 v4, v8, v4, vcc
	v_cndmask_b32_e64 v8, 0, 1, vcc
	v_lshrrev_b64 v[2:3], v8, v[2:3]
; %bb.5698:                             ;   in Loop: Header=BB2_4891 Depth=3
	s_andn2_saveexec_b64 s[40:41], s[40:41]
; %bb.5699:                             ;   in Loop: Header=BB2_4891 Depth=3
	v_bfe_u32 v4, v2, 23, 1
; %bb.5700:                             ;   in Loop: Header=BB2_4891 Depth=3
	s_or_b64 exec, exec, s[40:41]
	v_lshrrev_b64 v[2:3], 21, v[2:3]
	v_cmp_gt_i32_e32 vcc, 32, v4
	v_cndmask_b32_e32 v3, 0, v3, vcc
	v_cndmask_b32_e32 v2, 3, v2, vcc
	v_cmp_eq_u64_e64 s[40:41], 0, v[2:3]
	v_min_i32_e32 v3, 31, v4
	v_lshlrev_b32_e32 v3, 2, v3
	v_cmp_eq_u32_e32 vcc, 0, v4
	v_and_b32_e32 v3, 0xfc, v3
	v_and_or_b32 v2, v2, 3, v3
	s_and_b64 s[40:41], vcc, s[40:41]
	v_cndmask_b32_e64 v2, v2, 0, s[40:41]
	v_or_b32_e32 v59, v2, v5
.LBB2_5701:                             ;   in Loop: Header=BB2_4891 Depth=3
	s_or_b64 exec, exec, s[38:39]
                                        ; implicit-def: $vgpr5
.LBB2_5702:                             ;   in Loop: Header=BB2_4891 Depth=3
	s_andn2_saveexec_b64 s[40:41], s[36:37]
; %bb.5703:                             ;   in Loop: Header=BB2_4891 Depth=3
	v_or_b32_e32 v59, 0x7b, v5
; %bb.5704:                             ;   in Loop: Header=BB2_4891 Depth=3
	s_or_b64 exec, exec, s[40:41]
                                        ; implicit-def: $vgpr4
                                        ; implicit-def: $vgpr2_vgpr3
.LBB2_5705:                             ;   in Loop: Header=BB2_4891 Depth=3
	s_andn2_saveexec_b64 s[40:41], s[42:43]
	s_cbranch_execz .LBB2_5711
; %bb.5706:                             ;   in Loop: Header=BB2_4891 Depth=3
	v_cmp_ne_u64_e32 vcc, 0, v[2:3]
                                        ; implicit-def: $vgpr59
	s_and_saveexec_b64 s[42:43], vcc
	s_xor_b64 s[42:43], exec, s[42:43]
; %bb.5707:                             ;   in Loop: Header=BB2_4891 Depth=3
	v_or_b32_sdwa v59, v4, s47 dst_sel:DWORD dst_unused:UNUSED_PAD src0_sel:BYTE_3 src1_sel:DWORD
                                        ; implicit-def: $vgpr4
; %bb.5708:                             ;   in Loop: Header=BB2_4891 Depth=3
	s_andn2_saveexec_b64 s[42:43], s[42:43]
; %bb.5709:                             ;   in Loop: Header=BB2_4891 Depth=3
	v_cmp_lt_i32_e32 vcc, -1, v4
	v_cndmask_b32_e32 v59, v6, v22, vcc
; %bb.5710:                             ;   in Loop: Header=BB2_4891 Depth=3
	s_or_b64 exec, exec, s[42:43]
.LBB2_5711:                             ;   in Loop: Header=BB2_4891 Depth=3
	s_or_b64 exec, exec, s[40:41]
	v_cmp_lt_u32_e32 vcc, s57, v28
	v_mov_b32_e32 v3, 0
	s_and_saveexec_b64 s[40:41], vcc
	s_cbranch_execz .LBB2_5719
; %bb.5712:                             ;   in Loop: Header=BB2_4891 Depth=3
	v_lshrrev_b32_e32 v2, 24, v28
	v_cmp_ne_u32_e32 vcc, s96, v2
	v_bfrev_b32_e32 v3, 1
	s_and_saveexec_b64 s[42:43], vcc
	s_cbranch_execz .LBB2_5718
; %bb.5713:                             ;   in Loop: Header=BB2_4891 Depth=3
	v_and_b32_e32 v3, 0x7c000000, v28
	v_bfe_u32 v4, v28, 24, 2
	v_cmp_ne_u32_e32 vcc, s45, v3
                                        ; implicit-def: $vgpr3
	s_and_saveexec_b64 s[36:37], vcc
	s_xor_b64 s[36:37], exec, s[36:37]
	s_cbranch_execz .LBB2_5715
; %bb.5714:                             ;   in Loop: Header=BB2_4891 Depth=3
	v_ffbh_u32_e32 v3, v4
	v_min_u32_e32 v8, 32, v3
	v_subrev_u32_e32 v3, 29, v8
	v_lshlrev_b64 v[2:3], v3, v[2:3]
	v_bfe_u32 v5, v28, 26, 5
	v_sub_u32_e32 v3, 30, v8
	v_and_b32_e32 v2, 3, v2
	v_cmp_eq_u32_e32 vcc, 0, v5
	v_cndmask_b32_e32 v3, v5, v3, vcc
	v_cndmask_b32_e32 v2, v4, v2, vcc
	v_and_b32_e32 v4, 0x80000000, v28
	v_lshl_add_u32 v3, v3, 23, v4
	v_lshl_or_b32 v2, v2, 21, v3
	v_add_u32_e32 v3, 0x38000000, v2
                                        ; implicit-def: $vgpr4
.LBB2_5715:                             ;   in Loop: Header=BB2_4891 Depth=3
	s_andn2_saveexec_b64 s[36:37], s[36:37]
; %bb.5716:                             ;   in Loop: Header=BB2_4891 Depth=3
	v_cmp_lt_i32_e32 vcc, -1, v28
	v_cndmask_b32_e32 v2, v7, v0, vcc
	v_cmp_eq_u32_e32 vcc, 0, v4
	v_cndmask_b32_e32 v3, v35, v2, vcc
; %bb.5717:                             ;   in Loop: Header=BB2_4891 Depth=3
	s_or_b64 exec, exec, s[36:37]
.LBB2_5718:                             ;   in Loop: Header=BB2_4891 Depth=3
	s_or_b64 exec, exec, s[42:43]
.LBB2_5719:                             ;   in Loop: Header=BB2_4891 Depth=3
	s_or_b64 exec, exec, s[40:41]
	v_bfe_u32 v8, v10, 24, 2
	v_and_b32_e32 v4, 0x7c000000, v10
	v_cmp_eq_u32_e32 vcc, s45, v4
	v_ffbh_u32_e32 v4, v8
	v_min_u32_e32 v17, 32, v4
	v_lshrrev_b32_e32 v2, 24, v10
	v_subrev_u32_e32 v4, 29, v17
	v_bfe_u32 v9, v10, 26, 5
	v_lshlrev_b64 v[4:5], v4, v[2:3]
	v_cmp_eq_u32_e64 s[40:41], 0, v9
	v_sub_u32_e32 v5, 30, v17
	v_and_b32_e32 v4, 3, v4
	v_cndmask_b32_e64 v5, v9, v5, s[40:41]
	v_and_b32_e32 v9, 0x80000000, v10
	v_cndmask_b32_e64 v4, v8, v4, s[40:41]
	v_lshl_add_u32 v5, v5, 23, v9
	v_cmp_lt_i32_e64 s[42:43], -1, v10
	v_lshl_or_b32 v4, v4, 21, v5
	v_cmp_eq_u32_e64 s[40:41], 0, v8
	v_cndmask_b32_e64 v5, v7, v0, s[42:43]
	v_add_u32_e32 v4, 0x38000000, v4
	v_cndmask_b32_e64 v5, v35, v5, s[40:41]
	v_cndmask_b32_e32 v4, v4, v5, vcc
	v_cmp_ne_u32_e32 vcc, s96, v2
	v_bfrev_b32_e32 v2, 1
	v_cndmask_b32_e32 v2, v2, v4, vcc
	v_cmp_lt_u32_e32 vcc, s57, v10
	v_cndmask_b32_e32 v2, 0, v2, vcc
	v_add_f32_e32 v2, v2, v3
	v_and_b32_e32 v3, 0x7f800000, v2
	v_mov_b32_e32 v4, v29
	v_cmp_ne_u64_e32 vcc, s[76:77], v[3:4]
	v_and_b32_e32 v28, 0x7fffff, v2
                                        ; implicit-def: $vgpr60
	s_and_saveexec_b64 s[40:41], vcc
	s_xor_b64 s[42:43], exec, s[40:41]
	s_cbranch_execz .LBB2_5733
; %bb.5720:                             ;   in Loop: Header=BB2_4891 Depth=3
	v_and_b32_e32 v3, 0x7fffffff, v2
	v_mov_b32_e32 v4, v29
	v_cmp_gt_u64_e32 vcc, s[78:79], v[3:4]
	v_and_b32_sdwa v5, v2, s96 dst_sel:DWORD dst_unused:UNUSED_PAD src0_sel:BYTE_3 src1_sel:DWORD
                                        ; implicit-def: $vgpr60
	s_and_saveexec_b64 s[40:41], vcc
	s_xor_b64 s[36:37], exec, s[40:41]
	s_cbranch_execz .LBB2_5730
; %bb.5721:                             ;   in Loop: Header=BB2_4891 Depth=3
	v_mov_b32_e32 v60, 0
	v_cmp_ne_u32_e32 vcc, 0, v2
	s_and_saveexec_b64 s[38:39], vcc
	s_cbranch_execz .LBB2_5729
; %bb.5722:                             ;   in Loop: Header=BB2_4891 Depth=3
	v_bfe_u32 v8, v2, 23, 8
	v_cmp_gt_u32_e64 s[40:41], s46, v8
	v_sub_u32_e32 v2, 0x71, v8
	v_cmp_eq_u32_e32 vcc, 0, v8
	v_cndmask_b32_e64 v2, 0, v2, s[40:41]
	v_mov_b32_e32 v4, 0x70
	v_cndmask_b32_e32 v9, v2, v4, vcc
	v_add_u32_e32 v4, 21, v9
	v_or_b32_e32 v3, 0x800000, v28
	v_lshlrev_b64 v[38:39], v4, -1
	v_cndmask_b32_e32 v2, v3, v28, vcc
	v_mov_b32_e32 v3, v29
	v_add_u32_e32 v4, 20, v9
	v_bfi_b32 v38, v38, 0, v2
	v_lshlrev_b64 v[40:41], v4, 1
	v_lshrrev_b64 v[2:3], v9, v[2:3]
	v_bfi_b32 v39, v39, 0, 0
	v_cmp_eq_u64_e64 s[40:41], v[38:39], v[40:41]
	v_mov_b32_e32 v4, v3
	v_mov_b32_e32 v3, v2
	s_and_saveexec_b64 s[48:49], s[40:41]
; %bb.5723:                             ;   in Loop: Header=BB2_4891 Depth=3
	v_bfe_u32 v3, v2, 21, 1
	v_add_co_u32_e64 v3, s[40:41], v2, v3
	v_add_co_u32_e64 v3, s[40:41], -1, v3
; %bb.5724:                             ;   in Loop: Header=BB2_4891 Depth=3
	s_or_b64 exec, exec, s[48:49]
	v_add_u32_e32 v4, 0xffffff81, v8
	v_cndmask_b32_e32 v4, v4, v1, vcc
	v_lshrrev_b32_e32 v8, 23, v2
	v_add3_u32 v9, v9, v4, v8
	v_add_u32_e32 v8, 14, v9
	v_and_b32_e32 v3, 0x1fffff, v3
	v_add_u32_e32 v28, v3, v2
	v_cmp_ne_u32_e32 vcc, 0, v8
                                        ; implicit-def: $vgpr2_vgpr3
                                        ; implicit-def: $vgpr4
	s_and_saveexec_b64 s[40:41], vcc
	s_xor_b64 s[40:41], exec, s[40:41]
; %bb.5725:                             ;   in Loop: Header=BB2_4891 Depth=3
	v_cmp_lt_u64_e32 vcc, s[88:89], v[28:29]
	v_add_u32_e32 v2, 15, v9
	v_cndmask_b32_e32 v4, v8, v2, vcc
	v_cndmask_b32_e64 v2, 0, 1, vcc
	v_lshrrev_b64 v[2:3], v2, v[28:29]
; %bb.5726:                             ;   in Loop: Header=BB2_4891 Depth=3
	s_andn2_saveexec_b64 s[40:41], s[40:41]
; %bb.5727:                             ;   in Loop: Header=BB2_4891 Depth=3
	v_mov_b32_e32 v2, v28
	v_mov_b32_e32 v3, v29
	v_bfe_u32 v4, v28, 23, 1
; %bb.5728:                             ;   in Loop: Header=BB2_4891 Depth=3
	s_or_b64 exec, exec, s[40:41]
	v_lshrrev_b64 v[2:3], 21, v[2:3]
	v_cmp_gt_i32_e32 vcc, 32, v4
	v_cndmask_b32_e32 v3, 0, v3, vcc
	v_cndmask_b32_e32 v2, 3, v2, vcc
	v_cmp_eq_u64_e64 s[40:41], 0, v[2:3]
	v_min_i32_e32 v3, 31, v4
	v_lshlrev_b32_e32 v3, 2, v3
	v_cmp_eq_u32_e32 vcc, 0, v4
	v_and_b32_e32 v3, 0xfc, v3
	v_and_or_b32 v2, v2, 3, v3
	s_and_b64 s[40:41], vcc, s[40:41]
	v_cndmask_b32_e64 v2, v2, 0, s[40:41]
	v_or_b32_e32 v60, v2, v5
.LBB2_5729:                             ;   in Loop: Header=BB2_4891 Depth=3
	s_or_b64 exec, exec, s[38:39]
                                        ; implicit-def: $vgpr5
.LBB2_5730:                             ;   in Loop: Header=BB2_4891 Depth=3
	s_andn2_saveexec_b64 s[40:41], s[36:37]
; %bb.5731:                             ;   in Loop: Header=BB2_4891 Depth=3
	v_or_b32_e32 v60, 0x7b, v5
; %bb.5732:                             ;   in Loop: Header=BB2_4891 Depth=3
	s_or_b64 exec, exec, s[40:41]
                                        ; implicit-def: $vgpr2
.LBB2_5733:                             ;   in Loop: Header=BB2_4891 Depth=3
	s_andn2_saveexec_b64 s[40:41], s[42:43]
	s_cbranch_execz .LBB2_5739
; %bb.5734:                             ;   in Loop: Header=BB2_4891 Depth=3
	v_cmp_ne_u64_e32 vcc, 0, v[28:29]
                                        ; implicit-def: $vgpr60
	s_and_saveexec_b64 s[42:43], vcc
	s_xor_b64 s[42:43], exec, s[42:43]
; %bb.5735:                             ;   in Loop: Header=BB2_4891 Depth=3
	v_or_b32_sdwa v60, v2, s47 dst_sel:DWORD dst_unused:UNUSED_PAD src0_sel:BYTE_3 src1_sel:DWORD
                                        ; implicit-def: $vgpr2
; %bb.5736:                             ;   in Loop: Header=BB2_4891 Depth=3
	s_andn2_saveexec_b64 s[42:43], s[42:43]
; %bb.5737:                             ;   in Loop: Header=BB2_4891 Depth=3
	v_cmp_lt_i32_e32 vcc, -1, v2
	v_cndmask_b32_e32 v60, v6, v22, vcc
; %bb.5738:                             ;   in Loop: Header=BB2_4891 Depth=3
	s_or_b64 exec, exec, s[42:43]
.LBB2_5739:                             ;   in Loop: Header=BB2_4891 Depth=3
	s_or_b64 exec, exec, s[40:41]
	v_lshlrev_b32_e32 v2, 24, v57
	v_lshlrev_b32_e32 v3, 16, v47
	v_lshl_or_b32 v17, v53, 8, v37
	v_or3_b32 v28, v3, v2, v17
	v_cmp_ne_u32_e32 vcc, 0, v37
	v_mov_b32_e32 v2, 0
	s_and_saveexec_b64 s[42:43], vcc
	s_cbranch_execz .LBB2_5747
; %bb.5740:                             ;   in Loop: Header=BB2_4891 Depth=3
	v_cmp_ne_u32_e32 vcc, s96, v37
	v_bfrev_b32_e32 v2, 1
	s_and_saveexec_b64 s[36:37], vcc
	s_cbranch_execz .LBB2_5746
; %bb.5741:                             ;   in Loop: Header=BB2_4891 Depth=3
	v_and_b32_e32 v2, 0x7c, v37
	v_and_b32_e32 v3, 3, v37
	v_cmp_ne_u32_e32 vcc, s85, v2
                                        ; implicit-def: $vgpr2
	s_and_saveexec_b64 s[40:41], vcc
	s_xor_b64 s[40:41], exec, s[40:41]
	s_cbranch_execz .LBB2_5743
; %bb.5742:                             ;   in Loop: Header=BB2_4891 Depth=3
	v_ffbh_u32_e32 v4, v3
	v_min_u32_e32 v8, 32, v4
	v_subrev_u32_e32 v4, 29, v8
	v_lshlrev_b64 v[4:5], v4, v[28:29]
	v_bfe_u32 v2, v37, 2, 5
	v_and_b32_e32 v4, 3, v4
	v_cmp_eq_u32_e32 vcc, 0, v2
	v_sub_u32_e32 v5, 30, v8
	v_cndmask_b32_e32 v3, v3, v4, vcc
	v_lshlrev_b32_e32 v4, 24, v37
	v_cndmask_b32_e32 v2, v2, v5, vcc
	v_and_b32_e32 v4, 0x80000000, v4
	v_lshl_add_u32 v2, v2, 23, v4
	v_lshl_or_b32 v2, v3, 21, v2
	v_add_u32_e32 v2, 0x38000000, v2
                                        ; implicit-def: $vgpr3
                                        ; implicit-def: $vgpr37
.LBB2_5743:                             ;   in Loop: Header=BB2_4891 Depth=3
	s_andn2_saveexec_b64 s[38:39], s[40:41]
; %bb.5744:                             ;   in Loop: Header=BB2_4891 Depth=3
	v_and_b32_e32 v2, 0x80, v37
	v_cmp_eq_u32_e64 s[40:41], 0, v2
	v_cmp_eq_u32_e32 vcc, 0, v3
	v_cndmask_b32_e64 v2, v7, v0, s[40:41]
	v_cndmask_b32_e32 v2, v35, v2, vcc
; %bb.5745:                             ;   in Loop: Header=BB2_4891 Depth=3
	s_or_b64 exec, exec, s[38:39]
.LBB2_5746:                             ;   in Loop: Header=BB2_4891 Depth=3
	s_or_b64 exec, exec, s[36:37]
.LBB2_5747:                             ;   in Loop: Header=BB2_4891 Depth=3
	s_or_b64 exec, exec, s[42:43]
	v_cmp_gt_i16_sdwa s[42:43], v11, s47 src0_sel:BYTE_0 src1_sel:DWORD
	s_mov_b64 s[40:41], 0
	s_and_saveexec_b64 vcc, s[42:43]
	s_xor_b64 s[42:43], exec, vcc
	s_cbranch_execz .LBB2_5751
; %bb.5748:                             ;   in Loop: Header=BB2_4891 Depth=3
	v_cmp_eq_u16_sdwa s[36:37], v11, s96 src0_sel:BYTE_0 src1_sel:DWORD
	s_mov_b64 s[40:41], -1
	s_and_saveexec_b64 vcc, s[36:37]
; %bb.5749:                             ;   in Loop: Header=BB2_4891 Depth=3
	s_xor_b64 s[40:41], exec, -1
; %bb.5750:                             ;   in Loop: Header=BB2_4891 Depth=3
	s_or_b64 exec, exec, vcc
	s_and_b64 s[40:41], s[40:41], exec
.LBB2_5751:                             ;   in Loop: Header=BB2_4891 Depth=3
	s_or_saveexec_b64 s[42:43], s[42:43]
	v_bfrev_b32_e32 v3, 1
	s_xor_b64 exec, exec, s[42:43]
; %bb.5752:                             ;   in Loop: Header=BB2_4891 Depth=3
	v_cmp_ne_u16_sdwa vcc, v11, v29 src0_sel:BYTE_0 src1_sel:DWORD
	s_andn2_b64 s[40:41], s[40:41], exec
	s_and_b64 vcc, vcc, exec
	v_mov_b32_e32 v3, 0
	s_or_b64 s[40:41], s[40:41], vcc
; %bb.5753:                             ;   in Loop: Header=BB2_4891 Depth=3
	s_or_b64 exec, exec, s[42:43]
	v_mov_b32_e32 v4, v11
	v_mov_b32_e32 v5, v29
	s_and_saveexec_b64 s[36:37], s[40:41]
	s_cbranch_execz .LBB2_5755
; %bb.5754:                             ;   in Loop: Header=BB2_4891 Depth=3
	v_and_b32_e32 v3, 3, v11
	v_and_b32_e32 v8, 0x7c, v11
	v_cmp_eq_u32_e32 vcc, s85, v8
	v_ffbh_u32_e32 v8, v3
	v_min_u32_e32 v38, 32, v8
	v_subrev_u32_e32 v8, 29, v38
	v_bfe_u32 v37, v11, 2, 5
	v_lshlrev_b64 v[8:9], v8, v[4:5]
	v_cmp_eq_u32_e64 s[40:41], 0, v37
	v_sub_u32_e32 v5, 30, v38
	v_lshlrev_b32_e32 v9, 24, v11
	v_and_b32_e32 v8, 3, v8
	v_cndmask_b32_e64 v5, v37, v5, s[40:41]
	v_and_b32_e32 v9, 0x80000000, v9
	v_cndmask_b32_e64 v8, v3, v8, s[40:41]
	v_lshl_add_u32 v5, v5, 23, v9
	v_cmp_gt_i16_sdwa s[42:43], sext(v11), v48 src0_sel:BYTE_0 src1_sel:DWORD
	v_lshl_or_b32 v5, v8, 21, v5
	v_cmp_eq_u32_e64 s[40:41], 0, v3
	v_cndmask_b32_e64 v3, v7, v0, s[42:43]
	v_add_u32_e32 v5, 0x38000000, v5
	v_cndmask_b32_e64 v3, v35, v3, s[40:41]
	v_cndmask_b32_e32 v3, v5, v3, vcc
.LBB2_5755:                             ;   in Loop: Header=BB2_4891 Depth=3
	s_or_b64 exec, exec, s[36:37]
	v_add_f32_e32 v8, v2, v3
	v_and_b32_e32 v37, 0x7f800000, v8
	v_mov_b32_e32 v38, v29
	v_cmp_ne_u64_e32 vcc, s[76:77], v[37:38]
	v_and_b32_e32 v2, 0x7fffff, v8
	v_mov_b32_e32 v3, v29
                                        ; implicit-def: $vgpr5
	s_and_saveexec_b64 s[40:41], vcc
	s_xor_b64 s[42:43], exec, s[40:41]
	s_cbranch_execz .LBB2_5769
; %bb.5756:                             ;   in Loop: Header=BB2_4891 Depth=3
	v_and_b32_e32 v37, 0x7fffffff, v8
	v_mov_b32_e32 v38, v29
	v_cmp_gt_u64_e32 vcc, s[78:79], v[37:38]
	v_and_b32_sdwa v37, v8, s96 dst_sel:DWORD dst_unused:UNUSED_PAD src0_sel:BYTE_3 src1_sel:DWORD
                                        ; implicit-def: $vgpr5
	s_and_saveexec_b64 s[40:41], vcc
	s_xor_b64 s[36:37], exec, s[40:41]
	s_cbranch_execz .LBB2_5766
; %bb.5757:                             ;   in Loop: Header=BB2_4891 Depth=3
	v_mov_b32_e32 v5, 0
	v_cmp_ne_u32_e32 vcc, 0, v8
	s_and_saveexec_b64 s[38:39], vcc
	s_cbranch_execz .LBB2_5765
; %bb.5758:                             ;   in Loop: Header=BB2_4891 Depth=3
	v_bfe_u32 v5, v8, 23, 8
	v_cmp_gt_u32_e64 s[40:41], s46, v5
	v_sub_u32_e32 v8, 0x71, v5
	v_cmp_eq_u32_e32 vcc, 0, v5
	v_cndmask_b32_e64 v8, 0, v8, s[40:41]
	v_mov_b32_e32 v38, 0x70
	v_cndmask_b32_e32 v49, v8, v38, vcc
	v_or_b32_e32 v9, 0x800000, v2
	v_add_u32_e32 v8, 21, v49
	v_cndmask_b32_e32 v2, v9, v2, vcc
	v_lshlrev_b64 v[8:9], v8, -1
	v_add_u32_e32 v38, 20, v49
	v_bfi_b32 v8, v8, 0, v2
	v_lshlrev_b64 v[38:39], v38, 1
	v_lshrrev_b64 v[2:3], v49, v[2:3]
	v_bfi_b32 v9, v9, 0, 0
	v_cmp_eq_u64_e64 s[40:41], v[8:9], v[38:39]
	v_mov_b32_e32 v9, v3
	v_mov_b32_e32 v8, v2
	s_and_saveexec_b64 s[48:49], s[40:41]
; %bb.5759:                             ;   in Loop: Header=BB2_4891 Depth=3
	v_bfe_u32 v3, v2, 21, 1
	v_add_co_u32_e64 v3, s[40:41], v2, v3
	v_add_co_u32_e64 v8, s[40:41], -1, v3
; %bb.5760:                             ;   in Loop: Header=BB2_4891 Depth=3
	s_or_b64 exec, exec, s[48:49]
	v_add_u32_e32 v3, 0xffffff81, v5
	v_cndmask_b32_e32 v3, v3, v1, vcc
	v_lshrrev_b32_e32 v5, 23, v2
	v_add3_u32 v49, v49, v3, v5
	v_add_u32_e32 v9, 14, v49
	v_and_b32_e32 v3, 0x1fffff, v8
	v_add_u32_e32 v2, v3, v2
	v_mov_b32_e32 v3, v29
	v_cmp_ne_u32_e32 vcc, 0, v9
                                        ; implicit-def: $vgpr5
	s_and_saveexec_b64 s[40:41], vcc
	s_xor_b64 s[40:41], exec, s[40:41]
; %bb.5761:                             ;   in Loop: Header=BB2_4891 Depth=3
	v_cmp_lt_u64_e32 vcc, s[88:89], v[2:3]
	v_add_u32_e32 v5, 15, v49
	v_cndmask_b32_e64 v8, 0, 1, vcc
	v_cndmask_b32_e32 v5, v9, v5, vcc
	v_lshrrev_b64 v[2:3], v8, v[2:3]
; %bb.5762:                             ;   in Loop: Header=BB2_4891 Depth=3
	s_andn2_saveexec_b64 s[40:41], s[40:41]
; %bb.5763:                             ;   in Loop: Header=BB2_4891 Depth=3
	v_bfe_u32 v5, v2, 23, 1
; %bb.5764:                             ;   in Loop: Header=BB2_4891 Depth=3
	s_or_b64 exec, exec, s[40:41]
	v_lshrrev_b64 v[2:3], 21, v[2:3]
	v_cmp_gt_i32_e32 vcc, 32, v5
	v_cndmask_b32_e32 v3, 0, v3, vcc
	v_cndmask_b32_e32 v2, 3, v2, vcc
	v_cmp_eq_u64_e64 s[40:41], 0, v[2:3]
	v_min_i32_e32 v3, 31, v5
	v_lshlrev_b32_e32 v3, 2, v3
	v_cmp_eq_u32_e32 vcc, 0, v5
	v_and_b32_e32 v3, 0xfc, v3
	v_and_or_b32 v2, v2, 3, v3
	s_and_b64 s[40:41], vcc, s[40:41]
	v_cndmask_b32_e64 v2, v2, 0, s[40:41]
	v_or_b32_e32 v5, v2, v37
.LBB2_5765:                             ;   in Loop: Header=BB2_4891 Depth=3
	s_or_b64 exec, exec, s[38:39]
                                        ; implicit-def: $vgpr37
.LBB2_5766:                             ;   in Loop: Header=BB2_4891 Depth=3
	s_andn2_saveexec_b64 s[40:41], s[36:37]
; %bb.5767:                             ;   in Loop: Header=BB2_4891 Depth=3
	v_or_b32_e32 v5, 0x7b, v37
; %bb.5768:                             ;   in Loop: Header=BB2_4891 Depth=3
	s_or_b64 exec, exec, s[40:41]
                                        ; implicit-def: $vgpr8
                                        ; implicit-def: $vgpr2_vgpr3
.LBB2_5769:                             ;   in Loop: Header=BB2_4891 Depth=3
	s_andn2_saveexec_b64 s[40:41], s[42:43]
	s_cbranch_execz .LBB2_5775
; %bb.5770:                             ;   in Loop: Header=BB2_4891 Depth=3
	v_cmp_ne_u64_e32 vcc, 0, v[2:3]
                                        ; implicit-def: $vgpr5
	s_and_saveexec_b64 s[42:43], vcc
	s_xor_b64 s[42:43], exec, s[42:43]
; %bb.5771:                             ;   in Loop: Header=BB2_4891 Depth=3
	v_or_b32_sdwa v5, v8, s47 dst_sel:DWORD dst_unused:UNUSED_PAD src0_sel:BYTE_3 src1_sel:DWORD
                                        ; implicit-def: $vgpr8
; %bb.5772:                             ;   in Loop: Header=BB2_4891 Depth=3
	s_andn2_saveexec_b64 s[42:43], s[42:43]
; %bb.5773:                             ;   in Loop: Header=BB2_4891 Depth=3
	v_cmp_lt_i32_e32 vcc, -1, v8
	v_cndmask_b32_e32 v5, v6, v22, vcc
; %bb.5774:                             ;   in Loop: Header=BB2_4891 Depth=3
	s_or_b64 exec, exec, s[42:43]
.LBB2_5775:                             ;   in Loop: Header=BB2_4891 Depth=3
	s_or_b64 exec, exec, s[40:41]
	v_lshrrev_b16_e32 v2, 8, v17
	v_cmp_ne_u16_e32 vcc, 0, v2
	v_mov_b32_e32 v8, 0
	s_and_saveexec_b64 s[40:41], vcc
	s_cbranch_execz .LBB2_5783
; %bb.5776:                             ;   in Loop: Header=BB2_4891 Depth=3
	v_cmp_ne_u16_e32 vcc, s96, v2
	v_bfrev_b32_e32 v8, 1
	s_and_saveexec_b64 s[42:43], vcc
	s_cbranch_execz .LBB2_5782
; %bb.5777:                             ;   in Loop: Header=BB2_4891 Depth=3
	v_and_b32_e32 v3, 0x7c, v2
	v_and_b32_e32 v9, 3, v2
	v_cmp_ne_u32_e32 vcc, s85, v3
                                        ; implicit-def: $vgpr8
	s_and_saveexec_b64 s[36:37], vcc
	s_xor_b64 s[36:37], exec, s[36:37]
	s_cbranch_execz .LBB2_5779
; %bb.5778:                             ;   in Loop: Header=BB2_4891 Depth=3
	v_ffbh_u32_e32 v37, v9
	v_min_u32_e32 v37, 32, v37
	v_mov_b32_e32 v3, v29
	v_subrev_u32_e32 v38, 29, v37
	v_bfe_u32 v8, v2, 2, 5
	v_lshlrev_b64 v[2:3], v38, v[2:3]
	v_sub_u32_e32 v3, 30, v37
	v_cmp_eq_u32_e32 vcc, 0, v8
	v_cndmask_b32_e32 v3, v8, v3, vcc
	v_lshlrev_b32_e32 v8, 16, v17
	v_and_b32_e32 v2, 3, v2
	v_and_b32_e32 v8, 0x80000000, v8
	v_cndmask_b32_e32 v2, v9, v2, vcc
	v_lshl_add_u32 v3, v3, 23, v8
	v_lshl_or_b32 v2, v2, 21, v3
	v_add_u32_e32 v8, 0x38000000, v2
                                        ; implicit-def: $vgpr9
                                        ; implicit-def: $vgpr17
.LBB2_5779:                             ;   in Loop: Header=BB2_4891 Depth=3
	s_andn2_saveexec_b64 s[36:37], s[36:37]
; %bb.5780:                             ;   in Loop: Header=BB2_4891 Depth=3
	v_cmp_lt_i16_e32 vcc, -1, v17
	v_cndmask_b32_e32 v2, v7, v0, vcc
	v_cmp_eq_u32_e32 vcc, 0, v9
	v_cndmask_b32_e32 v8, v35, v2, vcc
; %bb.5781:                             ;   in Loop: Header=BB2_4891 Depth=3
	s_or_b64 exec, exec, s[36:37]
.LBB2_5782:                             ;   in Loop: Header=BB2_4891 Depth=3
	s_or_b64 exec, exec, s[42:43]
.LBB2_5783:                             ;   in Loop: Header=BB2_4891 Depth=3
	s_or_b64 exec, exec, s[40:41]
	v_lshrrev_b16_e32 v2, 8, v4
	v_cmp_lt_i16_e32 vcc, s47, v2
	s_mov_b64 s[40:41], 0
	s_and_saveexec_b64 s[42:43], vcc
	s_xor_b64 s[42:43], exec, s[42:43]
	s_cbranch_execz .LBB2_5890
; %bb.5784:                             ;   in Loop: Header=BB2_4891 Depth=3
	v_cmp_eq_u16_e32 vcc, s96, v2
	s_mov_b64 s[40:41], -1
	s_and_saveexec_b64 s[36:37], vcc
; %bb.5785:                             ;   in Loop: Header=BB2_4891 Depth=3
	s_xor_b64 s[40:41], exec, -1
; %bb.5786:                             ;   in Loop: Header=BB2_4891 Depth=3
	s_or_b64 exec, exec, s[36:37]
	s_and_b64 s[40:41], s[40:41], exec
	s_or_saveexec_b64 s[42:43], s[42:43]
	v_bfrev_b32_e32 v3, 1
	s_xor_b64 exec, exec, s[42:43]
	s_cbranch_execnz .LBB2_5891
.LBB2_5787:                             ;   in Loop: Header=BB2_4891 Depth=3
	s_or_b64 exec, exec, s[42:43]
	s_and_saveexec_b64 s[36:37], s[40:41]
	s_cbranch_execz .LBB2_5789
.LBB2_5788:                             ;   in Loop: Header=BB2_4891 Depth=3
	v_and_b32_e32 v9, 3, v2
	v_and_b32_e32 v37, 0x7c, v2
	v_cmp_eq_u32_e32 vcc, s85, v37
	v_ffbh_u32_e32 v37, v9
	v_min_u32_e32 v39, 32, v37
	v_mov_b32_e32 v3, v29
	v_subrev_u32_e32 v37, 29, v39
	v_bfe_u32 v17, v2, 2, 5
	v_lshlrev_b64 v[37:38], v37, v[2:3]
	v_cmp_eq_u32_e64 s[40:41], 0, v17
	v_sub_u32_e32 v3, 30, v39
	v_lshlrev_b32_e32 v2, 24, v2
	v_and_b32_e32 v37, 3, v37
	v_cndmask_b32_e64 v3, v17, v3, s[40:41]
	v_and_b32_e32 v2, 0x80000000, v2
	v_cndmask_b32_e64 v17, v9, v37, s[40:41]
	v_lshl_add_u32 v2, v3, 23, v2
	v_cmp_lt_i16_e64 s[42:43], -1, v4
	v_lshl_or_b32 v2, v17, 21, v2
	v_cmp_eq_u32_e64 s[40:41], 0, v9
	v_cndmask_b32_e64 v3, v7, v0, s[42:43]
	v_add_u32_e32 v2, 0x38000000, v2
	v_cndmask_b32_e64 v3, v35, v3, s[40:41]
	v_cndmask_b32_e32 v3, v2, v3, vcc
.LBB2_5789:                             ;   in Loop: Header=BB2_4891 Depth=3
	s_or_b64 exec, exec, s[36:37]
	v_add_f32_e32 v4, v8, v3
	v_and_b32_e32 v8, 0x7f800000, v4
	v_mov_b32_e32 v9, v29
	v_cmp_ne_u64_e32 vcc, s[76:77], v[8:9]
	v_and_b32_e32 v2, 0x7fffff, v4
	v_mov_b32_e32 v3, v29
                                        ; implicit-def: $vgpr37
	s_and_saveexec_b64 s[40:41], vcc
	s_xor_b64 s[42:43], exec, s[40:41]
	s_cbranch_execz .LBB2_5803
; %bb.5790:                             ;   in Loop: Header=BB2_4891 Depth=3
	v_and_b32_e32 v8, 0x7fffffff, v4
	v_mov_b32_e32 v9, v29
	v_cmp_gt_u64_e32 vcc, s[78:79], v[8:9]
	v_and_b32_sdwa v8, v4, s96 dst_sel:DWORD dst_unused:UNUSED_PAD src0_sel:BYTE_3 src1_sel:DWORD
                                        ; implicit-def: $vgpr37
	s_and_saveexec_b64 s[40:41], vcc
	s_xor_b64 s[36:37], exec, s[40:41]
	s_cbranch_execz .LBB2_5800
; %bb.5791:                             ;   in Loop: Header=BB2_4891 Depth=3
	v_mov_b32_e32 v37, 0
	v_cmp_ne_u32_e32 vcc, 0, v4
	s_and_saveexec_b64 s[38:39], vcc
	s_cbranch_execz .LBB2_5799
; %bb.5792:                             ;   in Loop: Header=BB2_4891 Depth=3
	v_bfe_u32 v9, v4, 23, 8
	v_cmp_gt_u32_e64 s[40:41], s46, v9
	v_sub_u32_e32 v4, 0x71, v9
	v_cmp_eq_u32_e32 vcc, 0, v9
	v_cndmask_b32_e64 v4, 0, v4, s[40:41]
	v_mov_b32_e32 v17, 0x70
	v_cndmask_b32_e32 v17, v4, v17, vcc
	v_or_b32_e32 v37, 0x800000, v2
	v_add_u32_e32 v4, 21, v17
	v_cndmask_b32_e32 v2, v37, v2, vcc
	v_lshlrev_b64 v[37:38], v4, -1
	v_add_u32_e32 v4, 20, v17
	v_bfi_b32 v37, v37, 0, v2
	v_lshlrev_b64 v[39:40], v4, 1
	v_lshrrev_b64 v[2:3], v17, v[2:3]
	v_bfi_b32 v38, v38, 0, 0
	v_cmp_eq_u64_e64 s[40:41], v[37:38], v[39:40]
	v_mov_b32_e32 v4, v3
	v_mov_b32_e32 v3, v2
	s_and_saveexec_b64 s[48:49], s[40:41]
; %bb.5793:                             ;   in Loop: Header=BB2_4891 Depth=3
	v_bfe_u32 v3, v2, 21, 1
	v_add_co_u32_e64 v3, s[40:41], v2, v3
	v_add_co_u32_e64 v3, s[40:41], -1, v3
; %bb.5794:                             ;   in Loop: Header=BB2_4891 Depth=3
	s_or_b64 exec, exec, s[48:49]
	v_add_u32_e32 v4, 0xffffff81, v9
	v_cndmask_b32_e32 v4, v4, v1, vcc
	v_lshrrev_b32_e32 v9, 23, v2
	v_add3_u32 v17, v17, v4, v9
	v_add_u32_e32 v9, 14, v17
	v_and_b32_e32 v3, 0x1fffff, v3
	v_add_u32_e32 v2, v3, v2
	v_mov_b32_e32 v3, v29
	v_cmp_ne_u32_e32 vcc, 0, v9
                                        ; implicit-def: $vgpr4
	s_and_saveexec_b64 s[40:41], vcc
	s_xor_b64 s[40:41], exec, s[40:41]
; %bb.5795:                             ;   in Loop: Header=BB2_4891 Depth=3
	v_cmp_lt_u64_e32 vcc, s[88:89], v[2:3]
	v_add_u32_e32 v4, 15, v17
	v_cndmask_b32_e32 v4, v9, v4, vcc
	v_cndmask_b32_e64 v9, 0, 1, vcc
	v_lshrrev_b64 v[2:3], v9, v[2:3]
; %bb.5796:                             ;   in Loop: Header=BB2_4891 Depth=3
	s_andn2_saveexec_b64 s[40:41], s[40:41]
; %bb.5797:                             ;   in Loop: Header=BB2_4891 Depth=3
	v_bfe_u32 v4, v2, 23, 1
; %bb.5798:                             ;   in Loop: Header=BB2_4891 Depth=3
	s_or_b64 exec, exec, s[40:41]
	v_lshrrev_b64 v[2:3], 21, v[2:3]
	v_cmp_gt_i32_e32 vcc, 32, v4
	v_cndmask_b32_e32 v3, 0, v3, vcc
	v_cndmask_b32_e32 v2, 3, v2, vcc
	v_cmp_eq_u64_e64 s[40:41], 0, v[2:3]
	v_min_i32_e32 v3, 31, v4
	v_lshlrev_b32_e32 v3, 2, v3
	v_cmp_eq_u32_e32 vcc, 0, v4
	v_and_b32_e32 v3, 0xfc, v3
	v_and_or_b32 v2, v2, 3, v3
	s_and_b64 s[40:41], vcc, s[40:41]
	v_cndmask_b32_e64 v2, v2, 0, s[40:41]
	v_or_b32_e32 v37, v2, v8
.LBB2_5799:                             ;   in Loop: Header=BB2_4891 Depth=3
	s_or_b64 exec, exec, s[38:39]
                                        ; implicit-def: $vgpr8
.LBB2_5800:                             ;   in Loop: Header=BB2_4891 Depth=3
	s_andn2_saveexec_b64 s[40:41], s[36:37]
; %bb.5801:                             ;   in Loop: Header=BB2_4891 Depth=3
	v_or_b32_e32 v37, 0x7b, v8
; %bb.5802:                             ;   in Loop: Header=BB2_4891 Depth=3
	s_or_b64 exec, exec, s[40:41]
                                        ; implicit-def: $vgpr4
                                        ; implicit-def: $vgpr2_vgpr3
.LBB2_5803:                             ;   in Loop: Header=BB2_4891 Depth=3
	s_andn2_saveexec_b64 s[40:41], s[42:43]
	s_cbranch_execz .LBB2_5809
; %bb.5804:                             ;   in Loop: Header=BB2_4891 Depth=3
	v_cmp_ne_u64_e32 vcc, 0, v[2:3]
                                        ; implicit-def: $vgpr37
	s_and_saveexec_b64 s[42:43], vcc
	s_xor_b64 s[42:43], exec, s[42:43]
; %bb.5805:                             ;   in Loop: Header=BB2_4891 Depth=3
	v_or_b32_sdwa v37, v4, s47 dst_sel:DWORD dst_unused:UNUSED_PAD src0_sel:BYTE_3 src1_sel:DWORD
                                        ; implicit-def: $vgpr4
; %bb.5806:                             ;   in Loop: Header=BB2_4891 Depth=3
	s_andn2_saveexec_b64 s[42:43], s[42:43]
; %bb.5807:                             ;   in Loop: Header=BB2_4891 Depth=3
	v_cmp_lt_i32_e32 vcc, -1, v4
	v_cndmask_b32_e32 v37, v6, v22, vcc
; %bb.5808:                             ;   in Loop: Header=BB2_4891 Depth=3
	s_or_b64 exec, exec, s[42:43]
.LBB2_5809:                             ;   in Loop: Header=BB2_4891 Depth=3
	s_or_b64 exec, exec, s[40:41]
	v_and_b32_sdwa v4, v28, s87 dst_sel:DWORD dst_unused:UNUSED_PAD src0_sel:WORD_1 src1_sel:DWORD
	v_lshrrev_b32_e32 v2, 16, v28
	v_cmp_ne_u16_e32 vcc, 0, v4
	v_mov_b32_e32 v3, 0
	s_and_saveexec_b64 s[40:41], vcc
	s_cbranch_execz .LBB2_5817
; %bb.5810:                             ;   in Loop: Header=BB2_4891 Depth=3
	v_cmp_ne_u16_e32 vcc, s96, v4
	v_bfrev_b32_e32 v3, 1
	s_and_saveexec_b64 s[42:43], vcc
	s_cbranch_execz .LBB2_5816
; %bb.5811:                             ;   in Loop: Header=BB2_4891 Depth=3
	v_and_b32_e32 v3, 0x7c0000, v28
	v_bfe_u32 v4, v28, 16, 2
	v_cmp_ne_u32_e32 vcc, s44, v3
                                        ; implicit-def: $vgpr3
	s_and_saveexec_b64 s[36:37], vcc
	s_xor_b64 s[36:37], exec, s[36:37]
	s_cbranch_execz .LBB2_5813
; %bb.5812:                             ;   in Loop: Header=BB2_4891 Depth=3
	v_ffbh_u32_e32 v3, v4
	v_min_u32_e32 v9, 32, v3
	v_subrev_u32_e32 v3, 29, v9
	v_lshlrev_b64 v[2:3], v3, v[2:3]
	v_bfe_u32 v8, v28, 18, 5
	v_and_b32_e32 v2, 3, v2
	v_cmp_eq_u32_e32 vcc, 0, v8
	v_sub_u32_e32 v3, 30, v9
	v_cndmask_b32_e32 v2, v4, v2, vcc
	v_lshlrev_b32_e32 v4, 8, v28
	v_cndmask_b32_e32 v3, v8, v3, vcc
	v_and_b32_e32 v4, 0x80000000, v4
	v_lshl_add_u32 v3, v3, 23, v4
	v_lshl_or_b32 v2, v2, 21, v3
	v_add_u32_e32 v3, 0x38000000, v2
                                        ; implicit-def: $vgpr4
                                        ; implicit-def: $vgpr2
.LBB2_5813:                             ;   in Loop: Header=BB2_4891 Depth=3
	s_andn2_saveexec_b64 s[36:37], s[36:37]
; %bb.5814:                             ;   in Loop: Header=BB2_4891 Depth=3
	v_cmp_gt_i16_sdwa vcc, sext(v2), v48 src0_sel:BYTE_0 src1_sel:DWORD
	v_cndmask_b32_e32 v2, v7, v0, vcc
	v_cmp_eq_u32_e32 vcc, 0, v4
	v_cndmask_b32_e32 v3, v35, v2, vcc
; %bb.5815:                             ;   in Loop: Header=BB2_4891 Depth=3
	s_or_b64 exec, exec, s[36:37]
.LBB2_5816:                             ;   in Loop: Header=BB2_4891 Depth=3
	s_or_b64 exec, exec, s[42:43]
.LBB2_5817:                             ;   in Loop: Header=BB2_4891 Depth=3
	s_or_b64 exec, exec, s[40:41]
	v_lshrrev_b32_e32 v2, 16, v11
	v_cmp_gt_i16_sdwa s[42:43], v2, s47 src0_sel:BYTE_0 src1_sel:DWORD
	s_mov_b64 s[40:41], 0
	s_and_saveexec_b64 vcc, s[42:43]
	s_xor_b64 s[42:43], exec, vcc
	s_cbranch_execz .LBB2_5892
; %bb.5818:                             ;   in Loop: Header=BB2_4891 Depth=3
	v_cmp_eq_u16_sdwa s[36:37], v2, s96 src0_sel:BYTE_0 src1_sel:DWORD
	s_mov_b64 s[40:41], -1
	s_and_saveexec_b64 vcc, s[36:37]
; %bb.5819:                             ;   in Loop: Header=BB2_4891 Depth=3
	s_xor_b64 s[40:41], exec, -1
; %bb.5820:                             ;   in Loop: Header=BB2_4891 Depth=3
	s_or_b64 exec, exec, vcc
	s_and_b64 s[40:41], s[40:41], exec
	s_or_saveexec_b64 s[42:43], s[42:43]
	v_bfrev_b32_e32 v4, 1
	s_xor_b64 exec, exec, s[42:43]
	s_cbranch_execnz .LBB2_5893
.LBB2_5821:                             ;   in Loop: Header=BB2_4891 Depth=3
	s_or_b64 exec, exec, s[42:43]
	s_and_saveexec_b64 s[36:37], s[40:41]
	s_cbranch_execz .LBB2_5823
.LBB2_5822:                             ;   in Loop: Header=BB2_4891 Depth=3
	v_and_b32_e32 v4, 3, v2
	v_and_b32_e32 v8, 0x7c0000, v11
	v_cmp_eq_u32_e32 vcc, s44, v8
	v_ffbh_u32_e32 v8, v4
	v_min_u32_e32 v38, 32, v8
	v_subrev_u32_e32 v8, 29, v38
	v_bfe_u32 v17, v11, 18, 5
	v_lshlrev_b64 v[8:9], v8, v[2:3]
	v_cmp_eq_u32_e64 s[40:41], 0, v17
	v_sub_u32_e32 v9, 30, v38
	v_cndmask_b32_e64 v9, v17, v9, s[40:41]
	v_lshlrev_b32_e32 v17, 24, v2
	v_and_b32_e32 v8, 3, v8
	v_and_b32_e32 v17, 0x80000000, v17
	v_cndmask_b32_e64 v8, v4, v8, s[40:41]
	v_lshl_add_u32 v9, v9, 23, v17
	v_cmp_gt_i16_sdwa s[42:43], sext(v2), v48 src0_sel:BYTE_0 src1_sel:DWORD
	v_lshl_or_b32 v8, v8, 21, v9
	v_cmp_eq_u32_e64 s[40:41], 0, v4
	v_cndmask_b32_e64 v2, v7, v0, s[42:43]
	v_add_u32_e32 v8, 0x38000000, v8
	v_cndmask_b32_e64 v2, v35, v2, s[40:41]
	v_cndmask_b32_e32 v4, v8, v2, vcc
.LBB2_5823:                             ;   in Loop: Header=BB2_4891 Depth=3
	s_or_b64 exec, exec, s[36:37]
	v_add_f32_e32 v4, v3, v4
	v_and_b32_e32 v8, 0x7f800000, v4
	v_mov_b32_e32 v9, v29
	v_cmp_ne_u64_e32 vcc, s[76:77], v[8:9]
	v_and_b32_e32 v2, 0x7fffff, v4
	v_mov_b32_e32 v3, v29
                                        ; implicit-def: $vgpr17
	s_and_saveexec_b64 s[40:41], vcc
	s_xor_b64 s[42:43], exec, s[40:41]
	s_cbranch_execz .LBB2_5837
; %bb.5824:                             ;   in Loop: Header=BB2_4891 Depth=3
	v_and_b32_e32 v8, 0x7fffffff, v4
	v_mov_b32_e32 v9, v29
	v_cmp_gt_u64_e32 vcc, s[78:79], v[8:9]
	v_and_b32_sdwa v8, v4, s96 dst_sel:DWORD dst_unused:UNUSED_PAD src0_sel:BYTE_3 src1_sel:DWORD
                                        ; implicit-def: $vgpr17
	s_and_saveexec_b64 s[40:41], vcc
	s_xor_b64 s[36:37], exec, s[40:41]
	s_cbranch_execz .LBB2_5834
; %bb.5825:                             ;   in Loop: Header=BB2_4891 Depth=3
	v_mov_b32_e32 v17, 0
	v_cmp_ne_u32_e32 vcc, 0, v4
	s_and_saveexec_b64 s[38:39], vcc
	s_cbranch_execz .LBB2_5833
; %bb.5826:                             ;   in Loop: Header=BB2_4891 Depth=3
	v_bfe_u32 v9, v4, 23, 8
	v_cmp_gt_u32_e64 s[40:41], s46, v9
	v_sub_u32_e32 v4, 0x71, v9
	v_cmp_eq_u32_e32 vcc, 0, v9
	v_cndmask_b32_e64 v4, 0, v4, s[40:41]
	v_mov_b32_e32 v17, 0x70
	v_cndmask_b32_e32 v17, v4, v17, vcc
	v_or_b32_e32 v38, 0x800000, v2
	v_add_u32_e32 v4, 21, v17
	v_cndmask_b32_e32 v2, v38, v2, vcc
	v_lshlrev_b64 v[38:39], v4, -1
	v_add_u32_e32 v4, 20, v17
	v_bfi_b32 v38, v38, 0, v2
	v_lshlrev_b64 v[40:41], v4, 1
	v_lshrrev_b64 v[2:3], v17, v[2:3]
	v_bfi_b32 v39, v39, 0, 0
	v_cmp_eq_u64_e64 s[40:41], v[38:39], v[40:41]
	v_mov_b32_e32 v4, v3
	v_mov_b32_e32 v3, v2
	s_and_saveexec_b64 s[48:49], s[40:41]
; %bb.5827:                             ;   in Loop: Header=BB2_4891 Depth=3
	v_bfe_u32 v3, v2, 21, 1
	v_add_co_u32_e64 v3, s[40:41], v2, v3
	v_add_co_u32_e64 v3, s[40:41], -1, v3
; %bb.5828:                             ;   in Loop: Header=BB2_4891 Depth=3
	s_or_b64 exec, exec, s[48:49]
	v_add_u32_e32 v4, 0xffffff81, v9
	v_cndmask_b32_e32 v4, v4, v1, vcc
	v_lshrrev_b32_e32 v9, 23, v2
	v_add3_u32 v17, v17, v4, v9
	v_add_u32_e32 v9, 14, v17
	v_and_b32_e32 v3, 0x1fffff, v3
	v_add_u32_e32 v2, v3, v2
	v_mov_b32_e32 v3, v29
	v_cmp_ne_u32_e32 vcc, 0, v9
                                        ; implicit-def: $vgpr4
	s_and_saveexec_b64 s[40:41], vcc
	s_xor_b64 s[40:41], exec, s[40:41]
; %bb.5829:                             ;   in Loop: Header=BB2_4891 Depth=3
	v_cmp_lt_u64_e32 vcc, s[88:89], v[2:3]
	v_add_u32_e32 v4, 15, v17
	v_cndmask_b32_e32 v4, v9, v4, vcc
	v_cndmask_b32_e64 v9, 0, 1, vcc
	v_lshrrev_b64 v[2:3], v9, v[2:3]
; %bb.5830:                             ;   in Loop: Header=BB2_4891 Depth=3
	s_andn2_saveexec_b64 s[40:41], s[40:41]
; %bb.5831:                             ;   in Loop: Header=BB2_4891 Depth=3
	v_bfe_u32 v4, v2, 23, 1
; %bb.5832:                             ;   in Loop: Header=BB2_4891 Depth=3
	s_or_b64 exec, exec, s[40:41]
	v_lshrrev_b64 v[2:3], 21, v[2:3]
	v_cmp_gt_i32_e32 vcc, 32, v4
	v_cndmask_b32_e32 v3, 0, v3, vcc
	v_cndmask_b32_e32 v2, 3, v2, vcc
	v_cmp_eq_u64_e64 s[40:41], 0, v[2:3]
	v_min_i32_e32 v3, 31, v4
	v_lshlrev_b32_e32 v3, 2, v3
	v_cmp_eq_u32_e32 vcc, 0, v4
	v_and_b32_e32 v3, 0xfc, v3
	v_and_or_b32 v2, v2, 3, v3
	s_and_b64 s[40:41], vcc, s[40:41]
	v_cndmask_b32_e64 v2, v2, 0, s[40:41]
	v_or_b32_e32 v17, v2, v8
.LBB2_5833:                             ;   in Loop: Header=BB2_4891 Depth=3
	s_or_b64 exec, exec, s[38:39]
                                        ; implicit-def: $vgpr8
.LBB2_5834:                             ;   in Loop: Header=BB2_4891 Depth=3
	s_andn2_saveexec_b64 s[40:41], s[36:37]
; %bb.5835:                             ;   in Loop: Header=BB2_4891 Depth=3
	v_or_b32_e32 v17, 0x7b, v8
; %bb.5836:                             ;   in Loop: Header=BB2_4891 Depth=3
	s_or_b64 exec, exec, s[40:41]
                                        ; implicit-def: $vgpr4
                                        ; implicit-def: $vgpr2_vgpr3
.LBB2_5837:                             ;   in Loop: Header=BB2_4891 Depth=3
	s_andn2_saveexec_b64 s[40:41], s[42:43]
	s_cbranch_execz .LBB2_5843
; %bb.5838:                             ;   in Loop: Header=BB2_4891 Depth=3
	v_cmp_ne_u64_e32 vcc, 0, v[2:3]
                                        ; implicit-def: $vgpr17
	s_and_saveexec_b64 s[42:43], vcc
	s_xor_b64 s[42:43], exec, s[42:43]
; %bb.5839:                             ;   in Loop: Header=BB2_4891 Depth=3
	v_or_b32_sdwa v17, v4, s47 dst_sel:DWORD dst_unused:UNUSED_PAD src0_sel:BYTE_3 src1_sel:DWORD
                                        ; implicit-def: $vgpr4
; %bb.5840:                             ;   in Loop: Header=BB2_4891 Depth=3
	s_andn2_saveexec_b64 s[42:43], s[42:43]
; %bb.5841:                             ;   in Loop: Header=BB2_4891 Depth=3
	v_cmp_lt_i32_e32 vcc, -1, v4
	v_cndmask_b32_e32 v17, v6, v22, vcc
; %bb.5842:                             ;   in Loop: Header=BB2_4891 Depth=3
	s_or_b64 exec, exec, s[42:43]
.LBB2_5843:                             ;   in Loop: Header=BB2_4891 Depth=3
	s_or_b64 exec, exec, s[40:41]
	v_cmp_lt_u32_e32 vcc, s57, v28
	v_mov_b32_e32 v3, 0
	s_and_saveexec_b64 s[40:41], vcc
	s_cbranch_execz .LBB2_5851
; %bb.5844:                             ;   in Loop: Header=BB2_4891 Depth=3
	v_lshrrev_b32_e32 v2, 24, v28
	v_cmp_ne_u32_e32 vcc, s96, v2
	v_bfrev_b32_e32 v3, 1
	s_and_saveexec_b64 s[42:43], vcc
	s_cbranch_execz .LBB2_5850
; %bb.5845:                             ;   in Loop: Header=BB2_4891 Depth=3
	v_and_b32_e32 v3, 0x7c000000, v28
	v_bfe_u32 v4, v28, 24, 2
	v_cmp_ne_u32_e32 vcc, s45, v3
                                        ; implicit-def: $vgpr3
	s_and_saveexec_b64 s[36:37], vcc
	s_xor_b64 s[36:37], exec, s[36:37]
	s_cbranch_execz .LBB2_5847
; %bb.5846:                             ;   in Loop: Header=BB2_4891 Depth=3
	v_ffbh_u32_e32 v3, v4
	v_min_u32_e32 v9, 32, v3
	v_subrev_u32_e32 v3, 29, v9
	v_lshlrev_b64 v[2:3], v3, v[2:3]
	v_bfe_u32 v8, v28, 26, 5
	v_sub_u32_e32 v3, 30, v9
	v_and_b32_e32 v2, 3, v2
	v_cmp_eq_u32_e32 vcc, 0, v8
	v_cndmask_b32_e32 v3, v8, v3, vcc
	v_cndmask_b32_e32 v2, v4, v2, vcc
	v_and_b32_e32 v4, 0x80000000, v28
	v_lshl_add_u32 v3, v3, 23, v4
	v_lshl_or_b32 v2, v2, 21, v3
	v_add_u32_e32 v3, 0x38000000, v2
                                        ; implicit-def: $vgpr4
.LBB2_5847:                             ;   in Loop: Header=BB2_4891 Depth=3
	s_andn2_saveexec_b64 s[36:37], s[36:37]
; %bb.5848:                             ;   in Loop: Header=BB2_4891 Depth=3
	v_cmp_lt_i32_e32 vcc, -1, v28
	v_cndmask_b32_e32 v2, v7, v0, vcc
	v_cmp_eq_u32_e32 vcc, 0, v4
	v_cndmask_b32_e32 v3, v35, v2, vcc
; %bb.5849:                             ;   in Loop: Header=BB2_4891 Depth=3
	s_or_b64 exec, exec, s[36:37]
.LBB2_5850:                             ;   in Loop: Header=BB2_4891 Depth=3
	s_or_b64 exec, exec, s[42:43]
.LBB2_5851:                             ;   in Loop: Header=BB2_4891 Depth=3
	s_or_b64 exec, exec, s[40:41]
	v_bfe_u32 v4, v11, 24, 2
	v_and_b32_e32 v8, 0x7c000000, v11
	v_cmp_eq_u32_e32 vcc, s45, v8
	v_ffbh_u32_e32 v8, v4
	v_min_u32_e32 v38, 32, v8
	v_lshrrev_b32_e32 v2, 24, v11
	v_subrev_u32_e32 v8, 29, v38
	v_bfe_u32 v28, v11, 26, 5
	v_lshlrev_b64 v[8:9], v8, v[2:3]
	v_cmp_eq_u32_e64 s[40:41], 0, v28
	v_sub_u32_e32 v9, 30, v38
	v_and_b32_e32 v8, 3, v8
	v_cndmask_b32_e64 v9, v28, v9, s[40:41]
	v_and_b32_e32 v28, 0x80000000, v11
	v_cmp_lt_i64_e64 s[42:43], -1, v[10:11]
	v_cndmask_b32_e64 v8, v4, v8, s[40:41]
	v_lshl_add_u32 v9, v9, 23, v28
	v_lshl_or_b32 v8, v8, 21, v9
	v_cmp_eq_u32_e64 s[40:41], 0, v4
	v_cndmask_b32_e64 v4, v7, v0, s[42:43]
	v_add_u32_e32 v8, 0x38000000, v8
	v_cndmask_b32_e64 v4, v35, v4, s[40:41]
	v_cndmask_b32_e32 v4, v8, v4, vcc
	v_cmp_ne_u32_e32 vcc, s96, v2
	v_bfrev_b32_e32 v2, 1
	v_cndmask_b32_e32 v2, v2, v4, vcc
	v_cmp_lt_u64_e32 vcc, s[56:57], v[10:11]
	v_mov_b32_e32 v9, v29
	v_cndmask_b32_e32 v2, 0, v2, vcc
	v_add_f32_e32 v3, v2, v3
	v_and_b32_e32 v8, 0x7f800000, v3
	v_cmp_ne_u64_e32 vcc, s[76:77], v[8:9]
	v_and_b32_e32 v28, 0x7fffff, v3
                                        ; implicit-def: $vgpr2
	s_and_saveexec_b64 s[40:41], vcc
	s_xor_b64 s[42:43], exec, s[40:41]
	s_cbranch_execz .LBB2_5865
; %bb.5852:                             ;   in Loop: Header=BB2_4891 Depth=3
	v_and_b32_e32 v8, 0x7fffffff, v3
	v_mov_b32_e32 v9, v29
	v_cmp_gt_u64_e32 vcc, s[78:79], v[8:9]
	v_and_b32_sdwa v8, v3, s96 dst_sel:DWORD dst_unused:UNUSED_PAD src0_sel:BYTE_3 src1_sel:DWORD
                                        ; implicit-def: $vgpr2
	s_and_saveexec_b64 s[40:41], vcc
	s_xor_b64 s[36:37], exec, s[40:41]
	s_cbranch_execz .LBB2_5862
; %bb.5853:                             ;   in Loop: Header=BB2_4891 Depth=3
	v_mov_b32_e32 v2, 0
	v_cmp_ne_u32_e32 vcc, 0, v3
	s_and_saveexec_b64 s[38:39], vcc
	s_cbranch_execz .LBB2_5861
; %bb.5854:                             ;   in Loop: Header=BB2_4891 Depth=3
	v_bfe_u32 v9, v3, 23, 8
	v_cmp_gt_u32_e64 s[40:41], s46, v9
	v_sub_u32_e32 v2, 0x71, v9
	v_cmp_eq_u32_e32 vcc, 0, v9
	v_cndmask_b32_e64 v2, 0, v2, s[40:41]
	v_mov_b32_e32 v4, 0x70
	v_cndmask_b32_e32 v10, v2, v4, vcc
	v_add_u32_e32 v4, 21, v10
	v_or_b32_e32 v3, 0x800000, v28
	v_lshlrev_b64 v[38:39], v4, -1
	v_cndmask_b32_e32 v2, v3, v28, vcc
	v_mov_b32_e32 v3, v29
	v_add_u32_e32 v4, 20, v10
	v_bfi_b32 v38, v38, 0, v2
	v_lshlrev_b64 v[40:41], v4, 1
	v_lshrrev_b64 v[2:3], v10, v[2:3]
	v_bfi_b32 v39, v39, 0, 0
	v_cmp_eq_u64_e64 s[40:41], v[38:39], v[40:41]
	v_mov_b32_e32 v4, v3
	v_mov_b32_e32 v3, v2
	s_and_saveexec_b64 s[48:49], s[40:41]
; %bb.5855:                             ;   in Loop: Header=BB2_4891 Depth=3
	v_bfe_u32 v3, v2, 21, 1
	v_add_co_u32_e64 v3, s[40:41], v2, v3
	v_add_co_u32_e64 v3, s[40:41], -1, v3
; %bb.5856:                             ;   in Loop: Header=BB2_4891 Depth=3
	s_or_b64 exec, exec, s[48:49]
	v_add_u32_e32 v4, 0xffffff81, v9
	v_cndmask_b32_e32 v4, v4, v1, vcc
	v_lshrrev_b32_e32 v9, 23, v2
	v_add3_u32 v10, v10, v4, v9
	v_add_u32_e32 v9, 14, v10
	v_and_b32_e32 v3, 0x1fffff, v3
	v_add_u32_e32 v28, v3, v2
	v_cmp_ne_u32_e32 vcc, 0, v9
                                        ; implicit-def: $vgpr2_vgpr3
                                        ; implicit-def: $vgpr4
	s_and_saveexec_b64 s[40:41], vcc
	s_xor_b64 s[40:41], exec, s[40:41]
; %bb.5857:                             ;   in Loop: Header=BB2_4891 Depth=3
	v_cmp_lt_u64_e32 vcc, s[88:89], v[28:29]
	v_add_u32_e32 v2, 15, v10
	v_cndmask_b32_e32 v4, v9, v2, vcc
	v_cndmask_b32_e64 v2, 0, 1, vcc
	v_lshrrev_b64 v[2:3], v2, v[28:29]
; %bb.5858:                             ;   in Loop: Header=BB2_4891 Depth=3
	s_andn2_saveexec_b64 s[40:41], s[40:41]
; %bb.5859:                             ;   in Loop: Header=BB2_4891 Depth=3
	v_mov_b32_e32 v2, v28
	v_mov_b32_e32 v3, v29
	v_bfe_u32 v4, v28, 23, 1
; %bb.5860:                             ;   in Loop: Header=BB2_4891 Depth=3
	s_or_b64 exec, exec, s[40:41]
	v_lshrrev_b64 v[2:3], 21, v[2:3]
	v_cmp_gt_i32_e32 vcc, 32, v4
	v_cndmask_b32_e32 v3, 0, v3, vcc
	v_cndmask_b32_e32 v2, 3, v2, vcc
	v_cmp_eq_u64_e64 s[40:41], 0, v[2:3]
	v_min_i32_e32 v3, 31, v4
	v_lshlrev_b32_e32 v3, 2, v3
	v_cmp_eq_u32_e32 vcc, 0, v4
	v_and_b32_e32 v3, 0xfc, v3
	v_and_or_b32 v2, v2, 3, v3
	s_and_b64 s[40:41], vcc, s[40:41]
	v_cndmask_b32_e64 v2, v2, 0, s[40:41]
	v_or_b32_e32 v2, v2, v8
.LBB2_5861:                             ;   in Loop: Header=BB2_4891 Depth=3
	s_or_b64 exec, exec, s[38:39]
                                        ; implicit-def: $vgpr8
.LBB2_5862:                             ;   in Loop: Header=BB2_4891 Depth=3
	s_andn2_saveexec_b64 s[40:41], s[36:37]
; %bb.5863:                             ;   in Loop: Header=BB2_4891 Depth=3
	v_or_b32_e32 v2, 0x7b, v8
; %bb.5864:                             ;   in Loop: Header=BB2_4891 Depth=3
	s_or_b64 exec, exec, s[40:41]
                                        ; implicit-def: $vgpr3
.LBB2_5865:                             ;   in Loop: Header=BB2_4891 Depth=3
	s_andn2_saveexec_b64 s[40:41], s[42:43]
	s_cbranch_execz .LBB2_5871
; %bb.5866:                             ;   in Loop: Header=BB2_4891 Depth=3
	v_cmp_ne_u64_e32 vcc, 0, v[28:29]
                                        ; implicit-def: $vgpr2
	s_and_saveexec_b64 s[42:43], vcc
	s_xor_b64 s[42:43], exec, s[42:43]
; %bb.5867:                             ;   in Loop: Header=BB2_4891 Depth=3
	v_or_b32_sdwa v2, v3, s47 dst_sel:DWORD dst_unused:UNUSED_PAD src0_sel:BYTE_3 src1_sel:DWORD
                                        ; implicit-def: $vgpr3
; %bb.5868:                             ;   in Loop: Header=BB2_4891 Depth=3
	s_andn2_saveexec_b64 s[42:43], s[42:43]
; %bb.5869:                             ;   in Loop: Header=BB2_4891 Depth=3
	v_cmp_lt_i32_e32 vcc, -1, v3
	v_cndmask_b32_e32 v2, v6, v22, vcc
; %bb.5870:                             ;   in Loop: Header=BB2_4891 Depth=3
	s_or_b64 exec, exec, s[42:43]
.LBB2_5871:                             ;   in Loop: Header=BB2_4891 Depth=3
	s_or_b64 exec, exec, s[40:41]
	v_lshl_or_b32 v3, v15, 8, v14
	v_lshlrev_b32_e32 v4, 16, v30
	v_lshlrev_b32_e32 v8, 24, v61
	v_or3_b32 v9, v3, v4, v8
	v_lshl_or_b32 v3, v51, 8, v23
	v_lshlrev_b32_e32 v4, 16, v54
	v_lshlrev_b32_e32 v8, 24, v58
	v_or3_b32 v8, v3, v4, v8
	;; [unrolled: 4-line block ×3, first 2 shown]
	v_lshlrev_b32_e32 v2, 24, v2
	v_lshlrev_b32_e32 v3, 16, v17
	v_lshl_or_b32 v4, v37, 8, v5
	v_or3_b32 v11, v4, v3, v2
	s_mov_b64 s[38:39], 0
	s_mov_b64 s[36:37], -1
.LBB2_5872:                             ;   Parent Loop BB2_47 Depth=1
                                        ;     Parent Loop BB2_4813 Depth=2
                                        ;       Parent Loop BB2_4891 Depth=3
                                        ; =>      This Inner Loop Header: Depth=4
	s_cmp_eq_u32 s38, 1
	s_cselect_b64 s[40:41], -1, 0
	v_cndmask_b32_e64 v3, v32, v55, s[40:41]
	v_cndmask_b32_e64 v2, v31, v33, s[40:41]
	global_store_dwordx4 v[2:3], v[8:11], off glc slc
	v_add_co_u32_e32 v2, vcc, 0x400, v2
	s_cmp_eq_u32 s38, 0
	v_addc_co_u32_e32 v3, vcc, 0, v3, vcc
	s_cselect_b64 vcc, -1, 0
	s_and_b64 s[42:43], exec, s[36:37]
	s_mov_b64 s[38:39], 1
	v_cndmask_b32_e64 v33, v33, v2, s[40:41]
	s_mov_b64 s[36:37], 0
	v_cndmask_b32_e64 v55, v55, v3, s[40:41]
	v_cndmask_b32_e32 v32, v32, v3, vcc
	v_cndmask_b32_e32 v31, v31, v2, vcc
	s_mov_b64 vcc, s[42:43]
	s_cbranch_vccnz .LBB2_5872
; %bb.5873:                             ;   in Loop: Header=BB2_4891 Depth=3
	buffer_load_dword v2, off, s[0:3], s33 offset:76 ; 4-byte Folded Reload
	buffer_load_dword v3, off, s[0:3], s33 offset:80 ; 4-byte Folded Reload
	v_sub_u32_e32 v18, v18, v36
	s_waitcnt vmcnt(1)
	v_add_co_u32_e32 v42, vcc, v42, v2
	s_waitcnt vmcnt(0)
	v_addc_co_u32_e32 v43, vcc, v43, v3, vcc
	v_add_co_u32_e32 v44, vcc, v44, v2
	buffer_load_dword v2, off, s[0:3], s33 offset:68 ; 4-byte Folded Reload
	v_addc_co_u32_e32 v45, vcc, v45, v3, vcc
	buffer_load_dword v3, off, s[0:3], s33 offset:72 ; 4-byte Folded Reload
	s_waitcnt vmcnt(1)
	v_add_co_u32_e32 v31, vcc, v31, v2
	s_waitcnt vmcnt(0)
	v_addc_co_u32_e32 v32, vcc, v32, v3, vcc
	v_add_co_u32_e32 v33, vcc, v33, v2
	buffer_load_dword v2, off, s[0:3], s33 offset:56 ; 4-byte Folded Reload
	v_addc_co_u32_e32 v55, vcc, v55, v3, vcc
	s_waitcnt vmcnt(0)
	v_sub_u32_e32 v16, v16, v2
	v_cmp_gt_i32_e32 vcc, 16, v16
	s_or_b64 s[34:35], vcc, s[34:35]
	s_andn2_b64 exec, exec, s[34:35]
	s_cbranch_execnz .LBB2_4891
	s_branch .LBB2_5894
.LBB2_5874:                             ;   in Loop: Header=BB2_4891 Depth=3
	s_or_saveexec_b64 s[42:43], s[42:43]
	v_bfrev_b32_e32 v3, 1
	s_xor_b64 exec, exec, s[42:43]
	s_cbranch_execz .LBB2_5359
.LBB2_5875:                             ;   in Loop: Header=BB2_4891 Depth=3
	v_cmp_ne_u16_sdwa vcc, v8, v29 src0_sel:BYTE_0 src1_sel:DWORD
	s_andn2_b64 s[40:41], s[40:41], exec
	s_and_b64 vcc, vcc, exec
	v_mov_b32_e32 v3, 0
	s_or_b64 s[40:41], s[40:41], vcc
	s_or_b64 exec, exec, s[42:43]
	s_and_saveexec_b64 s[36:37], s[40:41]
	s_cbranch_execnz .LBB2_5360
	s_branch .LBB2_5361
.LBB2_5876:                             ;   in Loop: Header=BB2_4891 Depth=3
	s_or_saveexec_b64 s[42:43], s[42:43]
	v_bfrev_b32_e32 v3, 1
	s_xor_b64 exec, exec, s[42:43]
	s_cbranch_execz .LBB2_5393
.LBB2_5877:                             ;   in Loop: Header=BB2_4891 Depth=3
	v_cmp_ne_u16_e32 vcc, 0, v2
	s_andn2_b64 s[40:41], s[40:41], exec
	s_and_b64 vcc, vcc, exec
	v_mov_b32_e32 v3, 0
	s_or_b64 s[40:41], s[40:41], vcc
	s_or_b64 exec, exec, s[42:43]
	s_and_saveexec_b64 s[36:37], s[40:41]
	s_cbranch_execnz .LBB2_5394
	s_branch .LBB2_5395
.LBB2_5878:                             ;   in Loop: Header=BB2_4891 Depth=3
	s_or_saveexec_b64 s[42:43], s[42:43]
	v_bfrev_b32_e32 v4, 1
	s_xor_b64 exec, exec, s[42:43]
	s_cbranch_execz .LBB2_5427
.LBB2_5879:                             ;   in Loop: Header=BB2_4891 Depth=3
	v_cmp_ne_u16_sdwa vcc, v2, v29 src0_sel:BYTE_0 src1_sel:DWORD
	s_andn2_b64 s[40:41], s[40:41], exec
	s_and_b64 vcc, vcc, exec
	v_mov_b32_e32 v4, 0
	s_or_b64 s[40:41], s[40:41], vcc
	s_or_b64 exec, exec, s[42:43]
	s_and_saveexec_b64 s[36:37], s[40:41]
	s_cbranch_execnz .LBB2_5428
	s_branch .LBB2_5429
.LBB2_5880:                             ;   in Loop: Header=BB2_4891 Depth=3
	s_or_saveexec_b64 s[42:43], s[42:43]
	v_bfrev_b32_e32 v3, 1
	s_xor_b64 exec, exec, s[42:43]
	s_cbranch_execz .LBB2_5525
.LBB2_5881:                             ;   in Loop: Header=BB2_4891 Depth=3
	v_cmp_ne_u16_e32 vcc, 0, v2
	s_andn2_b64 s[40:41], s[40:41], exec
	s_and_b64 vcc, vcc, exec
	v_mov_b32_e32 v3, 0
	s_or_b64 s[40:41], s[40:41], vcc
	s_or_b64 exec, exec, s[42:43]
	s_and_saveexec_b64 s[36:37], s[40:41]
	s_cbranch_execnz .LBB2_5526
	s_branch .LBB2_5527
.LBB2_5882:                             ;   in Loop: Header=BB2_4891 Depth=3
	s_or_saveexec_b64 s[42:43], s[42:43]
	v_bfrev_b32_e32 v4, 1
	s_xor_b64 exec, exec, s[42:43]
	s_cbranch_execz .LBB2_5559
.LBB2_5883:                             ;   in Loop: Header=BB2_4891 Depth=3
	v_cmp_ne_u16_sdwa vcc, v2, v29 src0_sel:BYTE_0 src1_sel:DWORD
	s_andn2_b64 s[40:41], s[40:41], exec
	s_and_b64 vcc, vcc, exec
	v_mov_b32_e32 v4, 0
	s_or_b64 s[40:41], s[40:41], vcc
	s_or_b64 exec, exec, s[42:43]
	s_and_saveexec_b64 s[36:37], s[40:41]
	s_cbranch_execnz .LBB2_5560
	s_branch .LBB2_5561
.LBB2_5884:                             ;   in Loop: Header=BB2_4891 Depth=3
	s_or_saveexec_b64 s[42:43], s[42:43]
	v_bfrev_b32_e32 v3, 1
	s_xor_b64 exec, exec, s[42:43]
	s_cbranch_execz .LBB2_5621
.LBB2_5885:                             ;   in Loop: Header=BB2_4891 Depth=3
	v_cmp_ne_u16_sdwa vcc, v10, v29 src0_sel:BYTE_0 src1_sel:DWORD
	s_andn2_b64 s[40:41], s[40:41], exec
	s_and_b64 vcc, vcc, exec
	v_mov_b32_e32 v3, 0
	s_or_b64 s[40:41], s[40:41], vcc
	s_or_b64 exec, exec, s[42:43]
	s_and_saveexec_b64 s[36:37], s[40:41]
	s_cbranch_execnz .LBB2_5622
	s_branch .LBB2_5623
.LBB2_5886:                             ;   in Loop: Header=BB2_4891 Depth=3
	s_or_saveexec_b64 s[42:43], s[42:43]
	v_bfrev_b32_e32 v3, 1
	s_xor_b64 exec, exec, s[42:43]
	s_cbranch_execz .LBB2_5655
.LBB2_5887:                             ;   in Loop: Header=BB2_4891 Depth=3
	v_cmp_ne_u16_e32 vcc, 0, v2
	s_andn2_b64 s[40:41], s[40:41], exec
	s_and_b64 vcc, vcc, exec
	v_mov_b32_e32 v3, 0
	s_or_b64 s[40:41], s[40:41], vcc
	s_or_b64 exec, exec, s[42:43]
	s_and_saveexec_b64 s[36:37], s[40:41]
	s_cbranch_execnz .LBB2_5656
	s_branch .LBB2_5657
.LBB2_5888:                             ;   in Loop: Header=BB2_4891 Depth=3
	s_or_saveexec_b64 s[42:43], s[42:43]
	v_bfrev_b32_e32 v4, 1
	s_xor_b64 exec, exec, s[42:43]
	s_cbranch_execz .LBB2_5689
.LBB2_5889:                             ;   in Loop: Header=BB2_4891 Depth=3
	v_cmp_ne_u16_sdwa vcc, v2, v29 src0_sel:BYTE_0 src1_sel:DWORD
	s_andn2_b64 s[40:41], s[40:41], exec
	s_and_b64 vcc, vcc, exec
	v_mov_b32_e32 v4, 0
	s_or_b64 s[40:41], s[40:41], vcc
	s_or_b64 exec, exec, s[42:43]
	s_and_saveexec_b64 s[36:37], s[40:41]
	s_cbranch_execnz .LBB2_5690
	s_branch .LBB2_5691
.LBB2_5890:                             ;   in Loop: Header=BB2_4891 Depth=3
	s_or_saveexec_b64 s[42:43], s[42:43]
	v_bfrev_b32_e32 v3, 1
	s_xor_b64 exec, exec, s[42:43]
	s_cbranch_execz .LBB2_5787
.LBB2_5891:                             ;   in Loop: Header=BB2_4891 Depth=3
	v_cmp_ne_u16_e32 vcc, 0, v2
	s_andn2_b64 s[40:41], s[40:41], exec
	s_and_b64 vcc, vcc, exec
	v_mov_b32_e32 v3, 0
	s_or_b64 s[40:41], s[40:41], vcc
	s_or_b64 exec, exec, s[42:43]
	s_and_saveexec_b64 s[36:37], s[40:41]
	s_cbranch_execnz .LBB2_5788
	s_branch .LBB2_5789
.LBB2_5892:                             ;   in Loop: Header=BB2_4891 Depth=3
	s_or_saveexec_b64 s[42:43], s[42:43]
	v_bfrev_b32_e32 v4, 1
	s_xor_b64 exec, exec, s[42:43]
	s_cbranch_execz .LBB2_5821
.LBB2_5893:                             ;   in Loop: Header=BB2_4891 Depth=3
	v_cmp_ne_u16_sdwa vcc, v2, v29 src0_sel:BYTE_0 src1_sel:DWORD
	s_andn2_b64 s[40:41], s[40:41], exec
	s_and_b64 vcc, vcc, exec
	v_mov_b32_e32 v4, 0
	s_or_b64 s[40:41], s[40:41], vcc
	s_or_b64 exec, exec, s[42:43]
	s_and_saveexec_b64 s[36:37], s[40:41]
	s_cbranch_execnz .LBB2_5822
	s_branch .LBB2_5823
.LBB2_5894:                             ;   in Loop: Header=BB2_4813 Depth=2
	s_or_b64 exec, exec, s[34:35]
	buffer_load_dword v41, off, s[0:3], s33 offset:188 ; 4-byte Folded Reload
	buffer_load_dword v42, off, s[0:3], s33 offset:192 ; 4-byte Folded Reload
	;; [unrolled: 1-line block ×8, first 2 shown]
.LBB2_5895:                             ;   in Loop: Header=BB2_4813 Depth=2
	s_or_b64 exec, exec, s[30:31]
	buffer_load_dword v2, off, s[0:3], s33 offset:144 ; 4-byte Folded Reload
	v_mov_b32_e32 v37, 0
	s_mov_b64 s[40:41], 0
                                        ; implicit-def: $vgpr51
                                        ; implicit-def: $vgpr52
	s_waitcnt vmcnt(0)
	v_and_b32_e32 v2, 15, v2
	v_cndmask_b32_e64 v16, v4, v2, s[28:29]
	v_cmp_ne_u32_e32 vcc, 0, v16
	s_and_saveexec_b64 s[30:31], vcc
	s_cbranch_execz .LBB2_6903
; %bb.5896:                             ;   in Loop: Header=BB2_4813 Depth=2
	buffer_load_dword v3, off, s[0:3], s33 offset:216 ; 4-byte Folded Reload
	v_sub_u32_e32 v2, v4, v2
	v_cndmask_b32_e64 v2, 0, v2, s[28:29]
	v_cmp_lt_i32_e32 vcc, 0, v18
	v_add_u32_e32 v8, v2, v5
	v_cndmask_b32_e32 v2, 0, v36, vcc
	v_sub_u32_e32 v2, v2, v18
	s_waitcnt vmcnt(0)
	v_lshl_or_b32 v2, v2, 6, v3
	v_ashrrev_i32_e32 v3, 31, v2
	v_lshrrev_b32_e32 v3, 26, v3
	v_add_u32_e32 v3, v2, v3
	v_ashrrev_i32_e32 v4, 6, v3
	v_and_b32_e32 v3, 0xffffffc0, v3
	v_sub_u32_e32 v9, v2, v3
	v_ashrrev_i32_e32 v3, 31, v16
	v_lshrrev_b32_e32 v3, 22, v3
	v_add_u32_e32 v3, v16, v3
	v_and_b32_e32 v14, 0xfffffc00, v3
	v_lshlrev_b32_e32 v2, 4, v9
	v_sub_u32_e32 v15, v16, v14
	v_lshl_add_u32 v2, v4, 10, v2
	v_ashrrev_i32_e32 v5, 10, v3
	v_cmp_lt_i32_e64 s[28:29], 15, v15
	v_sub_u32_e32 v33, v16, v2
	v_addc_co_u32_e64 v3, vcc, 0, v5, s[28:29]
	v_sub_u32_e32 v32, v3, v4
	v_cmp_lt_i32_e32 vcc, 15, v33
	s_and_saveexec_b64 s[34:35], vcc
	s_cbranch_execz .LBB2_6902
; %bb.5897:                             ;   in Loop: Header=BB2_4813 Depth=2
	v_add_u32_e32 v4, v2, v8
	buffer_store_dword v15, off, s[0:3], s33 offset:260 ; 4-byte Folded Spill
	buffer_store_dword v14, off, s[0:3], s33 offset:248 ; 4-byte Folded Spill
	;; [unrolled: 1-line block ×4, first 2 shown]
	v_add_co_u32_e32 v55, vcc, v4, v41
	buffer_store_dword v41, off, s[0:3], s33 offset:188 ; 4-byte Folded Spill
	s_nop 0
	buffer_store_dword v42, off, s[0:3], s33 offset:192 ; 4-byte Folded Spill
	v_ashrrev_i32_e32 v5, 31, v4
	v_addc_co_u32_e32 v46, vcc, v5, v42, vcc
	v_add_co_u32_e32 v47, vcc, v4, v10
	buffer_store_dword v10, off, s[0:3], s33 offset:204 ; 4-byte Folded Spill
	s_nop 0
	buffer_store_dword v11, off, s[0:3], s33 offset:208 ; 4-byte Folded Spill
	s_trap 2
	ds_read_b64 v[2:3], v0
	s_waitcnt lgkmcnt(0)
	v_readfirstlane_b32 s42, v2
	s_bfe_i32 s38, s42, 0x80000
	s_and_b32 s43, s42, 3
	s_bfe_u32 s40, s42, 0x50002
	s_and_b32 s41, s42, 0x7c
	s_cmpk_eq_i32 s41, 0x7c
	s_flbit_i32_b32 s41, s43
	v_addc_co_u32_e32 v56, vcc, v5, v11, vcc
	v_add_co_u32_e32 v42, vcc, v4, v43
	buffer_store_dword v43, off, s[0:3], s33 offset:196 ; 4-byte Folded Spill
	s_nop 0
	buffer_store_dword v44, off, s[0:3], s33 offset:200 ; 4-byte Folded Spill
	v_addc_co_u32_e32 v43, vcc, v5, v44, vcc
	v_add_co_u32_e32 v44, vcc, v2, v4
	v_addc_co_u32_e32 v45, vcc, v3, v5, vcc
	s_cselect_b64 vcc, -1, 0
	s_min_u32 s41, s41, 32
	s_sub_i32 s36, s41, 29
	v_lshlrev_b64 v[2:3], s36, v[2:3]
	s_sub_i32 s41, 30, s41
	s_cmp_eq_u32 s40, 0
	v_and_b32_e32 v2, 3, v2
	s_cselect_b32 s36, s41, s40
	v_mov_b32_e32 v3, s43
	s_cselect_b64 s[40:41], -1, 0
	v_cndmask_b32_e64 v2, v3, v2, s[40:41]
	s_lshl_b32 s40, s42, 24
	s_and_b32 s40, s40, 0x80000000
	s_lshl_b32 s41, s36, 23
	s_add_i32 s41, s41, s40
	v_lshlrev_b32_e32 v2, 21, v2
	s_cmp_eq_u32 s43, 0
	s_sext_i32_i8 s42, s42
	v_or_b32_e32 v2, s41, v2
	s_cselect_b64 s[40:41], -1, 0
	s_cmp_gt_i32 s42, -1
	s_cselect_b64 s[42:43], -1, 0
	v_cndmask_b32_e64 v3, v7, v0, s[42:43]
	v_add_u32_e32 v2, 0x38000000, v2
	v_cndmask_b32_e64 v3, v35, v3, s[40:41]
	v_cndmask_b32_e32 v2, v2, v3, vcc
	s_mov_b64 s[36:37], 0
	s_and_b32 s52, s38, 0xff
	buffer_store_dword v2, off, s[0:3], s33 offset:184 ; 4-byte Folded Spill
.LBB2_5898:                             ;   Parent Loop BB2_47 Depth=1
                                        ;     Parent Loop BB2_4813 Depth=2
                                        ; =>    This Loop Header: Depth=3
                                        ;         Child Loop BB2_6879 Depth 4
	s_cmpk_lt_i32 s52, 0x80
	s_cbranch_scc1 .LBB2_5902
; %bb.5899:                             ;   in Loop: Header=BB2_5898 Depth=3
	s_and_b32 s42, 0xffff, s52
	s_mov_b64 s[40:41], -1
	s_cmpk_eq_i32 s42, 0x80
	s_cbranch_scc0 .LBB2_5901
; %bb.5900:                             ;   in Loop: Header=BB2_5898 Depth=3
	s_mov_b64 s[40:41], 0
.LBB2_5901:                             ;   in Loop: Header=BB2_5898 Depth=3
	s_brev_b32 s38, 1
	s_branch .LBB2_5904
.LBB2_5902:                             ;   in Loop: Header=BB2_5898 Depth=3
	s_mov_b64 s[40:41], 0
	s_brev_b32 s38, 1
	s_cbranch_execz .LBB2_5904
; %bb.5903:                             ;   in Loop: Header=BB2_5898 Depth=3
	s_and_b32 s40, 0xffff, s52
	s_cmp_lg_u32 s40, 0
	s_mov_b32 s38, 0
	s_cselect_b64 s[40:41], -1, 0
.LBB2_5904:                             ;   in Loop: Header=BB2_5898 Depth=3
	s_andn2_b64 vcc, exec, s[40:41]
	v_mov_b32_e32 v23, s38
	s_cbranch_vccnz .LBB2_5906
; %bb.5905:                             ;   in Loop: Header=BB2_5898 Depth=3
	buffer_load_dword v23, off, s[0:3], s33 offset:184 ; 4-byte Folded Reload
.LBB2_5906:                             ;   in Loop: Header=BB2_5898 Depth=3
	global_load_dwordx4 v[8:11], v[42:43], off glc slc
	v_mov_b32_e32 v2, 0
	s_waitcnt vmcnt(0)
	v_cmp_ne_u16_sdwa s[42:43], v8, v29 src0_sel:BYTE_0 src1_sel:DWORD
	s_and_saveexec_b64 s[40:41], s[42:43]
	s_cbranch_execz .LBB2_5914
; %bb.5907:                             ;   in Loop: Header=BB2_5898 Depth=3
	v_cmp_ne_u16_sdwa vcc, sext(v8), s97 src0_sel:BYTE_0 src1_sel:DWORD
	v_bfrev_b32_e32 v2, 1
	s_and_saveexec_b64 s[42:43], vcc
	s_cbranch_execz .LBB2_5913
; %bb.5908:                             ;   in Loop: Header=BB2_5898 Depth=3
	v_and_b32_e32 v2, 0x7c, v8
	v_and_b32_e32 v3, 3, v8
	v_cmp_ne_u32_e32 vcc, s85, v2
                                        ; implicit-def: $vgpr2
	s_and_saveexec_b64 s[38:39], vcc
	s_xor_b64 s[38:39], exec, s[38:39]
	s_cbranch_execz .LBB2_5910
; %bb.5909:                             ;   in Loop: Header=BB2_5898 Depth=3
	v_ffbh_u32_e32 v4, v3
	v_min_u32_e32 v14, 32, v4
	v_subrev_u32_e32 v4, 29, v14
	v_lshlrev_b64 v[4:5], v4, v[8:9]
	v_bfe_u32 v2, v8, 2, 5
	v_and_b32_e32 v4, 3, v4
	v_cmp_eq_u32_e32 vcc, 0, v2
	v_sub_u32_e32 v5, 30, v14
	v_cndmask_b32_e32 v3, v3, v4, vcc
	v_lshlrev_b32_e32 v4, 24, v8
	v_cndmask_b32_e32 v2, v2, v5, vcc
	v_and_b32_e32 v4, 0x80000000, v4
	v_lshl_add_u32 v2, v2, 23, v4
	v_lshl_or_b32 v2, v3, 21, v2
	v_add_u32_e32 v2, 0x38000000, v2
                                        ; implicit-def: $vgpr3
.LBB2_5910:                             ;   in Loop: Header=BB2_5898 Depth=3
	s_andn2_saveexec_b64 s[38:39], s[38:39]
; %bb.5911:                             ;   in Loop: Header=BB2_5898 Depth=3
	v_cmp_gt_i16_sdwa vcc, sext(v8), v48 src0_sel:BYTE_0 src1_sel:DWORD
	v_cndmask_b32_e32 v2, v7, v0, vcc
	v_cmp_eq_u32_e32 vcc, 0, v3
	v_cndmask_b32_e32 v2, v35, v2, vcc
; %bb.5912:                             ;   in Loop: Header=BB2_5898 Depth=3
	s_or_b64 exec, exec, s[38:39]
.LBB2_5913:                             ;   in Loop: Header=BB2_5898 Depth=3
	s_or_b64 exec, exec, s[42:43]
.LBB2_5914:                             ;   in Loop: Header=BB2_5898 Depth=3
	s_or_b64 exec, exec, s[40:41]
	v_mul_f32_e32 v2, v23, v2
	v_and_b32_e32 v3, 0x7f800000, v2
	v_mov_b32_e32 v4, v29
	v_cmp_ne_u64_e32 vcc, s[76:77], v[3:4]
	v_and_b32_e32 v28, 0x7fffff, v2
                                        ; implicit-def: $vgpr14
	s_and_saveexec_b64 s[40:41], vcc
	s_xor_b64 s[42:43], exec, s[40:41]
	s_cbranch_execz .LBB2_5928
; %bb.5915:                             ;   in Loop: Header=BB2_5898 Depth=3
	v_and_b32_e32 v3, 0x7fffffff, v2
	v_mov_b32_e32 v4, v29
	v_cmp_gt_u64_e32 vcc, s[78:79], v[3:4]
	v_and_b32_sdwa v5, v2, s96 dst_sel:DWORD dst_unused:UNUSED_PAD src0_sel:BYTE_3 src1_sel:DWORD
                                        ; implicit-def: $vgpr14
	s_and_saveexec_b64 s[40:41], vcc
	s_xor_b64 s[38:39], exec, s[40:41]
	s_cbranch_execz .LBB2_5925
; %bb.5916:                             ;   in Loop: Header=BB2_5898 Depth=3
	v_mov_b32_e32 v14, 0
	v_cmp_ne_u32_e32 vcc, 0, v2
	s_and_saveexec_b64 s[48:49], vcc
	s_cbranch_execz .LBB2_5924
; %bb.5917:                             ;   in Loop: Header=BB2_5898 Depth=3
	v_bfe_u32 v14, v2, 23, 8
	v_cmp_gt_u32_e64 s[40:41], s46, v14
	v_sub_u32_e32 v2, 0x71, v14
	v_cmp_eq_u32_e32 vcc, 0, v14
	v_cndmask_b32_e64 v2, 0, v2, s[40:41]
	v_mov_b32_e32 v4, 0x70
	v_cndmask_b32_e32 v15, v2, v4, vcc
	v_add_u32_e32 v4, 21, v15
	v_or_b32_e32 v3, 0x800000, v28
	v_lshlrev_b64 v[17:18], v4, -1
	v_cndmask_b32_e32 v2, v3, v28, vcc
	v_mov_b32_e32 v3, v29
	v_add_u32_e32 v4, 20, v15
	v_bfi_b32 v17, v17, 0, v2
	v_lshlrev_b64 v[30:31], v4, 1
	v_lshrrev_b64 v[2:3], v15, v[2:3]
	v_bfi_b32 v18, v18, 0, 0
	v_cmp_eq_u64_e64 s[40:41], v[17:18], v[30:31]
	v_mov_b32_e32 v4, v3
	v_mov_b32_e32 v3, v2
	s_and_saveexec_b64 s[50:51], s[40:41]
; %bb.5918:                             ;   in Loop: Header=BB2_5898 Depth=3
	v_bfe_u32 v3, v2, 21, 1
	v_add_co_u32_e64 v3, s[40:41], v2, v3
	v_add_co_u32_e64 v3, s[40:41], -1, v3
; %bb.5919:                             ;   in Loop: Header=BB2_5898 Depth=3
	s_or_b64 exec, exec, s[50:51]
	v_add_u32_e32 v4, 0xffffff81, v14
	v_cndmask_b32_e32 v4, v4, v1, vcc
	v_lshrrev_b32_e32 v14, 23, v2
	v_add3_u32 v15, v15, v4, v14
	v_add_u32_e32 v14, 14, v15
	v_and_b32_e32 v3, 0x1fffff, v3
	v_add_u32_e32 v28, v3, v2
	v_cmp_ne_u32_e32 vcc, 0, v14
                                        ; implicit-def: $vgpr2_vgpr3
                                        ; implicit-def: $vgpr4
	s_and_saveexec_b64 s[40:41], vcc
	s_xor_b64 s[40:41], exec, s[40:41]
; %bb.5920:                             ;   in Loop: Header=BB2_5898 Depth=3
	v_cmp_lt_u64_e32 vcc, s[88:89], v[28:29]
	v_add_u32_e32 v2, 15, v15
	v_cndmask_b32_e32 v4, v14, v2, vcc
	v_cndmask_b32_e64 v2, 0, 1, vcc
	v_lshrrev_b64 v[2:3], v2, v[28:29]
; %bb.5921:                             ;   in Loop: Header=BB2_5898 Depth=3
	s_andn2_saveexec_b64 s[40:41], s[40:41]
; %bb.5922:                             ;   in Loop: Header=BB2_5898 Depth=3
	v_mov_b32_e32 v2, v28
	v_mov_b32_e32 v3, v29
	v_bfe_u32 v4, v28, 23, 1
; %bb.5923:                             ;   in Loop: Header=BB2_5898 Depth=3
	s_or_b64 exec, exec, s[40:41]
	v_lshrrev_b64 v[2:3], 21, v[2:3]
	v_cmp_gt_i32_e32 vcc, 32, v4
	v_cndmask_b32_e32 v3, 0, v3, vcc
	v_cndmask_b32_e32 v2, 3, v2, vcc
	v_cmp_eq_u64_e64 s[40:41], 0, v[2:3]
	v_min_i32_e32 v3, 31, v4
	v_lshlrev_b32_e32 v3, 2, v3
	v_cmp_eq_u32_e32 vcc, 0, v4
	v_and_b32_e32 v3, 0xfc, v3
	v_and_or_b32 v2, v2, 3, v3
	s_and_b64 s[40:41], vcc, s[40:41]
	v_cndmask_b32_e64 v2, v2, 0, s[40:41]
	v_or_b32_e32 v14, v2, v5
.LBB2_5924:                             ;   in Loop: Header=BB2_5898 Depth=3
	s_or_b64 exec, exec, s[48:49]
                                        ; implicit-def: $vgpr5
.LBB2_5925:                             ;   in Loop: Header=BB2_5898 Depth=3
	s_andn2_saveexec_b64 s[40:41], s[38:39]
; %bb.5926:                             ;   in Loop: Header=BB2_5898 Depth=3
	v_or_b32_e32 v14, 0x7b, v5
; %bb.5927:                             ;   in Loop: Header=BB2_5898 Depth=3
	s_or_b64 exec, exec, s[40:41]
                                        ; implicit-def: $vgpr2
.LBB2_5928:                             ;   in Loop: Header=BB2_5898 Depth=3
	s_andn2_saveexec_b64 s[40:41], s[42:43]
	s_cbranch_execz .LBB2_5934
; %bb.5929:                             ;   in Loop: Header=BB2_5898 Depth=3
	v_cmp_ne_u64_e32 vcc, 0, v[28:29]
                                        ; implicit-def: $vgpr14
	s_and_saveexec_b64 s[42:43], vcc
	s_xor_b64 s[42:43], exec, s[42:43]
; %bb.5930:                             ;   in Loop: Header=BB2_5898 Depth=3
	v_or_b32_sdwa v14, v2, s47 dst_sel:DWORD dst_unused:UNUSED_PAD src0_sel:BYTE_3 src1_sel:DWORD
                                        ; implicit-def: $vgpr2
; %bb.5931:                             ;   in Loop: Header=BB2_5898 Depth=3
	s_andn2_saveexec_b64 s[42:43], s[42:43]
; %bb.5932:                             ;   in Loop: Header=BB2_5898 Depth=3
	v_cmp_lt_i32_e32 vcc, -1, v2
	v_cndmask_b32_e32 v14, v6, v22, vcc
; %bb.5933:                             ;   in Loop: Header=BB2_5898 Depth=3
	s_or_b64 exec, exec, s[42:43]
.LBB2_5934:                             ;   in Loop: Header=BB2_5898 Depth=3
	s_or_b64 exec, exec, s[40:41]
	v_lshrrev_b16_e32 v2, 8, v8
	v_cmp_ne_u16_e32 vcc, 0, v2
	v_mov_b32_e32 v3, 0
	s_and_saveexec_b64 s[40:41], vcc
	s_cbranch_execz .LBB2_5942
; %bb.5935:                             ;   in Loop: Header=BB2_5898 Depth=3
	v_cmp_ne_u16_e32 vcc, s96, v2
	v_bfrev_b32_e32 v3, 1
	s_and_saveexec_b64 s[42:43], vcc
	s_cbranch_execz .LBB2_5941
; %bb.5936:                             ;   in Loop: Header=BB2_5898 Depth=3
	v_and_b32_e32 v3, 0x7c, v2
	v_and_b32_e32 v4, 3, v2
	v_cmp_ne_u32_e32 vcc, s85, v3
                                        ; implicit-def: $vgpr3
	s_and_saveexec_b64 s[38:39], vcc
	s_xor_b64 s[38:39], exec, s[38:39]
	s_cbranch_execz .LBB2_5938
; %bb.5937:                             ;   in Loop: Header=BB2_5898 Depth=3
	v_ffbh_u32_e32 v15, v4
	v_min_u32_e32 v15, 32, v15
	v_mov_b32_e32 v3, v29
	v_subrev_u32_e32 v17, 29, v15
	v_bfe_u32 v5, v2, 2, 5
	v_lshlrev_b64 v[2:3], v17, v[2:3]
	v_cmp_eq_u32_e32 vcc, 0, v5
	v_and_b32_e32 v2, 3, v2
	v_sub_u32_e32 v3, 30, v15
	v_cndmask_b32_e32 v2, v4, v2, vcc
	v_lshlrev_b32_e32 v4, 16, v8
	v_cndmask_b32_e32 v3, v5, v3, vcc
	v_and_b32_e32 v4, 0x80000000, v4
	v_lshl_add_u32 v3, v3, 23, v4
	v_lshl_or_b32 v2, v2, 21, v3
	v_add_u32_e32 v3, 0x38000000, v2
                                        ; implicit-def: $vgpr4
.LBB2_5938:                             ;   in Loop: Header=BB2_5898 Depth=3
	s_andn2_saveexec_b64 s[38:39], s[38:39]
; %bb.5939:                             ;   in Loop: Header=BB2_5898 Depth=3
	v_cmp_lt_i16_e32 vcc, -1, v8
	v_cndmask_b32_e32 v2, v7, v0, vcc
	v_cmp_eq_u32_e32 vcc, 0, v4
	v_cndmask_b32_e32 v3, v35, v2, vcc
; %bb.5940:                             ;   in Loop: Header=BB2_5898 Depth=3
	s_or_b64 exec, exec, s[38:39]
.LBB2_5941:                             ;   in Loop: Header=BB2_5898 Depth=3
	s_or_b64 exec, exec, s[42:43]
.LBB2_5942:                             ;   in Loop: Header=BB2_5898 Depth=3
	s_or_b64 exec, exec, s[40:41]
	v_mul_f32_e32 v2, v23, v3
	v_and_b32_e32 v3, 0x7f800000, v2
	v_mov_b32_e32 v4, v29
	v_cmp_ne_u64_e32 vcc, s[76:77], v[3:4]
	v_and_b32_e32 v28, 0x7fffff, v2
                                        ; implicit-def: $vgpr51
	s_and_saveexec_b64 s[40:41], vcc
	s_xor_b64 s[42:43], exec, s[40:41]
	s_cbranch_execz .LBB2_5956
; %bb.5943:                             ;   in Loop: Header=BB2_5898 Depth=3
	v_and_b32_e32 v3, 0x7fffffff, v2
	v_mov_b32_e32 v4, v29
	v_cmp_gt_u64_e32 vcc, s[78:79], v[3:4]
	v_and_b32_sdwa v5, v2, s96 dst_sel:DWORD dst_unused:UNUSED_PAD src0_sel:BYTE_3 src1_sel:DWORD
                                        ; implicit-def: $vgpr51
	s_and_saveexec_b64 s[40:41], vcc
	s_xor_b64 s[38:39], exec, s[40:41]
	s_cbranch_execz .LBB2_5953
; %bb.5944:                             ;   in Loop: Header=BB2_5898 Depth=3
	v_mov_b32_e32 v51, 0
	v_cmp_ne_u32_e32 vcc, 0, v2
	s_and_saveexec_b64 s[48:49], vcc
	s_cbranch_execz .LBB2_5952
; %bb.5945:                             ;   in Loop: Header=BB2_5898 Depth=3
	v_bfe_u32 v15, v2, 23, 8
	v_cmp_gt_u32_e64 s[40:41], s46, v15
	v_sub_u32_e32 v2, 0x71, v15
	v_cmp_eq_u32_e32 vcc, 0, v15
	v_cndmask_b32_e64 v2, 0, v2, s[40:41]
	v_mov_b32_e32 v4, 0x70
	v_cndmask_b32_e32 v17, v2, v4, vcc
	v_add_u32_e32 v4, 21, v17
	v_or_b32_e32 v3, 0x800000, v28
	v_lshlrev_b64 v[30:31], v4, -1
	v_cndmask_b32_e32 v2, v3, v28, vcc
	v_mov_b32_e32 v3, v29
	v_add_u32_e32 v4, 20, v17
	v_bfi_b32 v30, v30, 0, v2
	v_lshlrev_b64 v[37:38], v4, 1
	v_lshrrev_b64 v[2:3], v17, v[2:3]
	v_bfi_b32 v31, v31, 0, 0
	v_cmp_eq_u64_e64 s[40:41], v[30:31], v[37:38]
	v_mov_b32_e32 v4, v3
	v_mov_b32_e32 v3, v2
	s_and_saveexec_b64 s[50:51], s[40:41]
; %bb.5946:                             ;   in Loop: Header=BB2_5898 Depth=3
	v_bfe_u32 v3, v2, 21, 1
	v_add_co_u32_e64 v3, s[40:41], v2, v3
	v_add_co_u32_e64 v3, s[40:41], -1, v3
; %bb.5947:                             ;   in Loop: Header=BB2_5898 Depth=3
	s_or_b64 exec, exec, s[50:51]
	v_add_u32_e32 v4, 0xffffff81, v15
	v_cndmask_b32_e32 v4, v4, v1, vcc
	v_lshrrev_b32_e32 v15, 23, v2
	v_add3_u32 v17, v17, v4, v15
	v_add_u32_e32 v15, 14, v17
	v_and_b32_e32 v3, 0x1fffff, v3
	v_add_u32_e32 v28, v3, v2
	v_cmp_ne_u32_e32 vcc, 0, v15
                                        ; implicit-def: $vgpr2_vgpr3
                                        ; implicit-def: $vgpr4
	s_and_saveexec_b64 s[40:41], vcc
	s_xor_b64 s[40:41], exec, s[40:41]
; %bb.5948:                             ;   in Loop: Header=BB2_5898 Depth=3
	v_cmp_lt_u64_e32 vcc, s[88:89], v[28:29]
	v_add_u32_e32 v2, 15, v17
	v_cndmask_b32_e32 v4, v15, v2, vcc
	v_cndmask_b32_e64 v2, 0, 1, vcc
	v_lshrrev_b64 v[2:3], v2, v[28:29]
; %bb.5949:                             ;   in Loop: Header=BB2_5898 Depth=3
	s_andn2_saveexec_b64 s[40:41], s[40:41]
; %bb.5950:                             ;   in Loop: Header=BB2_5898 Depth=3
	v_mov_b32_e32 v2, v28
	v_mov_b32_e32 v3, v29
	v_bfe_u32 v4, v28, 23, 1
; %bb.5951:                             ;   in Loop: Header=BB2_5898 Depth=3
	s_or_b64 exec, exec, s[40:41]
	v_lshrrev_b64 v[2:3], 21, v[2:3]
	v_cmp_gt_i32_e32 vcc, 32, v4
	v_cndmask_b32_e32 v3, 0, v3, vcc
	v_cndmask_b32_e32 v2, 3, v2, vcc
	v_cmp_eq_u64_e64 s[40:41], 0, v[2:3]
	v_min_i32_e32 v3, 31, v4
	v_lshlrev_b32_e32 v3, 2, v3
	v_cmp_eq_u32_e32 vcc, 0, v4
	v_and_b32_e32 v3, 0xfc, v3
	v_and_or_b32 v2, v2, 3, v3
	s_and_b64 s[40:41], vcc, s[40:41]
	v_cndmask_b32_e64 v2, v2, 0, s[40:41]
	v_or_b32_e32 v51, v2, v5
.LBB2_5952:                             ;   in Loop: Header=BB2_5898 Depth=3
	s_or_b64 exec, exec, s[48:49]
                                        ; implicit-def: $vgpr5
.LBB2_5953:                             ;   in Loop: Header=BB2_5898 Depth=3
	s_andn2_saveexec_b64 s[40:41], s[38:39]
; %bb.5954:                             ;   in Loop: Header=BB2_5898 Depth=3
	v_or_b32_e32 v51, 0x7b, v5
; %bb.5955:                             ;   in Loop: Header=BB2_5898 Depth=3
	s_or_b64 exec, exec, s[40:41]
                                        ; implicit-def: $vgpr2
.LBB2_5956:                             ;   in Loop: Header=BB2_5898 Depth=3
	s_andn2_saveexec_b64 s[40:41], s[42:43]
	s_cbranch_execz .LBB2_5962
; %bb.5957:                             ;   in Loop: Header=BB2_5898 Depth=3
	v_cmp_ne_u64_e32 vcc, 0, v[28:29]
                                        ; implicit-def: $vgpr51
	s_and_saveexec_b64 s[42:43], vcc
	s_xor_b64 s[42:43], exec, s[42:43]
; %bb.5958:                             ;   in Loop: Header=BB2_5898 Depth=3
	v_or_b32_sdwa v51, v2, s47 dst_sel:DWORD dst_unused:UNUSED_PAD src0_sel:BYTE_3 src1_sel:DWORD
                                        ; implicit-def: $vgpr2
; %bb.5959:                             ;   in Loop: Header=BB2_5898 Depth=3
	s_andn2_saveexec_b64 s[42:43], s[42:43]
; %bb.5960:                             ;   in Loop: Header=BB2_5898 Depth=3
	v_cmp_lt_i32_e32 vcc, -1, v2
	v_cndmask_b32_e32 v51, v6, v22, vcc
; %bb.5961:                             ;   in Loop: Header=BB2_5898 Depth=3
	s_or_b64 exec, exec, s[42:43]
.LBB2_5962:                             ;   in Loop: Header=BB2_5898 Depth=3
	s_or_b64 exec, exec, s[40:41]
	v_lshrrev_b32_e32 v2, 16, v8
	v_cmp_ne_u16_sdwa s[42:43], v2, v29 src0_sel:BYTE_0 src1_sel:DWORD
	v_mov_b32_e32 v3, 0
	s_and_saveexec_b64 s[40:41], s[42:43]
	s_cbranch_execz .LBB2_5970
; %bb.5963:                             ;   in Loop: Header=BB2_5898 Depth=3
	v_cmp_ne_u16_sdwa vcc, v2, s96 src0_sel:BYTE_0 src1_sel:DWORD
	v_bfrev_b32_e32 v3, 1
	s_and_saveexec_b64 s[42:43], vcc
	s_cbranch_execz .LBB2_5969
; %bb.5964:                             ;   in Loop: Header=BB2_5898 Depth=3
	v_and_b32_e32 v3, 0x7c0000, v8
	v_bfe_u32 v4, v8, 16, 2
	v_cmp_ne_u32_e32 vcc, s44, v3
                                        ; implicit-def: $vgpr3
	s_and_saveexec_b64 s[38:39], vcc
	s_xor_b64 s[38:39], exec, s[38:39]
	s_cbranch_execz .LBB2_5966
; %bb.5965:                             ;   in Loop: Header=BB2_5898 Depth=3
	v_ffbh_u32_e32 v3, v4
	v_min_u32_e32 v15, 32, v3
	v_subrev_u32_e32 v3, 29, v15
	v_lshlrev_b64 v[2:3], v3, v[2:3]
	v_bfe_u32 v5, v8, 18, 5
	v_and_b32_e32 v2, 3, v2
	v_cmp_eq_u32_e32 vcc, 0, v5
	v_sub_u32_e32 v3, 30, v15
	v_cndmask_b32_e32 v2, v4, v2, vcc
	v_lshlrev_b32_e32 v4, 8, v8
	v_cndmask_b32_e32 v3, v5, v3, vcc
	v_and_b32_e32 v4, 0x80000000, v4
	v_lshl_add_u32 v3, v3, 23, v4
	v_lshl_or_b32 v2, v2, 21, v3
	v_add_u32_e32 v3, 0x38000000, v2
                                        ; implicit-def: $vgpr4
                                        ; implicit-def: $vgpr2
.LBB2_5966:                             ;   in Loop: Header=BB2_5898 Depth=3
	s_andn2_saveexec_b64 s[38:39], s[38:39]
; %bb.5967:                             ;   in Loop: Header=BB2_5898 Depth=3
	v_cmp_gt_i16_sdwa vcc, sext(v2), v48 src0_sel:BYTE_0 src1_sel:DWORD
	v_cndmask_b32_e32 v2, v7, v0, vcc
	v_cmp_eq_u32_e32 vcc, 0, v4
	v_cndmask_b32_e32 v3, v35, v2, vcc
; %bb.5968:                             ;   in Loop: Header=BB2_5898 Depth=3
	s_or_b64 exec, exec, s[38:39]
.LBB2_5969:                             ;   in Loop: Header=BB2_5898 Depth=3
	s_or_b64 exec, exec, s[42:43]
.LBB2_5970:                             ;   in Loop: Header=BB2_5898 Depth=3
	s_or_b64 exec, exec, s[40:41]
	v_mul_f32_e32 v2, v23, v3
	v_and_b32_e32 v3, 0x7f800000, v2
	v_mov_b32_e32 v4, v29
	v_cmp_ne_u64_e32 vcc, s[76:77], v[3:4]
	v_and_b32_e32 v28, 0x7fffff, v2
                                        ; implicit-def: $vgpr54
	s_and_saveexec_b64 s[40:41], vcc
	s_xor_b64 s[42:43], exec, s[40:41]
	s_cbranch_execz .LBB2_5984
; %bb.5971:                             ;   in Loop: Header=BB2_5898 Depth=3
	v_and_b32_e32 v3, 0x7fffffff, v2
	v_mov_b32_e32 v4, v29
	v_cmp_gt_u64_e32 vcc, s[78:79], v[3:4]
	v_and_b32_sdwa v5, v2, s96 dst_sel:DWORD dst_unused:UNUSED_PAD src0_sel:BYTE_3 src1_sel:DWORD
                                        ; implicit-def: $vgpr54
	s_and_saveexec_b64 s[40:41], vcc
	s_xor_b64 s[38:39], exec, s[40:41]
	s_cbranch_execz .LBB2_5981
; %bb.5972:                             ;   in Loop: Header=BB2_5898 Depth=3
	v_mov_b32_e32 v54, 0
	v_cmp_ne_u32_e32 vcc, 0, v2
	s_and_saveexec_b64 s[48:49], vcc
	s_cbranch_execz .LBB2_5980
; %bb.5973:                             ;   in Loop: Header=BB2_5898 Depth=3
	v_bfe_u32 v15, v2, 23, 8
	v_cmp_gt_u32_e64 s[40:41], s46, v15
	v_sub_u32_e32 v2, 0x71, v15
	v_cmp_eq_u32_e32 vcc, 0, v15
	v_cndmask_b32_e64 v2, 0, v2, s[40:41]
	v_mov_b32_e32 v4, 0x70
	v_cndmask_b32_e32 v17, v2, v4, vcc
	v_add_u32_e32 v4, 21, v17
	v_or_b32_e32 v3, 0x800000, v28
	v_lshlrev_b64 v[30:31], v4, -1
	v_cndmask_b32_e32 v2, v3, v28, vcc
	v_mov_b32_e32 v3, v29
	v_add_u32_e32 v4, 20, v17
	v_bfi_b32 v30, v30, 0, v2
	v_lshlrev_b64 v[37:38], v4, 1
	v_lshrrev_b64 v[2:3], v17, v[2:3]
	v_bfi_b32 v31, v31, 0, 0
	v_cmp_eq_u64_e64 s[40:41], v[30:31], v[37:38]
	v_mov_b32_e32 v4, v3
	v_mov_b32_e32 v3, v2
	s_and_saveexec_b64 s[50:51], s[40:41]
; %bb.5974:                             ;   in Loop: Header=BB2_5898 Depth=3
	v_bfe_u32 v3, v2, 21, 1
	v_add_co_u32_e64 v3, s[40:41], v2, v3
	v_add_co_u32_e64 v3, s[40:41], -1, v3
; %bb.5975:                             ;   in Loop: Header=BB2_5898 Depth=3
	s_or_b64 exec, exec, s[50:51]
	v_add_u32_e32 v4, 0xffffff81, v15
	v_cndmask_b32_e32 v4, v4, v1, vcc
	v_lshrrev_b32_e32 v15, 23, v2
	v_add3_u32 v17, v17, v4, v15
	v_add_u32_e32 v15, 14, v17
	v_and_b32_e32 v3, 0x1fffff, v3
	v_add_u32_e32 v28, v3, v2
	v_cmp_ne_u32_e32 vcc, 0, v15
                                        ; implicit-def: $vgpr2_vgpr3
                                        ; implicit-def: $vgpr4
	s_and_saveexec_b64 s[40:41], vcc
	s_xor_b64 s[40:41], exec, s[40:41]
; %bb.5976:                             ;   in Loop: Header=BB2_5898 Depth=3
	v_cmp_lt_u64_e32 vcc, s[88:89], v[28:29]
	v_add_u32_e32 v2, 15, v17
	v_cndmask_b32_e32 v4, v15, v2, vcc
	v_cndmask_b32_e64 v2, 0, 1, vcc
	v_lshrrev_b64 v[2:3], v2, v[28:29]
; %bb.5977:                             ;   in Loop: Header=BB2_5898 Depth=3
	s_andn2_saveexec_b64 s[40:41], s[40:41]
; %bb.5978:                             ;   in Loop: Header=BB2_5898 Depth=3
	v_mov_b32_e32 v2, v28
	v_mov_b32_e32 v3, v29
	v_bfe_u32 v4, v28, 23, 1
; %bb.5979:                             ;   in Loop: Header=BB2_5898 Depth=3
	s_or_b64 exec, exec, s[40:41]
	v_lshrrev_b64 v[2:3], 21, v[2:3]
	v_cmp_gt_i32_e32 vcc, 32, v4
	v_cndmask_b32_e32 v3, 0, v3, vcc
	v_cndmask_b32_e32 v2, 3, v2, vcc
	v_cmp_eq_u64_e64 s[40:41], 0, v[2:3]
	v_min_i32_e32 v3, 31, v4
	v_lshlrev_b32_e32 v3, 2, v3
	v_cmp_eq_u32_e32 vcc, 0, v4
	v_and_b32_e32 v3, 0xfc, v3
	v_and_or_b32 v2, v2, 3, v3
	s_and_b64 s[40:41], vcc, s[40:41]
	v_cndmask_b32_e64 v2, v2, 0, s[40:41]
	v_or_b32_e32 v54, v2, v5
.LBB2_5980:                             ;   in Loop: Header=BB2_5898 Depth=3
	s_or_b64 exec, exec, s[48:49]
                                        ; implicit-def: $vgpr5
.LBB2_5981:                             ;   in Loop: Header=BB2_5898 Depth=3
	s_andn2_saveexec_b64 s[40:41], s[38:39]
; %bb.5982:                             ;   in Loop: Header=BB2_5898 Depth=3
	v_or_b32_e32 v54, 0x7b, v5
; %bb.5983:                             ;   in Loop: Header=BB2_5898 Depth=3
	s_or_b64 exec, exec, s[40:41]
                                        ; implicit-def: $vgpr2
.LBB2_5984:                             ;   in Loop: Header=BB2_5898 Depth=3
	s_andn2_saveexec_b64 s[40:41], s[42:43]
	s_cbranch_execz .LBB2_5990
; %bb.5985:                             ;   in Loop: Header=BB2_5898 Depth=3
	v_cmp_ne_u64_e32 vcc, 0, v[28:29]
                                        ; implicit-def: $vgpr54
	s_and_saveexec_b64 s[42:43], vcc
	s_xor_b64 s[42:43], exec, s[42:43]
; %bb.5986:                             ;   in Loop: Header=BB2_5898 Depth=3
	v_or_b32_sdwa v54, v2, s47 dst_sel:DWORD dst_unused:UNUSED_PAD src0_sel:BYTE_3 src1_sel:DWORD
                                        ; implicit-def: $vgpr2
; %bb.5987:                             ;   in Loop: Header=BB2_5898 Depth=3
	s_andn2_saveexec_b64 s[42:43], s[42:43]
; %bb.5988:                             ;   in Loop: Header=BB2_5898 Depth=3
	v_cmp_lt_i32_e32 vcc, -1, v2
	v_cndmask_b32_e32 v54, v6, v22, vcc
; %bb.5989:                             ;   in Loop: Header=BB2_5898 Depth=3
	s_or_b64 exec, exec, s[42:43]
.LBB2_5990:                             ;   in Loop: Header=BB2_5898 Depth=3
	s_or_b64 exec, exec, s[40:41]
	v_cmp_lt_u32_e32 vcc, s57, v8
	v_mov_b32_e32 v3, 0
	s_and_saveexec_b64 s[40:41], vcc
	s_cbranch_execz .LBB2_5998
; %bb.5991:                             ;   in Loop: Header=BB2_5898 Depth=3
	v_lshrrev_b32_e32 v2, 24, v8
	v_cmp_ne_u32_e32 vcc, s96, v2
	v_bfrev_b32_e32 v3, 1
	s_and_saveexec_b64 s[42:43], vcc
	s_cbranch_execz .LBB2_5997
; %bb.5992:                             ;   in Loop: Header=BB2_5898 Depth=3
	v_and_b32_e32 v3, 0x7c000000, v8
	v_bfe_u32 v4, v8, 24, 2
	v_cmp_ne_u32_e32 vcc, s45, v3
                                        ; implicit-def: $vgpr3
	s_and_saveexec_b64 s[38:39], vcc
	s_xor_b64 s[38:39], exec, s[38:39]
	s_cbranch_execz .LBB2_5994
; %bb.5993:                             ;   in Loop: Header=BB2_5898 Depth=3
	v_ffbh_u32_e32 v3, v4
	v_min_u32_e32 v15, 32, v3
	v_subrev_u32_e32 v3, 29, v15
	v_lshlrev_b64 v[2:3], v3, v[2:3]
	v_bfe_u32 v5, v8, 26, 5
	v_sub_u32_e32 v3, 30, v15
	v_and_b32_e32 v2, 3, v2
	v_cmp_eq_u32_e32 vcc, 0, v5
	v_cndmask_b32_e32 v3, v5, v3, vcc
	v_cndmask_b32_e32 v2, v4, v2, vcc
	v_and_b32_e32 v4, 0x80000000, v8
	v_lshl_add_u32 v3, v3, 23, v4
	v_lshl_or_b32 v2, v2, 21, v3
	v_add_u32_e32 v3, 0x38000000, v2
                                        ; implicit-def: $vgpr4
.LBB2_5994:                             ;   in Loop: Header=BB2_5898 Depth=3
	s_andn2_saveexec_b64 s[38:39], s[38:39]
; %bb.5995:                             ;   in Loop: Header=BB2_5898 Depth=3
	v_cmp_lt_i32_e32 vcc, -1, v8
	v_cndmask_b32_e32 v2, v7, v0, vcc
	v_cmp_eq_u32_e32 vcc, 0, v4
	v_cndmask_b32_e32 v3, v35, v2, vcc
; %bb.5996:                             ;   in Loop: Header=BB2_5898 Depth=3
	s_or_b64 exec, exec, s[38:39]
.LBB2_5997:                             ;   in Loop: Header=BB2_5898 Depth=3
	s_or_b64 exec, exec, s[42:43]
.LBB2_5998:                             ;   in Loop: Header=BB2_5898 Depth=3
	s_or_b64 exec, exec, s[40:41]
	v_mul_f32_e32 v2, v23, v3
	v_and_b32_e32 v3, 0x7f800000, v2
	v_mov_b32_e32 v4, v29
	v_cmp_ne_u64_e32 vcc, s[76:77], v[3:4]
	v_and_b32_e32 v28, 0x7fffff, v2
                                        ; implicit-def: $vgpr61
	s_and_saveexec_b64 s[40:41], vcc
	s_xor_b64 s[42:43], exec, s[40:41]
	s_cbranch_execz .LBB2_6012
; %bb.5999:                             ;   in Loop: Header=BB2_5898 Depth=3
	v_and_b32_e32 v3, 0x7fffffff, v2
	v_mov_b32_e32 v4, v29
	v_cmp_gt_u64_e32 vcc, s[78:79], v[3:4]
	v_and_b32_sdwa v5, v2, s96 dst_sel:DWORD dst_unused:UNUSED_PAD src0_sel:BYTE_3 src1_sel:DWORD
                                        ; implicit-def: $vgpr61
	s_and_saveexec_b64 s[40:41], vcc
	s_xor_b64 s[38:39], exec, s[40:41]
	s_cbranch_execz .LBB2_6009
; %bb.6000:                             ;   in Loop: Header=BB2_5898 Depth=3
	v_mov_b32_e32 v61, 0
	v_cmp_ne_u32_e32 vcc, 0, v2
	s_and_saveexec_b64 s[48:49], vcc
	s_cbranch_execz .LBB2_6008
; %bb.6001:                             ;   in Loop: Header=BB2_5898 Depth=3
	v_bfe_u32 v15, v2, 23, 8
	v_cmp_gt_u32_e64 s[40:41], s46, v15
	v_sub_u32_e32 v2, 0x71, v15
	v_cmp_eq_u32_e32 vcc, 0, v15
	v_cndmask_b32_e64 v2, 0, v2, s[40:41]
	v_mov_b32_e32 v4, 0x70
	v_cndmask_b32_e32 v17, v2, v4, vcc
	v_add_u32_e32 v4, 21, v17
	v_or_b32_e32 v3, 0x800000, v28
	v_lshlrev_b64 v[30:31], v4, -1
	v_cndmask_b32_e32 v2, v3, v28, vcc
	v_mov_b32_e32 v3, v29
	v_add_u32_e32 v4, 20, v17
	v_bfi_b32 v30, v30, 0, v2
	v_lshlrev_b64 v[37:38], v4, 1
	v_lshrrev_b64 v[2:3], v17, v[2:3]
	v_bfi_b32 v31, v31, 0, 0
	v_cmp_eq_u64_e64 s[40:41], v[30:31], v[37:38]
	v_mov_b32_e32 v4, v3
	v_mov_b32_e32 v3, v2
	s_and_saveexec_b64 s[50:51], s[40:41]
; %bb.6002:                             ;   in Loop: Header=BB2_5898 Depth=3
	v_bfe_u32 v3, v2, 21, 1
	v_add_co_u32_e64 v3, s[40:41], v2, v3
	v_add_co_u32_e64 v3, s[40:41], -1, v3
; %bb.6003:                             ;   in Loop: Header=BB2_5898 Depth=3
	s_or_b64 exec, exec, s[50:51]
	v_add_u32_e32 v4, 0xffffff81, v15
	v_cndmask_b32_e32 v4, v4, v1, vcc
	v_lshrrev_b32_e32 v15, 23, v2
	v_add3_u32 v17, v17, v4, v15
	v_add_u32_e32 v15, 14, v17
	v_and_b32_e32 v3, 0x1fffff, v3
	v_add_u32_e32 v28, v3, v2
	v_cmp_ne_u32_e32 vcc, 0, v15
                                        ; implicit-def: $vgpr2_vgpr3
                                        ; implicit-def: $vgpr4
	s_and_saveexec_b64 s[40:41], vcc
	s_xor_b64 s[40:41], exec, s[40:41]
; %bb.6004:                             ;   in Loop: Header=BB2_5898 Depth=3
	v_cmp_lt_u64_e32 vcc, s[88:89], v[28:29]
	v_add_u32_e32 v2, 15, v17
	v_cndmask_b32_e32 v4, v15, v2, vcc
	v_cndmask_b32_e64 v2, 0, 1, vcc
	v_lshrrev_b64 v[2:3], v2, v[28:29]
; %bb.6005:                             ;   in Loop: Header=BB2_5898 Depth=3
	s_andn2_saveexec_b64 s[40:41], s[40:41]
; %bb.6006:                             ;   in Loop: Header=BB2_5898 Depth=3
	v_mov_b32_e32 v2, v28
	v_mov_b32_e32 v3, v29
	v_bfe_u32 v4, v28, 23, 1
; %bb.6007:                             ;   in Loop: Header=BB2_5898 Depth=3
	s_or_b64 exec, exec, s[40:41]
	v_lshrrev_b64 v[2:3], 21, v[2:3]
	v_cmp_gt_i32_e32 vcc, 32, v4
	v_cndmask_b32_e32 v3, 0, v3, vcc
	v_cndmask_b32_e32 v2, 3, v2, vcc
	v_cmp_eq_u64_e64 s[40:41], 0, v[2:3]
	v_min_i32_e32 v3, 31, v4
	v_lshlrev_b32_e32 v3, 2, v3
	v_cmp_eq_u32_e32 vcc, 0, v4
	v_and_b32_e32 v3, 0xfc, v3
	v_and_or_b32 v2, v2, 3, v3
	s_and_b64 s[40:41], vcc, s[40:41]
	v_cndmask_b32_e64 v2, v2, 0, s[40:41]
	v_or_b32_e32 v61, v2, v5
.LBB2_6008:                             ;   in Loop: Header=BB2_5898 Depth=3
	s_or_b64 exec, exec, s[48:49]
                                        ; implicit-def: $vgpr5
.LBB2_6009:                             ;   in Loop: Header=BB2_5898 Depth=3
	s_andn2_saveexec_b64 s[40:41], s[38:39]
; %bb.6010:                             ;   in Loop: Header=BB2_5898 Depth=3
	v_or_b32_e32 v61, 0x7b, v5
; %bb.6011:                             ;   in Loop: Header=BB2_5898 Depth=3
	s_or_b64 exec, exec, s[40:41]
                                        ; implicit-def: $vgpr2
.LBB2_6012:                             ;   in Loop: Header=BB2_5898 Depth=3
	s_andn2_saveexec_b64 s[40:41], s[42:43]
	s_cbranch_execz .LBB2_6018
; %bb.6013:                             ;   in Loop: Header=BB2_5898 Depth=3
	v_cmp_ne_u64_e32 vcc, 0, v[28:29]
                                        ; implicit-def: $vgpr61
	s_and_saveexec_b64 s[42:43], vcc
	s_xor_b64 s[42:43], exec, s[42:43]
; %bb.6014:                             ;   in Loop: Header=BB2_5898 Depth=3
	v_or_b32_sdwa v61, v2, s47 dst_sel:DWORD dst_unused:UNUSED_PAD src0_sel:BYTE_3 src1_sel:DWORD
                                        ; implicit-def: $vgpr2
; %bb.6015:                             ;   in Loop: Header=BB2_5898 Depth=3
	s_andn2_saveexec_b64 s[42:43], s[42:43]
; %bb.6016:                             ;   in Loop: Header=BB2_5898 Depth=3
	v_cmp_lt_i32_e32 vcc, -1, v2
	v_cndmask_b32_e32 v61, v6, v22, vcc
; %bb.6017:                             ;   in Loop: Header=BB2_5898 Depth=3
	s_or_b64 exec, exec, s[42:43]
.LBB2_6018:                             ;   in Loop: Header=BB2_5898 Depth=3
	s_or_b64 exec, exec, s[40:41]
	v_mov_b32_e32 v28, v9
	v_cmp_ne_u16_sdwa s[42:43], v9, v29 src0_sel:BYTE_0 src1_sel:DWORD
	v_mov_b32_e32 v2, 0
	s_and_saveexec_b64 s[40:41], s[42:43]
	s_cbranch_execz .LBB2_6026
; %bb.6019:                             ;   in Loop: Header=BB2_5898 Depth=3
	v_cmp_ne_u16_sdwa vcc, v9, s96 src0_sel:BYTE_0 src1_sel:DWORD
	v_bfrev_b32_e32 v2, 1
	s_and_saveexec_b64 s[42:43], vcc
	s_cbranch_execz .LBB2_6025
; %bb.6020:                             ;   in Loop: Header=BB2_5898 Depth=3
	v_and_b32_e32 v2, 0x7c, v9
	v_and_b32_e32 v3, 3, v9
	v_cmp_ne_u32_e32 vcc, s85, v2
                                        ; implicit-def: $vgpr2
	s_and_saveexec_b64 s[38:39], vcc
	s_xor_b64 s[38:39], exec, s[38:39]
	s_cbranch_execz .LBB2_6022
; %bb.6021:                             ;   in Loop: Header=BB2_5898 Depth=3
	v_ffbh_u32_e32 v4, v3
	v_min_u32_e32 v15, 32, v4
	v_subrev_u32_e32 v4, 29, v15
	v_lshlrev_b64 v[4:5], v4, v[28:29]
	v_bfe_u32 v2, v9, 2, 5
	v_and_b32_e32 v4, 3, v4
	v_cmp_eq_u32_e32 vcc, 0, v2
	v_sub_u32_e32 v5, 30, v15
	v_cndmask_b32_e32 v3, v3, v4, vcc
	v_lshlrev_b32_e32 v4, 24, v9
	v_cndmask_b32_e32 v2, v2, v5, vcc
	v_and_b32_e32 v4, 0x80000000, v4
	v_lshl_add_u32 v2, v2, 23, v4
	v_lshl_or_b32 v2, v3, 21, v2
	v_add_u32_e32 v2, 0x38000000, v2
                                        ; implicit-def: $vgpr3
.LBB2_6022:                             ;   in Loop: Header=BB2_5898 Depth=3
	s_andn2_saveexec_b64 s[38:39], s[38:39]
; %bb.6023:                             ;   in Loop: Header=BB2_5898 Depth=3
	v_cmp_gt_i16_sdwa vcc, sext(v9), v48 src0_sel:BYTE_0 src1_sel:DWORD
	v_cndmask_b32_e32 v2, v7, v0, vcc
	v_cmp_eq_u32_e32 vcc, 0, v3
	v_cndmask_b32_e32 v2, v35, v2, vcc
; %bb.6024:                             ;   in Loop: Header=BB2_5898 Depth=3
	s_or_b64 exec, exec, s[38:39]
.LBB2_6025:                             ;   in Loop: Header=BB2_5898 Depth=3
	s_or_b64 exec, exec, s[42:43]
.LBB2_6026:                             ;   in Loop: Header=BB2_5898 Depth=3
	s_or_b64 exec, exec, s[40:41]
	v_mul_f32_e32 v4, v23, v2
	v_and_b32_e32 v17, 0x7f800000, v4
	v_mov_b32_e32 v18, v29
	v_cmp_ne_u64_e32 vcc, s[76:77], v[17:18]
	v_and_b32_e32 v2, 0x7fffff, v4
	v_mov_b32_e32 v3, v29
                                        ; implicit-def: $vgpr5
	s_and_saveexec_b64 s[40:41], vcc
	s_xor_b64 s[42:43], exec, s[40:41]
	s_cbranch_execz .LBB2_6040
; %bb.6027:                             ;   in Loop: Header=BB2_5898 Depth=3
	v_and_b32_e32 v17, 0x7fffffff, v4
	v_mov_b32_e32 v18, v29
	v_cmp_gt_u64_e32 vcc, s[78:79], v[17:18]
	v_and_b32_sdwa v15, v4, s96 dst_sel:DWORD dst_unused:UNUSED_PAD src0_sel:BYTE_3 src1_sel:DWORD
                                        ; implicit-def: $vgpr5
	s_and_saveexec_b64 s[40:41], vcc
	s_xor_b64 s[38:39], exec, s[40:41]
	s_cbranch_execz .LBB2_6037
; %bb.6028:                             ;   in Loop: Header=BB2_5898 Depth=3
	v_mov_b32_e32 v5, 0
	v_cmp_ne_u32_e32 vcc, 0, v4
	s_and_saveexec_b64 s[48:49], vcc
	s_cbranch_execz .LBB2_6036
; %bb.6029:                             ;   in Loop: Header=BB2_5898 Depth=3
	v_bfe_u32 v5, v4, 23, 8
	v_cmp_gt_u32_e64 s[40:41], s46, v5
	v_sub_u32_e32 v4, 0x71, v5
	v_cmp_eq_u32_e32 vcc, 0, v5
	v_cndmask_b32_e64 v4, 0, v4, s[40:41]
	v_mov_b32_e32 v17, 0x70
	v_cndmask_b32_e32 v17, v4, v17, vcc
	v_add_u32_e32 v4, 21, v17
	v_or_b32_e32 v18, 0x800000, v2
	v_lshlrev_b64 v[30:31], v4, -1
	v_cndmask_b32_e32 v2, v18, v2, vcc
	v_add_u32_e32 v4, 20, v17
	v_bfi_b32 v30, v30, 0, v2
	v_lshlrev_b64 v[37:38], v4, 1
	v_lshrrev_b64 v[2:3], v17, v[2:3]
	v_bfi_b32 v31, v31, 0, 0
	v_cmp_eq_u64_e64 s[40:41], v[30:31], v[37:38]
	v_mov_b32_e32 v4, v3
	v_mov_b32_e32 v3, v2
	s_and_saveexec_b64 s[50:51], s[40:41]
; %bb.6030:                             ;   in Loop: Header=BB2_5898 Depth=3
	v_bfe_u32 v3, v2, 21, 1
	v_add_co_u32_e64 v3, s[40:41], v2, v3
	v_add_co_u32_e64 v3, s[40:41], -1, v3
; %bb.6031:                             ;   in Loop: Header=BB2_5898 Depth=3
	s_or_b64 exec, exec, s[50:51]
	v_add_u32_e32 v4, 0xffffff81, v5
	v_cndmask_b32_e32 v4, v4, v1, vcc
	v_lshrrev_b32_e32 v5, 23, v2
	v_add3_u32 v17, v17, v4, v5
	v_add_u32_e32 v5, 14, v17
	v_and_b32_e32 v3, 0x1fffff, v3
	v_add_u32_e32 v2, v3, v2
	v_mov_b32_e32 v3, v29
	v_cmp_ne_u32_e32 vcc, 0, v5
                                        ; implicit-def: $vgpr4
	s_and_saveexec_b64 s[40:41], vcc
	s_xor_b64 s[40:41], exec, s[40:41]
; %bb.6032:                             ;   in Loop: Header=BB2_5898 Depth=3
	v_cmp_lt_u64_e32 vcc, s[88:89], v[2:3]
	v_add_u32_e32 v4, 15, v17
	v_cndmask_b32_e32 v4, v5, v4, vcc
	v_cndmask_b32_e64 v5, 0, 1, vcc
	v_lshrrev_b64 v[2:3], v5, v[2:3]
; %bb.6033:                             ;   in Loop: Header=BB2_5898 Depth=3
	s_andn2_saveexec_b64 s[40:41], s[40:41]
; %bb.6034:                             ;   in Loop: Header=BB2_5898 Depth=3
	v_bfe_u32 v4, v2, 23, 1
; %bb.6035:                             ;   in Loop: Header=BB2_5898 Depth=3
	s_or_b64 exec, exec, s[40:41]
	v_lshrrev_b64 v[2:3], 21, v[2:3]
	v_cmp_gt_i32_e32 vcc, 32, v4
	v_cndmask_b32_e32 v3, 0, v3, vcc
	v_cndmask_b32_e32 v2, 3, v2, vcc
	v_cmp_eq_u64_e64 s[40:41], 0, v[2:3]
	v_min_i32_e32 v3, 31, v4
	v_lshlrev_b32_e32 v3, 2, v3
	v_cmp_eq_u32_e32 vcc, 0, v4
	v_and_b32_e32 v3, 0xfc, v3
	v_and_or_b32 v2, v2, 3, v3
	s_and_b64 s[40:41], vcc, s[40:41]
	v_cndmask_b32_e64 v2, v2, 0, s[40:41]
	v_or_b32_e32 v5, v2, v15
.LBB2_6036:                             ;   in Loop: Header=BB2_5898 Depth=3
	s_or_b64 exec, exec, s[48:49]
                                        ; implicit-def: $vgpr15
.LBB2_6037:                             ;   in Loop: Header=BB2_5898 Depth=3
	s_andn2_saveexec_b64 s[40:41], s[38:39]
; %bb.6038:                             ;   in Loop: Header=BB2_5898 Depth=3
	v_or_b32_e32 v5, 0x7b, v15
; %bb.6039:                             ;   in Loop: Header=BB2_5898 Depth=3
	s_or_b64 exec, exec, s[40:41]
                                        ; implicit-def: $vgpr4
                                        ; implicit-def: $vgpr2_vgpr3
.LBB2_6040:                             ;   in Loop: Header=BB2_5898 Depth=3
	s_andn2_saveexec_b64 s[40:41], s[42:43]
	s_cbranch_execz .LBB2_6046
; %bb.6041:                             ;   in Loop: Header=BB2_5898 Depth=3
	v_cmp_ne_u64_e32 vcc, 0, v[2:3]
                                        ; implicit-def: $vgpr5
	s_and_saveexec_b64 s[42:43], vcc
	s_xor_b64 s[42:43], exec, s[42:43]
; %bb.6042:                             ;   in Loop: Header=BB2_5898 Depth=3
	v_or_b32_sdwa v5, v4, s47 dst_sel:DWORD dst_unused:UNUSED_PAD src0_sel:BYTE_3 src1_sel:DWORD
                                        ; implicit-def: $vgpr4
; %bb.6043:                             ;   in Loop: Header=BB2_5898 Depth=3
	s_andn2_saveexec_b64 s[42:43], s[42:43]
; %bb.6044:                             ;   in Loop: Header=BB2_5898 Depth=3
	v_cmp_lt_i32_e32 vcc, -1, v4
	v_cndmask_b32_e32 v5, v6, v22, vcc
; %bb.6045:                             ;   in Loop: Header=BB2_5898 Depth=3
	s_or_b64 exec, exec, s[42:43]
.LBB2_6046:                             ;   in Loop: Header=BB2_5898 Depth=3
	s_or_b64 exec, exec, s[40:41]
	v_lshrrev_b16_e32 v2, 8, v28
	v_cmp_ne_u16_e32 vcc, 0, v2
	v_mov_b32_e32 v3, 0
	s_and_saveexec_b64 s[40:41], vcc
	s_cbranch_execz .LBB2_6054
; %bb.6047:                             ;   in Loop: Header=BB2_5898 Depth=3
	v_cmp_ne_u16_e32 vcc, s96, v2
	v_bfrev_b32_e32 v3, 1
	s_and_saveexec_b64 s[42:43], vcc
	s_cbranch_execz .LBB2_6053
; %bb.6048:                             ;   in Loop: Header=BB2_5898 Depth=3
	v_and_b32_e32 v3, 0x7c, v2
	v_and_b32_e32 v4, 3, v2
	v_cmp_ne_u32_e32 vcc, s85, v3
                                        ; implicit-def: $vgpr3
	s_and_saveexec_b64 s[38:39], vcc
	s_xor_b64 s[38:39], exec, s[38:39]
	s_cbranch_execz .LBB2_6050
; %bb.6049:                             ;   in Loop: Header=BB2_5898 Depth=3
	v_ffbh_u32_e32 v17, v4
	v_min_u32_e32 v17, 32, v17
	v_mov_b32_e32 v3, v29
	v_subrev_u32_e32 v18, 29, v17
	v_bfe_u32 v15, v2, 2, 5
	v_lshlrev_b64 v[2:3], v18, v[2:3]
	v_cmp_eq_u32_e32 vcc, 0, v15
	v_and_b32_e32 v2, 3, v2
	v_sub_u32_e32 v3, 30, v17
	v_cndmask_b32_e32 v2, v4, v2, vcc
	v_lshlrev_b32_e32 v4, 16, v28
	v_cndmask_b32_e32 v3, v15, v3, vcc
	v_and_b32_e32 v4, 0x80000000, v4
	v_lshl_add_u32 v3, v3, 23, v4
	v_lshl_or_b32 v2, v2, 21, v3
	v_add_u32_e32 v3, 0x38000000, v2
                                        ; implicit-def: $vgpr4
.LBB2_6050:                             ;   in Loop: Header=BB2_5898 Depth=3
	s_andn2_saveexec_b64 s[38:39], s[38:39]
; %bb.6051:                             ;   in Loop: Header=BB2_5898 Depth=3
	v_cmp_lt_i16_e32 vcc, -1, v28
	v_cndmask_b32_e32 v2, v7, v0, vcc
	v_cmp_eq_u32_e32 vcc, 0, v4
	v_cndmask_b32_e32 v3, v35, v2, vcc
; %bb.6052:                             ;   in Loop: Header=BB2_5898 Depth=3
	s_or_b64 exec, exec, s[38:39]
.LBB2_6053:                             ;   in Loop: Header=BB2_5898 Depth=3
	s_or_b64 exec, exec, s[42:43]
.LBB2_6054:                             ;   in Loop: Header=BB2_5898 Depth=3
	s_or_b64 exec, exec, s[40:41]
	v_mul_f32_e32 v2, v23, v3
	v_and_b32_e32 v3, 0x7f800000, v2
	v_mov_b32_e32 v4, v29
	v_cmp_ne_u64_e32 vcc, s[76:77], v[3:4]
	v_and_b32_e32 v28, 0x7fffff, v2
                                        ; implicit-def: $vgpr15
	s_and_saveexec_b64 s[40:41], vcc
	s_xor_b64 s[42:43], exec, s[40:41]
	s_cbranch_execz .LBB2_6068
; %bb.6055:                             ;   in Loop: Header=BB2_5898 Depth=3
	v_and_b32_e32 v3, 0x7fffffff, v2
	v_mov_b32_e32 v4, v29
	v_cmp_gt_u64_e32 vcc, s[78:79], v[3:4]
	v_and_b32_sdwa v17, v2, s96 dst_sel:DWORD dst_unused:UNUSED_PAD src0_sel:BYTE_3 src1_sel:DWORD
                                        ; implicit-def: $vgpr15
	s_and_saveexec_b64 s[40:41], vcc
	s_xor_b64 s[38:39], exec, s[40:41]
	s_cbranch_execz .LBB2_6065
; %bb.6056:                             ;   in Loop: Header=BB2_5898 Depth=3
	v_mov_b32_e32 v15, 0
	v_cmp_ne_u32_e32 vcc, 0, v2
	s_and_saveexec_b64 s[48:49], vcc
	s_cbranch_execz .LBB2_6064
; %bb.6057:                             ;   in Loop: Header=BB2_5898 Depth=3
	v_bfe_u32 v15, v2, 23, 8
	v_cmp_gt_u32_e64 s[40:41], s46, v15
	v_sub_u32_e32 v2, 0x71, v15
	v_cmp_eq_u32_e32 vcc, 0, v15
	v_cndmask_b32_e64 v2, 0, v2, s[40:41]
	v_mov_b32_e32 v4, 0x70
	v_cndmask_b32_e32 v18, v2, v4, vcc
	v_add_u32_e32 v4, 21, v18
	v_or_b32_e32 v3, 0x800000, v28
	v_lshlrev_b64 v[30:31], v4, -1
	v_cndmask_b32_e32 v2, v3, v28, vcc
	v_mov_b32_e32 v3, v29
	v_add_u32_e32 v4, 20, v18
	v_bfi_b32 v30, v30, 0, v2
	v_lshlrev_b64 v[37:38], v4, 1
	v_lshrrev_b64 v[2:3], v18, v[2:3]
	v_bfi_b32 v31, v31, 0, 0
	v_cmp_eq_u64_e64 s[40:41], v[30:31], v[37:38]
	v_mov_b32_e32 v4, v3
	v_mov_b32_e32 v3, v2
	s_and_saveexec_b64 s[50:51], s[40:41]
; %bb.6058:                             ;   in Loop: Header=BB2_5898 Depth=3
	v_bfe_u32 v3, v2, 21, 1
	v_add_co_u32_e64 v3, s[40:41], v2, v3
	v_add_co_u32_e64 v3, s[40:41], -1, v3
; %bb.6059:                             ;   in Loop: Header=BB2_5898 Depth=3
	s_or_b64 exec, exec, s[50:51]
	v_add_u32_e32 v4, 0xffffff81, v15
	v_cndmask_b32_e32 v4, v4, v1, vcc
	v_lshrrev_b32_e32 v15, 23, v2
	v_add3_u32 v18, v18, v4, v15
	v_add_u32_e32 v15, 14, v18
	v_and_b32_e32 v3, 0x1fffff, v3
	v_add_u32_e32 v28, v3, v2
	v_cmp_ne_u32_e32 vcc, 0, v15
                                        ; implicit-def: $vgpr2_vgpr3
                                        ; implicit-def: $vgpr4
	s_and_saveexec_b64 s[40:41], vcc
	s_xor_b64 s[40:41], exec, s[40:41]
; %bb.6060:                             ;   in Loop: Header=BB2_5898 Depth=3
	v_cmp_lt_u64_e32 vcc, s[88:89], v[28:29]
	v_add_u32_e32 v2, 15, v18
	v_cndmask_b32_e32 v4, v15, v2, vcc
	v_cndmask_b32_e64 v2, 0, 1, vcc
	v_lshrrev_b64 v[2:3], v2, v[28:29]
; %bb.6061:                             ;   in Loop: Header=BB2_5898 Depth=3
	s_andn2_saveexec_b64 s[40:41], s[40:41]
; %bb.6062:                             ;   in Loop: Header=BB2_5898 Depth=3
	v_mov_b32_e32 v2, v28
	v_mov_b32_e32 v3, v29
	v_bfe_u32 v4, v28, 23, 1
; %bb.6063:                             ;   in Loop: Header=BB2_5898 Depth=3
	s_or_b64 exec, exec, s[40:41]
	v_lshrrev_b64 v[2:3], 21, v[2:3]
	v_cmp_gt_i32_e32 vcc, 32, v4
	v_cndmask_b32_e32 v3, 0, v3, vcc
	v_cndmask_b32_e32 v2, 3, v2, vcc
	v_cmp_eq_u64_e64 s[40:41], 0, v[2:3]
	v_min_i32_e32 v3, 31, v4
	v_lshlrev_b32_e32 v3, 2, v3
	v_cmp_eq_u32_e32 vcc, 0, v4
	v_and_b32_e32 v3, 0xfc, v3
	v_and_or_b32 v2, v2, 3, v3
	s_and_b64 s[40:41], vcc, s[40:41]
	v_cndmask_b32_e64 v2, v2, 0, s[40:41]
	v_or_b32_e32 v15, v2, v17
.LBB2_6064:                             ;   in Loop: Header=BB2_5898 Depth=3
	s_or_b64 exec, exec, s[48:49]
                                        ; implicit-def: $vgpr17
.LBB2_6065:                             ;   in Loop: Header=BB2_5898 Depth=3
	s_andn2_saveexec_b64 s[40:41], s[38:39]
; %bb.6066:                             ;   in Loop: Header=BB2_5898 Depth=3
	v_or_b32_e32 v15, 0x7b, v17
; %bb.6067:                             ;   in Loop: Header=BB2_5898 Depth=3
	s_or_b64 exec, exec, s[40:41]
                                        ; implicit-def: $vgpr2
.LBB2_6068:                             ;   in Loop: Header=BB2_5898 Depth=3
	s_andn2_saveexec_b64 s[40:41], s[42:43]
	s_cbranch_execz .LBB2_6074
; %bb.6069:                             ;   in Loop: Header=BB2_5898 Depth=3
	v_cmp_ne_u64_e32 vcc, 0, v[28:29]
                                        ; implicit-def: $vgpr15
	s_and_saveexec_b64 s[42:43], vcc
	s_xor_b64 s[42:43], exec, s[42:43]
; %bb.6070:                             ;   in Loop: Header=BB2_5898 Depth=3
	v_or_b32_sdwa v15, v2, s47 dst_sel:DWORD dst_unused:UNUSED_PAD src0_sel:BYTE_3 src1_sel:DWORD
                                        ; implicit-def: $vgpr2
; %bb.6071:                             ;   in Loop: Header=BB2_5898 Depth=3
	s_andn2_saveexec_b64 s[42:43], s[42:43]
; %bb.6072:                             ;   in Loop: Header=BB2_5898 Depth=3
	v_cmp_lt_i32_e32 vcc, -1, v2
	v_cndmask_b32_e32 v15, v6, v22, vcc
; %bb.6073:                             ;   in Loop: Header=BB2_5898 Depth=3
	s_or_b64 exec, exec, s[42:43]
.LBB2_6074:                             ;   in Loop: Header=BB2_5898 Depth=3
	s_or_b64 exec, exec, s[40:41]
	v_lshrrev_b32_e32 v2, 16, v9
	v_cmp_ne_u16_sdwa s[42:43], v2, v29 src0_sel:BYTE_0 src1_sel:DWORD
	v_mov_b32_e32 v3, 0
	s_and_saveexec_b64 s[40:41], s[42:43]
	s_cbranch_execz .LBB2_6082
; %bb.6075:                             ;   in Loop: Header=BB2_5898 Depth=3
	v_cmp_ne_u16_sdwa vcc, v2, s96 src0_sel:BYTE_0 src1_sel:DWORD
	v_bfrev_b32_e32 v3, 1
	s_and_saveexec_b64 s[42:43], vcc
	s_cbranch_execz .LBB2_6081
; %bb.6076:                             ;   in Loop: Header=BB2_5898 Depth=3
	v_and_b32_e32 v3, 0x7c0000, v9
	v_bfe_u32 v4, v9, 16, 2
	v_cmp_ne_u32_e32 vcc, s44, v3
                                        ; implicit-def: $vgpr3
	s_and_saveexec_b64 s[38:39], vcc
	s_xor_b64 s[38:39], exec, s[38:39]
	s_cbranch_execz .LBB2_6078
; %bb.6077:                             ;   in Loop: Header=BB2_5898 Depth=3
	v_ffbh_u32_e32 v3, v4
	v_min_u32_e32 v18, 32, v3
	v_subrev_u32_e32 v3, 29, v18
	v_lshlrev_b64 v[2:3], v3, v[2:3]
	v_bfe_u32 v17, v9, 18, 5
	v_and_b32_e32 v2, 3, v2
	v_cmp_eq_u32_e32 vcc, 0, v17
	v_sub_u32_e32 v3, 30, v18
	v_cndmask_b32_e32 v2, v4, v2, vcc
	v_lshlrev_b32_e32 v4, 8, v9
	v_cndmask_b32_e32 v3, v17, v3, vcc
	v_and_b32_e32 v4, 0x80000000, v4
	v_lshl_add_u32 v3, v3, 23, v4
	v_lshl_or_b32 v2, v2, 21, v3
	v_add_u32_e32 v3, 0x38000000, v2
                                        ; implicit-def: $vgpr4
                                        ; implicit-def: $vgpr2
.LBB2_6078:                             ;   in Loop: Header=BB2_5898 Depth=3
	s_andn2_saveexec_b64 s[38:39], s[38:39]
; %bb.6079:                             ;   in Loop: Header=BB2_5898 Depth=3
	v_cmp_gt_i16_sdwa vcc, sext(v2), v48 src0_sel:BYTE_0 src1_sel:DWORD
	v_cndmask_b32_e32 v2, v7, v0, vcc
	v_cmp_eq_u32_e32 vcc, 0, v4
	v_cndmask_b32_e32 v3, v35, v2, vcc
; %bb.6080:                             ;   in Loop: Header=BB2_5898 Depth=3
	s_or_b64 exec, exec, s[38:39]
.LBB2_6081:                             ;   in Loop: Header=BB2_5898 Depth=3
	s_or_b64 exec, exec, s[42:43]
.LBB2_6082:                             ;   in Loop: Header=BB2_5898 Depth=3
	s_or_b64 exec, exec, s[40:41]
	v_mul_f32_e32 v2, v23, v3
	v_and_b32_e32 v3, 0x7f800000, v2
	v_mov_b32_e32 v4, v29
	v_cmp_ne_u64_e32 vcc, s[76:77], v[3:4]
	v_and_b32_e32 v28, 0x7fffff, v2
                                        ; implicit-def: $vgpr30
	s_and_saveexec_b64 s[40:41], vcc
	s_xor_b64 s[42:43], exec, s[40:41]
	s_cbranch_execz .LBB2_6096
; %bb.6083:                             ;   in Loop: Header=BB2_5898 Depth=3
	v_and_b32_e32 v3, 0x7fffffff, v2
	v_mov_b32_e32 v4, v29
	v_cmp_gt_u64_e32 vcc, s[78:79], v[3:4]
	v_and_b32_sdwa v17, v2, s96 dst_sel:DWORD dst_unused:UNUSED_PAD src0_sel:BYTE_3 src1_sel:DWORD
                                        ; implicit-def: $vgpr30
	s_and_saveexec_b64 s[40:41], vcc
	s_xor_b64 s[38:39], exec, s[40:41]
	s_cbranch_execz .LBB2_6093
; %bb.6084:                             ;   in Loop: Header=BB2_5898 Depth=3
	v_mov_b32_e32 v30, 0
	v_cmp_ne_u32_e32 vcc, 0, v2
	s_and_saveexec_b64 s[48:49], vcc
	s_cbranch_execz .LBB2_6092
; %bb.6085:                             ;   in Loop: Header=BB2_5898 Depth=3
	v_bfe_u32 v18, v2, 23, 8
	v_cmp_gt_u32_e64 s[40:41], s46, v18
	v_sub_u32_e32 v2, 0x71, v18
	v_cmp_eq_u32_e32 vcc, 0, v18
	v_cndmask_b32_e64 v2, 0, v2, s[40:41]
	v_mov_b32_e32 v4, 0x70
	v_cndmask_b32_e32 v30, v2, v4, vcc
	v_add_u32_e32 v4, 21, v30
	v_or_b32_e32 v3, 0x800000, v28
	v_lshlrev_b64 v[37:38], v4, -1
	v_cndmask_b32_e32 v2, v3, v28, vcc
	v_mov_b32_e32 v3, v29
	v_add_u32_e32 v4, 20, v30
	v_bfi_b32 v37, v37, 0, v2
	v_lshlrev_b64 v[52:53], v4, 1
	v_lshrrev_b64 v[2:3], v30, v[2:3]
	v_bfi_b32 v38, v38, 0, 0
	v_cmp_eq_u64_e64 s[40:41], v[37:38], v[52:53]
	v_mov_b32_e32 v4, v3
	v_mov_b32_e32 v3, v2
	s_and_saveexec_b64 s[50:51], s[40:41]
; %bb.6086:                             ;   in Loop: Header=BB2_5898 Depth=3
	v_bfe_u32 v3, v2, 21, 1
	v_add_co_u32_e64 v3, s[40:41], v2, v3
	v_add_co_u32_e64 v3, s[40:41], -1, v3
; %bb.6087:                             ;   in Loop: Header=BB2_5898 Depth=3
	s_or_b64 exec, exec, s[50:51]
	v_add_u32_e32 v4, 0xffffff81, v18
	v_cndmask_b32_e32 v4, v4, v1, vcc
	v_lshrrev_b32_e32 v18, 23, v2
	v_add3_u32 v30, v30, v4, v18
	v_add_u32_e32 v18, 14, v30
	v_and_b32_e32 v3, 0x1fffff, v3
	v_add_u32_e32 v28, v3, v2
	v_cmp_ne_u32_e32 vcc, 0, v18
                                        ; implicit-def: $vgpr2_vgpr3
                                        ; implicit-def: $vgpr4
	s_and_saveexec_b64 s[40:41], vcc
	s_xor_b64 s[40:41], exec, s[40:41]
; %bb.6088:                             ;   in Loop: Header=BB2_5898 Depth=3
	v_cmp_lt_u64_e32 vcc, s[88:89], v[28:29]
	v_add_u32_e32 v2, 15, v30
	v_cndmask_b32_e32 v4, v18, v2, vcc
	v_cndmask_b32_e64 v2, 0, 1, vcc
	v_lshrrev_b64 v[2:3], v2, v[28:29]
; %bb.6089:                             ;   in Loop: Header=BB2_5898 Depth=3
	s_andn2_saveexec_b64 s[40:41], s[40:41]
; %bb.6090:                             ;   in Loop: Header=BB2_5898 Depth=3
	v_mov_b32_e32 v2, v28
	v_mov_b32_e32 v3, v29
	v_bfe_u32 v4, v28, 23, 1
; %bb.6091:                             ;   in Loop: Header=BB2_5898 Depth=3
	s_or_b64 exec, exec, s[40:41]
	v_lshrrev_b64 v[2:3], 21, v[2:3]
	v_cmp_gt_i32_e32 vcc, 32, v4
	v_cndmask_b32_e32 v3, 0, v3, vcc
	v_cndmask_b32_e32 v2, 3, v2, vcc
	v_cmp_eq_u64_e64 s[40:41], 0, v[2:3]
	v_min_i32_e32 v3, 31, v4
	v_lshlrev_b32_e32 v3, 2, v3
	v_cmp_eq_u32_e32 vcc, 0, v4
	v_and_b32_e32 v3, 0xfc, v3
	v_and_or_b32 v2, v2, 3, v3
	s_and_b64 s[40:41], vcc, s[40:41]
	v_cndmask_b32_e64 v2, v2, 0, s[40:41]
	v_or_b32_e32 v30, v2, v17
.LBB2_6092:                             ;   in Loop: Header=BB2_5898 Depth=3
	s_or_b64 exec, exec, s[48:49]
                                        ; implicit-def: $vgpr17
.LBB2_6093:                             ;   in Loop: Header=BB2_5898 Depth=3
	s_andn2_saveexec_b64 s[40:41], s[38:39]
; %bb.6094:                             ;   in Loop: Header=BB2_5898 Depth=3
	v_or_b32_e32 v30, 0x7b, v17
; %bb.6095:                             ;   in Loop: Header=BB2_5898 Depth=3
	s_or_b64 exec, exec, s[40:41]
                                        ; implicit-def: $vgpr2
.LBB2_6096:                             ;   in Loop: Header=BB2_5898 Depth=3
	s_andn2_saveexec_b64 s[40:41], s[42:43]
	s_cbranch_execz .LBB2_6102
; %bb.6097:                             ;   in Loop: Header=BB2_5898 Depth=3
	v_cmp_ne_u64_e32 vcc, 0, v[28:29]
                                        ; implicit-def: $vgpr30
	s_and_saveexec_b64 s[42:43], vcc
	s_xor_b64 s[42:43], exec, s[42:43]
; %bb.6098:                             ;   in Loop: Header=BB2_5898 Depth=3
	v_or_b32_sdwa v30, v2, s47 dst_sel:DWORD dst_unused:UNUSED_PAD src0_sel:BYTE_3 src1_sel:DWORD
                                        ; implicit-def: $vgpr2
; %bb.6099:                             ;   in Loop: Header=BB2_5898 Depth=3
	s_andn2_saveexec_b64 s[42:43], s[42:43]
; %bb.6100:                             ;   in Loop: Header=BB2_5898 Depth=3
	v_cmp_lt_i32_e32 vcc, -1, v2
	v_cndmask_b32_e32 v30, v6, v22, vcc
; %bb.6101:                             ;   in Loop: Header=BB2_5898 Depth=3
	s_or_b64 exec, exec, s[42:43]
.LBB2_6102:                             ;   in Loop: Header=BB2_5898 Depth=3
	s_or_b64 exec, exec, s[40:41]
	v_cmp_lt_u64_e32 vcc, s[56:57], v[8:9]
	v_mov_b32_e32 v3, 0
	s_and_saveexec_b64 s[40:41], vcc
	s_cbranch_execz .LBB2_6110
; %bb.6103:                             ;   in Loop: Header=BB2_5898 Depth=3
	v_lshrrev_b32_e32 v2, 24, v9
	v_cmp_ne_u32_e32 vcc, s96, v2
	v_bfrev_b32_e32 v3, 1
	s_and_saveexec_b64 s[42:43], vcc
	s_cbranch_execz .LBB2_6109
; %bb.6104:                             ;   in Loop: Header=BB2_5898 Depth=3
	v_and_b32_e32 v3, 0x7c000000, v9
	v_bfe_u32 v4, v9, 24, 2
	v_cmp_ne_u32_e32 vcc, s45, v3
                                        ; implicit-def: $vgpr3
	s_and_saveexec_b64 s[38:39], vcc
	s_xor_b64 s[38:39], exec, s[38:39]
	s_cbranch_execz .LBB2_6106
; %bb.6105:                             ;   in Loop: Header=BB2_5898 Depth=3
	v_ffbh_u32_e32 v3, v4
	v_min_u32_e32 v18, 32, v3
	v_subrev_u32_e32 v3, 29, v18
	v_lshlrev_b64 v[2:3], v3, v[2:3]
	v_bfe_u32 v17, v9, 26, 5
	v_sub_u32_e32 v3, 30, v18
	v_and_b32_e32 v2, 3, v2
	v_cmp_eq_u32_e32 vcc, 0, v17
	v_cndmask_b32_e32 v3, v17, v3, vcc
	v_cndmask_b32_e32 v2, v4, v2, vcc
	v_and_b32_e32 v4, 0x80000000, v9
	v_lshl_add_u32 v3, v3, 23, v4
	v_lshl_or_b32 v2, v2, 21, v3
	v_add_u32_e32 v3, 0x38000000, v2
                                        ; implicit-def: $vgpr4
.LBB2_6106:                             ;   in Loop: Header=BB2_5898 Depth=3
	s_andn2_saveexec_b64 s[38:39], s[38:39]
; %bb.6107:                             ;   in Loop: Header=BB2_5898 Depth=3
	v_cmp_lt_i64_e32 vcc, -1, v[8:9]
	v_cndmask_b32_e32 v2, v7, v0, vcc
	v_cmp_eq_u32_e32 vcc, 0, v4
	v_cndmask_b32_e32 v3, v35, v2, vcc
; %bb.6108:                             ;   in Loop: Header=BB2_5898 Depth=3
	s_or_b64 exec, exec, s[38:39]
.LBB2_6109:                             ;   in Loop: Header=BB2_5898 Depth=3
	s_or_b64 exec, exec, s[42:43]
.LBB2_6110:                             ;   in Loop: Header=BB2_5898 Depth=3
	s_or_b64 exec, exec, s[40:41]
	v_mul_f32_e32 v2, v23, v3
	v_and_b32_e32 v3, 0x7f800000, v2
	v_mov_b32_e32 v4, v29
	v_cmp_ne_u64_e32 vcc, s[76:77], v[3:4]
	v_and_b32_e32 v28, 0x7fffff, v2
                                        ; implicit-def: $vgpr31
	s_and_saveexec_b64 s[40:41], vcc
	s_xor_b64 s[42:43], exec, s[40:41]
	s_cbranch_execz .LBB2_6124
; %bb.6111:                             ;   in Loop: Header=BB2_5898 Depth=3
	v_and_b32_e32 v3, 0x7fffffff, v2
	v_mov_b32_e32 v4, v29
	v_cmp_gt_u64_e32 vcc, s[78:79], v[3:4]
	v_and_b32_sdwa v8, v2, s96 dst_sel:DWORD dst_unused:UNUSED_PAD src0_sel:BYTE_3 src1_sel:DWORD
                                        ; implicit-def: $vgpr31
	s_and_saveexec_b64 s[40:41], vcc
	s_xor_b64 s[38:39], exec, s[40:41]
	s_cbranch_execz .LBB2_6121
; %bb.6112:                             ;   in Loop: Header=BB2_5898 Depth=3
	v_mov_b32_e32 v31, 0
	v_cmp_ne_u32_e32 vcc, 0, v2
	s_and_saveexec_b64 s[48:49], vcc
	s_cbranch_execz .LBB2_6120
; %bb.6113:                             ;   in Loop: Header=BB2_5898 Depth=3
	v_bfe_u32 v9, v2, 23, 8
	v_cmp_gt_u32_e64 s[40:41], s46, v9
	v_sub_u32_e32 v2, 0x71, v9
	v_cmp_eq_u32_e32 vcc, 0, v9
	v_cndmask_b32_e64 v2, 0, v2, s[40:41]
	v_mov_b32_e32 v4, 0x70
	v_cndmask_b32_e32 v17, v2, v4, vcc
	v_add_u32_e32 v4, 21, v17
	v_or_b32_e32 v3, 0x800000, v28
	v_lshlrev_b64 v[37:38], v4, -1
	v_cndmask_b32_e32 v2, v3, v28, vcc
	v_mov_b32_e32 v3, v29
	v_add_u32_e32 v4, 20, v17
	v_bfi_b32 v37, v37, 0, v2
	v_lshlrev_b64 v[52:53], v4, 1
	v_lshrrev_b64 v[2:3], v17, v[2:3]
	v_bfi_b32 v38, v38, 0, 0
	v_cmp_eq_u64_e64 s[40:41], v[37:38], v[52:53]
	v_mov_b32_e32 v4, v3
	v_mov_b32_e32 v3, v2
	s_and_saveexec_b64 s[50:51], s[40:41]
; %bb.6114:                             ;   in Loop: Header=BB2_5898 Depth=3
	v_bfe_u32 v3, v2, 21, 1
	v_add_co_u32_e64 v3, s[40:41], v2, v3
	v_add_co_u32_e64 v3, s[40:41], -1, v3
; %bb.6115:                             ;   in Loop: Header=BB2_5898 Depth=3
	s_or_b64 exec, exec, s[50:51]
	v_add_u32_e32 v4, 0xffffff81, v9
	v_cndmask_b32_e32 v4, v4, v1, vcc
	v_lshrrev_b32_e32 v9, 23, v2
	v_add3_u32 v17, v17, v4, v9
	v_add_u32_e32 v9, 14, v17
	v_and_b32_e32 v3, 0x1fffff, v3
	v_add_u32_e32 v28, v3, v2
	v_cmp_ne_u32_e32 vcc, 0, v9
                                        ; implicit-def: $vgpr2_vgpr3
                                        ; implicit-def: $vgpr4
	s_and_saveexec_b64 s[40:41], vcc
	s_xor_b64 s[40:41], exec, s[40:41]
; %bb.6116:                             ;   in Loop: Header=BB2_5898 Depth=3
	v_cmp_lt_u64_e32 vcc, s[88:89], v[28:29]
	v_add_u32_e32 v2, 15, v17
	v_cndmask_b32_e32 v4, v9, v2, vcc
	v_cndmask_b32_e64 v2, 0, 1, vcc
	v_lshrrev_b64 v[2:3], v2, v[28:29]
; %bb.6117:                             ;   in Loop: Header=BB2_5898 Depth=3
	s_andn2_saveexec_b64 s[40:41], s[40:41]
; %bb.6118:                             ;   in Loop: Header=BB2_5898 Depth=3
	v_mov_b32_e32 v2, v28
	v_mov_b32_e32 v3, v29
	v_bfe_u32 v4, v28, 23, 1
; %bb.6119:                             ;   in Loop: Header=BB2_5898 Depth=3
	s_or_b64 exec, exec, s[40:41]
	v_lshrrev_b64 v[2:3], 21, v[2:3]
	v_cmp_gt_i32_e32 vcc, 32, v4
	v_cndmask_b32_e32 v3, 0, v3, vcc
	v_cndmask_b32_e32 v2, 3, v2, vcc
	v_cmp_eq_u64_e64 s[40:41], 0, v[2:3]
	v_min_i32_e32 v3, 31, v4
	v_lshlrev_b32_e32 v3, 2, v3
	v_cmp_eq_u32_e32 vcc, 0, v4
	v_and_b32_e32 v3, 0xfc, v3
	v_and_or_b32 v2, v2, 3, v3
	s_and_b64 s[40:41], vcc, s[40:41]
	v_cndmask_b32_e64 v2, v2, 0, s[40:41]
	v_or_b32_e32 v31, v2, v8
.LBB2_6120:                             ;   in Loop: Header=BB2_5898 Depth=3
	s_or_b64 exec, exec, s[48:49]
                                        ; implicit-def: $vgpr8
.LBB2_6121:                             ;   in Loop: Header=BB2_5898 Depth=3
	s_andn2_saveexec_b64 s[40:41], s[38:39]
; %bb.6122:                             ;   in Loop: Header=BB2_5898 Depth=3
	v_or_b32_e32 v31, 0x7b, v8
; %bb.6123:                             ;   in Loop: Header=BB2_5898 Depth=3
	s_or_b64 exec, exec, s[40:41]
                                        ; implicit-def: $vgpr2
.LBB2_6124:                             ;   in Loop: Header=BB2_5898 Depth=3
	s_andn2_saveexec_b64 s[40:41], s[42:43]
	s_cbranch_execz .LBB2_6130
; %bb.6125:                             ;   in Loop: Header=BB2_5898 Depth=3
	v_cmp_ne_u64_e32 vcc, 0, v[28:29]
                                        ; implicit-def: $vgpr31
	s_and_saveexec_b64 s[42:43], vcc
	s_xor_b64 s[42:43], exec, s[42:43]
; %bb.6126:                             ;   in Loop: Header=BB2_5898 Depth=3
	v_or_b32_sdwa v31, v2, s47 dst_sel:DWORD dst_unused:UNUSED_PAD src0_sel:BYTE_3 src1_sel:DWORD
                                        ; implicit-def: $vgpr2
; %bb.6127:                             ;   in Loop: Header=BB2_5898 Depth=3
	s_andn2_saveexec_b64 s[42:43], s[42:43]
; %bb.6128:                             ;   in Loop: Header=BB2_5898 Depth=3
	v_cmp_lt_i32_e32 vcc, -1, v2
	v_cndmask_b32_e32 v31, v6, v22, vcc
; %bb.6129:                             ;   in Loop: Header=BB2_5898 Depth=3
	s_or_b64 exec, exec, s[42:43]
.LBB2_6130:                             ;   in Loop: Header=BB2_5898 Depth=3
	s_or_b64 exec, exec, s[40:41]
	v_cmp_ne_u16_sdwa s[42:43], v10, v29 src0_sel:BYTE_0 src1_sel:DWORD
	v_mov_b32_e32 v2, 0
	s_and_saveexec_b64 s[40:41], s[42:43]
	s_cbranch_execz .LBB2_6138
; %bb.6131:                             ;   in Loop: Header=BB2_5898 Depth=3
	v_cmp_ne_u16_sdwa vcc, sext(v10), s97 src0_sel:BYTE_0 src1_sel:DWORD
	v_bfrev_b32_e32 v2, 1
	s_and_saveexec_b64 s[42:43], vcc
	s_cbranch_execz .LBB2_6137
; %bb.6132:                             ;   in Loop: Header=BB2_5898 Depth=3
	v_and_b32_e32 v2, 0x7c, v10
	v_and_b32_e32 v3, 3, v10
	v_cmp_ne_u32_e32 vcc, s85, v2
                                        ; implicit-def: $vgpr2
	s_and_saveexec_b64 s[38:39], vcc
	s_xor_b64 s[38:39], exec, s[38:39]
	s_cbranch_execz .LBB2_6134
; %bb.6133:                             ;   in Loop: Header=BB2_5898 Depth=3
	v_ffbh_u32_e32 v4, v3
	v_min_u32_e32 v4, 32, v4
	v_bfe_u32 v2, v10, 2, 5
	v_subrev_u32_e32 v8, 29, v4
	v_lshlrev_b64 v[8:9], v8, v[10:11]
	v_sub_u32_e32 v4, 30, v4
	v_cmp_eq_u32_e32 vcc, 0, v2
	v_cndmask_b32_e32 v2, v2, v4, vcc
	v_lshlrev_b32_e32 v4, 24, v10
	v_and_b32_e32 v8, 3, v8
	v_and_b32_e32 v4, 0x80000000, v4
	v_cndmask_b32_e32 v3, v3, v8, vcc
	v_lshl_add_u32 v2, v2, 23, v4
	v_lshl_or_b32 v2, v3, 21, v2
	v_add_u32_e32 v2, 0x38000000, v2
                                        ; implicit-def: $vgpr3
.LBB2_6134:                             ;   in Loop: Header=BB2_5898 Depth=3
	s_andn2_saveexec_b64 s[38:39], s[38:39]
; %bb.6135:                             ;   in Loop: Header=BB2_5898 Depth=3
	v_cmp_gt_i16_sdwa vcc, sext(v10), v48 src0_sel:BYTE_0 src1_sel:DWORD
	v_cndmask_b32_e32 v2, v7, v0, vcc
	v_cmp_eq_u32_e32 vcc, 0, v3
	v_cndmask_b32_e32 v2, v35, v2, vcc
; %bb.6136:                             ;   in Loop: Header=BB2_5898 Depth=3
	s_or_b64 exec, exec, s[38:39]
.LBB2_6137:                             ;   in Loop: Header=BB2_5898 Depth=3
	s_or_b64 exec, exec, s[42:43]
.LBB2_6138:                             ;   in Loop: Header=BB2_5898 Depth=3
	s_or_b64 exec, exec, s[40:41]
	v_mul_f32_e32 v2, v23, v2
	v_and_b32_e32 v3, 0x7f800000, v2
	v_mov_b32_e32 v4, v29
	v_cmp_ne_u64_e32 vcc, s[76:77], v[3:4]
	v_and_b32_e32 v28, 0x7fffff, v2
                                        ; implicit-def: $vgpr52
	s_and_saveexec_b64 s[40:41], vcc
	s_xor_b64 s[42:43], exec, s[40:41]
	s_cbranch_execz .LBB2_6152
; %bb.6139:                             ;   in Loop: Header=BB2_5898 Depth=3
	v_and_b32_e32 v3, 0x7fffffff, v2
	v_mov_b32_e32 v4, v29
	v_cmp_gt_u64_e32 vcc, s[78:79], v[3:4]
	v_and_b32_sdwa v8, v2, s96 dst_sel:DWORD dst_unused:UNUSED_PAD src0_sel:BYTE_3 src1_sel:DWORD
                                        ; implicit-def: $vgpr52
	s_and_saveexec_b64 s[40:41], vcc
	s_xor_b64 s[38:39], exec, s[40:41]
	s_cbranch_execz .LBB2_6149
; %bb.6140:                             ;   in Loop: Header=BB2_5898 Depth=3
	v_mov_b32_e32 v52, 0
	v_cmp_ne_u32_e32 vcc, 0, v2
	s_and_saveexec_b64 s[48:49], vcc
	s_cbranch_execz .LBB2_6148
; %bb.6141:                             ;   in Loop: Header=BB2_5898 Depth=3
	v_bfe_u32 v9, v2, 23, 8
	v_cmp_gt_u32_e64 s[40:41], s46, v9
	v_sub_u32_e32 v2, 0x71, v9
	v_cmp_eq_u32_e32 vcc, 0, v9
	v_cndmask_b32_e64 v2, 0, v2, s[40:41]
	v_mov_b32_e32 v4, 0x70
	v_cndmask_b32_e32 v17, v2, v4, vcc
	v_add_u32_e32 v4, 21, v17
	v_or_b32_e32 v3, 0x800000, v28
	v_lshlrev_b64 v[37:38], v4, -1
	v_cndmask_b32_e32 v2, v3, v28, vcc
	v_mov_b32_e32 v3, v29
	v_add_u32_e32 v4, 20, v17
	v_bfi_b32 v37, v37, 0, v2
	v_lshlrev_b64 v[52:53], v4, 1
	v_lshrrev_b64 v[2:3], v17, v[2:3]
	v_bfi_b32 v38, v38, 0, 0
	v_cmp_eq_u64_e64 s[40:41], v[37:38], v[52:53]
	v_mov_b32_e32 v4, v3
	v_mov_b32_e32 v3, v2
	s_and_saveexec_b64 s[50:51], s[40:41]
; %bb.6142:                             ;   in Loop: Header=BB2_5898 Depth=3
	v_bfe_u32 v3, v2, 21, 1
	v_add_co_u32_e64 v3, s[40:41], v2, v3
	v_add_co_u32_e64 v3, s[40:41], -1, v3
; %bb.6143:                             ;   in Loop: Header=BB2_5898 Depth=3
	s_or_b64 exec, exec, s[50:51]
	v_add_u32_e32 v4, 0xffffff81, v9
	v_cndmask_b32_e32 v4, v4, v1, vcc
	v_lshrrev_b32_e32 v9, 23, v2
	v_add3_u32 v17, v17, v4, v9
	v_add_u32_e32 v9, 14, v17
	v_and_b32_e32 v3, 0x1fffff, v3
	v_add_u32_e32 v28, v3, v2
	v_cmp_ne_u32_e32 vcc, 0, v9
                                        ; implicit-def: $vgpr2_vgpr3
                                        ; implicit-def: $vgpr4
	s_and_saveexec_b64 s[40:41], vcc
	s_xor_b64 s[40:41], exec, s[40:41]
; %bb.6144:                             ;   in Loop: Header=BB2_5898 Depth=3
	v_cmp_lt_u64_e32 vcc, s[88:89], v[28:29]
	v_add_u32_e32 v2, 15, v17
	v_cndmask_b32_e32 v4, v9, v2, vcc
	v_cndmask_b32_e64 v2, 0, 1, vcc
	v_lshrrev_b64 v[2:3], v2, v[28:29]
; %bb.6145:                             ;   in Loop: Header=BB2_5898 Depth=3
	s_andn2_saveexec_b64 s[40:41], s[40:41]
; %bb.6146:                             ;   in Loop: Header=BB2_5898 Depth=3
	v_mov_b32_e32 v2, v28
	v_mov_b32_e32 v3, v29
	v_bfe_u32 v4, v28, 23, 1
; %bb.6147:                             ;   in Loop: Header=BB2_5898 Depth=3
	s_or_b64 exec, exec, s[40:41]
	v_lshrrev_b64 v[2:3], 21, v[2:3]
	v_cmp_gt_i32_e32 vcc, 32, v4
	v_cndmask_b32_e32 v3, 0, v3, vcc
	v_cndmask_b32_e32 v2, 3, v2, vcc
	v_cmp_eq_u64_e64 s[40:41], 0, v[2:3]
	v_min_i32_e32 v3, 31, v4
	v_lshlrev_b32_e32 v3, 2, v3
	v_cmp_eq_u32_e32 vcc, 0, v4
	v_and_b32_e32 v3, 0xfc, v3
	v_and_or_b32 v2, v2, 3, v3
	s_and_b64 s[40:41], vcc, s[40:41]
	v_cndmask_b32_e64 v2, v2, 0, s[40:41]
	v_or_b32_e32 v52, v2, v8
.LBB2_6148:                             ;   in Loop: Header=BB2_5898 Depth=3
	s_or_b64 exec, exec, s[48:49]
                                        ; implicit-def: $vgpr8
.LBB2_6149:                             ;   in Loop: Header=BB2_5898 Depth=3
	s_andn2_saveexec_b64 s[40:41], s[38:39]
; %bb.6150:                             ;   in Loop: Header=BB2_5898 Depth=3
	v_or_b32_e32 v52, 0x7b, v8
; %bb.6151:                             ;   in Loop: Header=BB2_5898 Depth=3
	s_or_b64 exec, exec, s[40:41]
                                        ; implicit-def: $vgpr2
.LBB2_6152:                             ;   in Loop: Header=BB2_5898 Depth=3
	s_andn2_saveexec_b64 s[40:41], s[42:43]
	s_cbranch_execz .LBB2_6158
; %bb.6153:                             ;   in Loop: Header=BB2_5898 Depth=3
	v_cmp_ne_u64_e32 vcc, 0, v[28:29]
                                        ; implicit-def: $vgpr52
	s_and_saveexec_b64 s[42:43], vcc
	s_xor_b64 s[42:43], exec, s[42:43]
; %bb.6154:                             ;   in Loop: Header=BB2_5898 Depth=3
	v_or_b32_sdwa v52, v2, s47 dst_sel:DWORD dst_unused:UNUSED_PAD src0_sel:BYTE_3 src1_sel:DWORD
                                        ; implicit-def: $vgpr2
; %bb.6155:                             ;   in Loop: Header=BB2_5898 Depth=3
	s_andn2_saveexec_b64 s[42:43], s[42:43]
; %bb.6156:                             ;   in Loop: Header=BB2_5898 Depth=3
	v_cmp_lt_i32_e32 vcc, -1, v2
	v_cndmask_b32_e32 v52, v6, v22, vcc
; %bb.6157:                             ;   in Loop: Header=BB2_5898 Depth=3
	s_or_b64 exec, exec, s[42:43]
.LBB2_6158:                             ;   in Loop: Header=BB2_5898 Depth=3
	s_or_b64 exec, exec, s[40:41]
	v_lshrrev_b16_e32 v2, 8, v10
	v_cmp_ne_u16_e32 vcc, 0, v2
	v_mov_b32_e32 v3, 0
	s_and_saveexec_b64 s[40:41], vcc
	s_cbranch_execz .LBB2_6166
; %bb.6159:                             ;   in Loop: Header=BB2_5898 Depth=3
	v_cmp_ne_u16_e32 vcc, s96, v2
	v_bfrev_b32_e32 v3, 1
	s_and_saveexec_b64 s[42:43], vcc
	s_cbranch_execz .LBB2_6165
; %bb.6160:                             ;   in Loop: Header=BB2_5898 Depth=3
	v_and_b32_e32 v3, 0x7c, v2
	v_and_b32_e32 v4, 3, v2
	v_cmp_ne_u32_e32 vcc, s85, v3
                                        ; implicit-def: $vgpr3
	s_and_saveexec_b64 s[38:39], vcc
	s_xor_b64 s[38:39], exec, s[38:39]
	s_cbranch_execz .LBB2_6162
; %bb.6161:                             ;   in Loop: Header=BB2_5898 Depth=3
	v_ffbh_u32_e32 v9, v4
	v_min_u32_e32 v9, 32, v9
	v_mov_b32_e32 v3, v29
	v_subrev_u32_e32 v17, 29, v9
	v_bfe_u32 v8, v2, 2, 5
	v_lshlrev_b64 v[2:3], v17, v[2:3]
	v_cmp_eq_u32_e32 vcc, 0, v8
	v_and_b32_e32 v2, 3, v2
	v_sub_u32_e32 v3, 30, v9
	v_cndmask_b32_e32 v2, v4, v2, vcc
	v_lshlrev_b32_e32 v4, 16, v10
	v_cndmask_b32_e32 v3, v8, v3, vcc
	v_and_b32_e32 v4, 0x80000000, v4
	v_lshl_add_u32 v3, v3, 23, v4
	v_lshl_or_b32 v2, v2, 21, v3
	v_add_u32_e32 v3, 0x38000000, v2
                                        ; implicit-def: $vgpr4
.LBB2_6162:                             ;   in Loop: Header=BB2_5898 Depth=3
	s_andn2_saveexec_b64 s[38:39], s[38:39]
; %bb.6163:                             ;   in Loop: Header=BB2_5898 Depth=3
	v_cmp_lt_i16_e32 vcc, -1, v10
	v_cndmask_b32_e32 v2, v7, v0, vcc
	v_cmp_eq_u32_e32 vcc, 0, v4
	v_cndmask_b32_e32 v3, v35, v2, vcc
; %bb.6164:                             ;   in Loop: Header=BB2_5898 Depth=3
	s_or_b64 exec, exec, s[38:39]
.LBB2_6165:                             ;   in Loop: Header=BB2_5898 Depth=3
	s_or_b64 exec, exec, s[42:43]
.LBB2_6166:                             ;   in Loop: Header=BB2_5898 Depth=3
	s_or_b64 exec, exec, s[40:41]
	v_mul_f32_e32 v2, v23, v3
	v_and_b32_e32 v3, 0x7f800000, v2
	v_mov_b32_e32 v4, v29
	v_cmp_ne_u64_e32 vcc, s[76:77], v[3:4]
	v_and_b32_e32 v28, 0x7fffff, v2
                                        ; implicit-def: $vgpr59
	s_and_saveexec_b64 s[40:41], vcc
	s_xor_b64 s[42:43], exec, s[40:41]
	s_cbranch_execz .LBB2_6180
; %bb.6167:                             ;   in Loop: Header=BB2_5898 Depth=3
	v_and_b32_e32 v3, 0x7fffffff, v2
	v_mov_b32_e32 v4, v29
	v_cmp_gt_u64_e32 vcc, s[78:79], v[3:4]
	v_and_b32_sdwa v8, v2, s96 dst_sel:DWORD dst_unused:UNUSED_PAD src0_sel:BYTE_3 src1_sel:DWORD
                                        ; implicit-def: $vgpr59
	s_and_saveexec_b64 s[40:41], vcc
	s_xor_b64 s[38:39], exec, s[40:41]
	s_cbranch_execz .LBB2_6177
; %bb.6168:                             ;   in Loop: Header=BB2_5898 Depth=3
	v_mov_b32_e32 v59, 0
	v_cmp_ne_u32_e32 vcc, 0, v2
	s_and_saveexec_b64 s[48:49], vcc
	s_cbranch_execz .LBB2_6176
; %bb.6169:                             ;   in Loop: Header=BB2_5898 Depth=3
	v_bfe_u32 v9, v2, 23, 8
	v_cmp_gt_u32_e64 s[40:41], s46, v9
	v_sub_u32_e32 v2, 0x71, v9
	v_cmp_eq_u32_e32 vcc, 0, v9
	v_cndmask_b32_e64 v2, 0, v2, s[40:41]
	v_mov_b32_e32 v4, 0x70
	v_cndmask_b32_e32 v17, v2, v4, vcc
	v_add_u32_e32 v4, 21, v17
	v_or_b32_e32 v3, 0x800000, v28
	v_lshlrev_b64 v[37:38], v4, -1
	v_cndmask_b32_e32 v2, v3, v28, vcc
	v_mov_b32_e32 v3, v29
	v_add_u32_e32 v4, 20, v17
	v_bfi_b32 v37, v37, 0, v2
	v_lshlrev_b64 v[39:40], v4, 1
	v_lshrrev_b64 v[2:3], v17, v[2:3]
	v_bfi_b32 v38, v38, 0, 0
	v_cmp_eq_u64_e64 s[40:41], v[37:38], v[39:40]
	v_mov_b32_e32 v4, v3
	v_mov_b32_e32 v3, v2
	s_and_saveexec_b64 s[50:51], s[40:41]
; %bb.6170:                             ;   in Loop: Header=BB2_5898 Depth=3
	v_bfe_u32 v3, v2, 21, 1
	v_add_co_u32_e64 v3, s[40:41], v2, v3
	v_add_co_u32_e64 v3, s[40:41], -1, v3
; %bb.6171:                             ;   in Loop: Header=BB2_5898 Depth=3
	s_or_b64 exec, exec, s[50:51]
	v_add_u32_e32 v4, 0xffffff81, v9
	v_cndmask_b32_e32 v4, v4, v1, vcc
	v_lshrrev_b32_e32 v9, 23, v2
	v_add3_u32 v17, v17, v4, v9
	v_add_u32_e32 v9, 14, v17
	v_and_b32_e32 v3, 0x1fffff, v3
	v_add_u32_e32 v28, v3, v2
	v_cmp_ne_u32_e32 vcc, 0, v9
                                        ; implicit-def: $vgpr2_vgpr3
                                        ; implicit-def: $vgpr4
	s_and_saveexec_b64 s[40:41], vcc
	s_xor_b64 s[40:41], exec, s[40:41]
; %bb.6172:                             ;   in Loop: Header=BB2_5898 Depth=3
	v_cmp_lt_u64_e32 vcc, s[88:89], v[28:29]
	v_add_u32_e32 v2, 15, v17
	v_cndmask_b32_e32 v4, v9, v2, vcc
	v_cndmask_b32_e64 v2, 0, 1, vcc
	v_lshrrev_b64 v[2:3], v2, v[28:29]
; %bb.6173:                             ;   in Loop: Header=BB2_5898 Depth=3
	s_andn2_saveexec_b64 s[40:41], s[40:41]
; %bb.6174:                             ;   in Loop: Header=BB2_5898 Depth=3
	v_mov_b32_e32 v2, v28
	v_mov_b32_e32 v3, v29
	v_bfe_u32 v4, v28, 23, 1
; %bb.6175:                             ;   in Loop: Header=BB2_5898 Depth=3
	s_or_b64 exec, exec, s[40:41]
	v_lshrrev_b64 v[2:3], 21, v[2:3]
	v_cmp_gt_i32_e32 vcc, 32, v4
	v_cndmask_b32_e32 v3, 0, v3, vcc
	v_cndmask_b32_e32 v2, 3, v2, vcc
	v_cmp_eq_u64_e64 s[40:41], 0, v[2:3]
	v_min_i32_e32 v3, 31, v4
	v_lshlrev_b32_e32 v3, 2, v3
	v_cmp_eq_u32_e32 vcc, 0, v4
	v_and_b32_e32 v3, 0xfc, v3
	v_and_or_b32 v2, v2, 3, v3
	s_and_b64 s[40:41], vcc, s[40:41]
	v_cndmask_b32_e64 v2, v2, 0, s[40:41]
	v_or_b32_e32 v59, v2, v8
.LBB2_6176:                             ;   in Loop: Header=BB2_5898 Depth=3
	s_or_b64 exec, exec, s[48:49]
                                        ; implicit-def: $vgpr8
.LBB2_6177:                             ;   in Loop: Header=BB2_5898 Depth=3
	s_andn2_saveexec_b64 s[40:41], s[38:39]
; %bb.6178:                             ;   in Loop: Header=BB2_5898 Depth=3
	v_or_b32_e32 v59, 0x7b, v8
; %bb.6179:                             ;   in Loop: Header=BB2_5898 Depth=3
	s_or_b64 exec, exec, s[40:41]
                                        ; implicit-def: $vgpr2
.LBB2_6180:                             ;   in Loop: Header=BB2_5898 Depth=3
	s_andn2_saveexec_b64 s[40:41], s[42:43]
	s_cbranch_execz .LBB2_6186
; %bb.6181:                             ;   in Loop: Header=BB2_5898 Depth=3
	v_cmp_ne_u64_e32 vcc, 0, v[28:29]
                                        ; implicit-def: $vgpr59
	s_and_saveexec_b64 s[42:43], vcc
	s_xor_b64 s[42:43], exec, s[42:43]
; %bb.6182:                             ;   in Loop: Header=BB2_5898 Depth=3
	v_or_b32_sdwa v59, v2, s47 dst_sel:DWORD dst_unused:UNUSED_PAD src0_sel:BYTE_3 src1_sel:DWORD
                                        ; implicit-def: $vgpr2
; %bb.6183:                             ;   in Loop: Header=BB2_5898 Depth=3
	s_andn2_saveexec_b64 s[42:43], s[42:43]
; %bb.6184:                             ;   in Loop: Header=BB2_5898 Depth=3
	v_cmp_lt_i32_e32 vcc, -1, v2
	v_cndmask_b32_e32 v59, v6, v22, vcc
; %bb.6185:                             ;   in Loop: Header=BB2_5898 Depth=3
	s_or_b64 exec, exec, s[42:43]
.LBB2_6186:                             ;   in Loop: Header=BB2_5898 Depth=3
	s_or_b64 exec, exec, s[40:41]
	v_lshrrev_b32_e32 v2, 16, v10
	v_cmp_ne_u16_sdwa s[42:43], v2, v29 src0_sel:BYTE_0 src1_sel:DWORD
	v_mov_b32_e32 v3, 0
	s_and_saveexec_b64 s[40:41], s[42:43]
	s_cbranch_execz .LBB2_6194
; %bb.6187:                             ;   in Loop: Header=BB2_5898 Depth=3
	v_cmp_ne_u16_sdwa vcc, v2, s96 src0_sel:BYTE_0 src1_sel:DWORD
	v_bfrev_b32_e32 v3, 1
	s_and_saveexec_b64 s[42:43], vcc
	s_cbranch_execz .LBB2_6193
; %bb.6188:                             ;   in Loop: Header=BB2_5898 Depth=3
	v_and_b32_e32 v3, 0x7c0000, v10
	v_bfe_u32 v4, v10, 16, 2
	v_cmp_ne_u32_e32 vcc, s44, v3
                                        ; implicit-def: $vgpr3
	s_and_saveexec_b64 s[38:39], vcc
	s_xor_b64 s[38:39], exec, s[38:39]
	s_cbranch_execz .LBB2_6190
; %bb.6189:                             ;   in Loop: Header=BB2_5898 Depth=3
	v_ffbh_u32_e32 v3, v4
	v_min_u32_e32 v9, 32, v3
	v_subrev_u32_e32 v3, 29, v9
	v_lshlrev_b64 v[2:3], v3, v[2:3]
	v_bfe_u32 v8, v10, 18, 5
	v_and_b32_e32 v2, 3, v2
	v_cmp_eq_u32_e32 vcc, 0, v8
	v_sub_u32_e32 v3, 30, v9
	v_cndmask_b32_e32 v2, v4, v2, vcc
	v_lshlrev_b32_e32 v4, 8, v10
	v_cndmask_b32_e32 v3, v8, v3, vcc
	v_and_b32_e32 v4, 0x80000000, v4
	v_lshl_add_u32 v3, v3, 23, v4
	v_lshl_or_b32 v2, v2, 21, v3
	v_add_u32_e32 v3, 0x38000000, v2
                                        ; implicit-def: $vgpr4
                                        ; implicit-def: $vgpr2
.LBB2_6190:                             ;   in Loop: Header=BB2_5898 Depth=3
	s_andn2_saveexec_b64 s[38:39], s[38:39]
; %bb.6191:                             ;   in Loop: Header=BB2_5898 Depth=3
	v_cmp_gt_i16_sdwa vcc, sext(v2), v48 src0_sel:BYTE_0 src1_sel:DWORD
	v_cndmask_b32_e32 v2, v7, v0, vcc
	v_cmp_eq_u32_e32 vcc, 0, v4
	v_cndmask_b32_e32 v3, v35, v2, vcc
; %bb.6192:                             ;   in Loop: Header=BB2_5898 Depth=3
	s_or_b64 exec, exec, s[38:39]
.LBB2_6193:                             ;   in Loop: Header=BB2_5898 Depth=3
	s_or_b64 exec, exec, s[42:43]
.LBB2_6194:                             ;   in Loop: Header=BB2_5898 Depth=3
	s_or_b64 exec, exec, s[40:41]
	v_mul_f32_e32 v2, v23, v3
	v_and_b32_e32 v3, 0x7f800000, v2
	v_mov_b32_e32 v4, v29
	v_cmp_ne_u64_e32 vcc, s[76:77], v[3:4]
	v_and_b32_e32 v28, 0x7fffff, v2
                                        ; implicit-def: $vgpr17
	s_and_saveexec_b64 s[40:41], vcc
	s_xor_b64 s[42:43], exec, s[40:41]
	s_cbranch_execz .LBB2_6208
; %bb.6195:                             ;   in Loop: Header=BB2_5898 Depth=3
	v_and_b32_e32 v3, 0x7fffffff, v2
	v_mov_b32_e32 v4, v29
	v_cmp_gt_u64_e32 vcc, s[78:79], v[3:4]
	v_and_b32_sdwa v8, v2, s96 dst_sel:DWORD dst_unused:UNUSED_PAD src0_sel:BYTE_3 src1_sel:DWORD
                                        ; implicit-def: $vgpr17
	s_and_saveexec_b64 s[40:41], vcc
	s_xor_b64 s[38:39], exec, s[40:41]
	s_cbranch_execz .LBB2_6205
; %bb.6196:                             ;   in Loop: Header=BB2_5898 Depth=3
	v_mov_b32_e32 v17, 0
	v_cmp_ne_u32_e32 vcc, 0, v2
	s_and_saveexec_b64 s[48:49], vcc
	s_cbranch_execz .LBB2_6204
; %bb.6197:                             ;   in Loop: Header=BB2_5898 Depth=3
	v_bfe_u32 v9, v2, 23, 8
	v_cmp_gt_u32_e64 s[40:41], s46, v9
	v_sub_u32_e32 v2, 0x71, v9
	v_cmp_eq_u32_e32 vcc, 0, v9
	v_cndmask_b32_e64 v2, 0, v2, s[40:41]
	v_mov_b32_e32 v4, 0x70
	v_cndmask_b32_e32 v17, v2, v4, vcc
	v_add_u32_e32 v4, 21, v17
	v_or_b32_e32 v3, 0x800000, v28
	v_lshlrev_b64 v[37:38], v4, -1
	v_cndmask_b32_e32 v2, v3, v28, vcc
	v_mov_b32_e32 v3, v29
	v_add_u32_e32 v4, 20, v17
	v_bfi_b32 v37, v37, 0, v2
	v_lshlrev_b64 v[39:40], v4, 1
	v_lshrrev_b64 v[2:3], v17, v[2:3]
	v_bfi_b32 v38, v38, 0, 0
	v_cmp_eq_u64_e64 s[40:41], v[37:38], v[39:40]
	v_mov_b32_e32 v4, v3
	v_mov_b32_e32 v3, v2
	s_and_saveexec_b64 s[50:51], s[40:41]
; %bb.6198:                             ;   in Loop: Header=BB2_5898 Depth=3
	v_bfe_u32 v3, v2, 21, 1
	v_add_co_u32_e64 v3, s[40:41], v2, v3
	v_add_co_u32_e64 v3, s[40:41], -1, v3
; %bb.6199:                             ;   in Loop: Header=BB2_5898 Depth=3
	s_or_b64 exec, exec, s[50:51]
	v_add_u32_e32 v4, 0xffffff81, v9
	v_cndmask_b32_e32 v4, v4, v1, vcc
	v_lshrrev_b32_e32 v9, 23, v2
	v_add3_u32 v17, v17, v4, v9
	v_add_u32_e32 v9, 14, v17
	v_and_b32_e32 v3, 0x1fffff, v3
	v_add_u32_e32 v28, v3, v2
	v_cmp_ne_u32_e32 vcc, 0, v9
                                        ; implicit-def: $vgpr2_vgpr3
                                        ; implicit-def: $vgpr4
	s_and_saveexec_b64 s[40:41], vcc
	s_xor_b64 s[40:41], exec, s[40:41]
; %bb.6200:                             ;   in Loop: Header=BB2_5898 Depth=3
	v_cmp_lt_u64_e32 vcc, s[88:89], v[28:29]
	v_add_u32_e32 v2, 15, v17
	v_cndmask_b32_e32 v4, v9, v2, vcc
	v_cndmask_b32_e64 v2, 0, 1, vcc
	v_lshrrev_b64 v[2:3], v2, v[28:29]
; %bb.6201:                             ;   in Loop: Header=BB2_5898 Depth=3
	s_andn2_saveexec_b64 s[40:41], s[40:41]
; %bb.6202:                             ;   in Loop: Header=BB2_5898 Depth=3
	v_mov_b32_e32 v2, v28
	v_mov_b32_e32 v3, v29
	v_bfe_u32 v4, v28, 23, 1
; %bb.6203:                             ;   in Loop: Header=BB2_5898 Depth=3
	s_or_b64 exec, exec, s[40:41]
	v_lshrrev_b64 v[2:3], 21, v[2:3]
	v_cmp_gt_i32_e32 vcc, 32, v4
	v_cndmask_b32_e32 v3, 0, v3, vcc
	v_cndmask_b32_e32 v2, 3, v2, vcc
	v_cmp_eq_u64_e64 s[40:41], 0, v[2:3]
	v_min_i32_e32 v3, 31, v4
	v_lshlrev_b32_e32 v3, 2, v3
	v_cmp_eq_u32_e32 vcc, 0, v4
	v_and_b32_e32 v3, 0xfc, v3
	v_and_or_b32 v2, v2, 3, v3
	s_and_b64 s[40:41], vcc, s[40:41]
	v_cndmask_b32_e64 v2, v2, 0, s[40:41]
	v_or_b32_e32 v17, v2, v8
.LBB2_6204:                             ;   in Loop: Header=BB2_5898 Depth=3
	s_or_b64 exec, exec, s[48:49]
                                        ; implicit-def: $vgpr8
.LBB2_6205:                             ;   in Loop: Header=BB2_5898 Depth=3
	s_andn2_saveexec_b64 s[40:41], s[38:39]
; %bb.6206:                             ;   in Loop: Header=BB2_5898 Depth=3
	v_or_b32_e32 v17, 0x7b, v8
; %bb.6207:                             ;   in Loop: Header=BB2_5898 Depth=3
	s_or_b64 exec, exec, s[40:41]
                                        ; implicit-def: $vgpr2
.LBB2_6208:                             ;   in Loop: Header=BB2_5898 Depth=3
	s_andn2_saveexec_b64 s[40:41], s[42:43]
	s_cbranch_execz .LBB2_6214
; %bb.6209:                             ;   in Loop: Header=BB2_5898 Depth=3
	v_cmp_ne_u64_e32 vcc, 0, v[28:29]
                                        ; implicit-def: $vgpr17
	s_and_saveexec_b64 s[42:43], vcc
	s_xor_b64 s[42:43], exec, s[42:43]
; %bb.6210:                             ;   in Loop: Header=BB2_5898 Depth=3
	v_or_b32_sdwa v17, v2, s47 dst_sel:DWORD dst_unused:UNUSED_PAD src0_sel:BYTE_3 src1_sel:DWORD
                                        ; implicit-def: $vgpr2
; %bb.6211:                             ;   in Loop: Header=BB2_5898 Depth=3
	s_andn2_saveexec_b64 s[42:43], s[42:43]
; %bb.6212:                             ;   in Loop: Header=BB2_5898 Depth=3
	v_cmp_lt_i32_e32 vcc, -1, v2
	v_cndmask_b32_e32 v17, v6, v22, vcc
; %bb.6213:                             ;   in Loop: Header=BB2_5898 Depth=3
	s_or_b64 exec, exec, s[42:43]
.LBB2_6214:                             ;   in Loop: Header=BB2_5898 Depth=3
	s_or_b64 exec, exec, s[40:41]
	v_cmp_lt_u32_e32 vcc, s57, v10
	v_mov_b32_e32 v3, 0
	s_and_saveexec_b64 s[40:41], vcc
	s_cbranch_execz .LBB2_6222
; %bb.6215:                             ;   in Loop: Header=BB2_5898 Depth=3
	v_lshrrev_b32_e32 v2, 24, v10
	v_cmp_ne_u32_e32 vcc, s96, v2
	v_bfrev_b32_e32 v3, 1
	s_and_saveexec_b64 s[42:43], vcc
	s_cbranch_execz .LBB2_6221
; %bb.6216:                             ;   in Loop: Header=BB2_5898 Depth=3
	v_and_b32_e32 v3, 0x7c000000, v10
	v_bfe_u32 v4, v10, 24, 2
	v_cmp_ne_u32_e32 vcc, s45, v3
                                        ; implicit-def: $vgpr3
	s_and_saveexec_b64 s[38:39], vcc
	s_xor_b64 s[38:39], exec, s[38:39]
	s_cbranch_execz .LBB2_6218
; %bb.6217:                             ;   in Loop: Header=BB2_5898 Depth=3
	v_ffbh_u32_e32 v3, v4
	v_min_u32_e32 v9, 32, v3
	v_subrev_u32_e32 v3, 29, v9
	v_lshlrev_b64 v[2:3], v3, v[2:3]
	v_bfe_u32 v8, v10, 26, 5
	v_sub_u32_e32 v3, 30, v9
	v_and_b32_e32 v2, 3, v2
	v_cmp_eq_u32_e32 vcc, 0, v8
	v_cndmask_b32_e32 v3, v8, v3, vcc
	v_cndmask_b32_e32 v2, v4, v2, vcc
	v_and_b32_e32 v4, 0x80000000, v10
	v_lshl_add_u32 v3, v3, 23, v4
	v_lshl_or_b32 v2, v2, 21, v3
	v_add_u32_e32 v3, 0x38000000, v2
                                        ; implicit-def: $vgpr4
.LBB2_6218:                             ;   in Loop: Header=BB2_5898 Depth=3
	s_andn2_saveexec_b64 s[38:39], s[38:39]
; %bb.6219:                             ;   in Loop: Header=BB2_5898 Depth=3
	v_cmp_lt_i32_e32 vcc, -1, v10
	v_cndmask_b32_e32 v2, v7, v0, vcc
	v_cmp_eq_u32_e32 vcc, 0, v4
	v_cndmask_b32_e32 v3, v35, v2, vcc
; %bb.6220:                             ;   in Loop: Header=BB2_5898 Depth=3
	s_or_b64 exec, exec, s[38:39]
.LBB2_6221:                             ;   in Loop: Header=BB2_5898 Depth=3
	s_or_b64 exec, exec, s[42:43]
.LBB2_6222:                             ;   in Loop: Header=BB2_5898 Depth=3
	s_or_b64 exec, exec, s[40:41]
	v_mul_f32_e32 v2, v23, v3
	v_and_b32_e32 v3, 0x7f800000, v2
	v_mov_b32_e32 v4, v29
	v_cmp_ne_u64_e32 vcc, s[76:77], v[3:4]
	v_and_b32_e32 v28, 0x7fffff, v2
                                        ; implicit-def: $vgpr18
	s_and_saveexec_b64 s[40:41], vcc
	s_xor_b64 s[42:43], exec, s[40:41]
	s_cbranch_execz .LBB2_6236
; %bb.6223:                             ;   in Loop: Header=BB2_5898 Depth=3
	v_and_b32_e32 v3, 0x7fffffff, v2
	v_mov_b32_e32 v4, v29
	v_cmp_gt_u64_e32 vcc, s[78:79], v[3:4]
	v_and_b32_sdwa v8, v2, s96 dst_sel:DWORD dst_unused:UNUSED_PAD src0_sel:BYTE_3 src1_sel:DWORD
                                        ; implicit-def: $vgpr18
	s_and_saveexec_b64 s[40:41], vcc
	s_xor_b64 s[38:39], exec, s[40:41]
	s_cbranch_execz .LBB2_6233
; %bb.6224:                             ;   in Loop: Header=BB2_5898 Depth=3
	v_mov_b32_e32 v18, 0
	v_cmp_ne_u32_e32 vcc, 0, v2
	s_and_saveexec_b64 s[48:49], vcc
	s_cbranch_execz .LBB2_6232
; %bb.6225:                             ;   in Loop: Header=BB2_5898 Depth=3
	v_bfe_u32 v9, v2, 23, 8
	v_cmp_gt_u32_e64 s[40:41], s46, v9
	v_sub_u32_e32 v2, 0x71, v9
	v_cmp_eq_u32_e32 vcc, 0, v9
	v_cndmask_b32_e64 v2, 0, v2, s[40:41]
	v_mov_b32_e32 v4, 0x70
	v_cndmask_b32_e32 v18, v2, v4, vcc
	v_add_u32_e32 v4, 21, v18
	v_or_b32_e32 v3, 0x800000, v28
	v_lshlrev_b64 v[37:38], v4, -1
	v_cndmask_b32_e32 v2, v3, v28, vcc
	v_mov_b32_e32 v3, v29
	v_add_u32_e32 v4, 20, v18
	v_bfi_b32 v37, v37, 0, v2
	v_lshlrev_b64 v[39:40], v4, 1
	v_lshrrev_b64 v[2:3], v18, v[2:3]
	v_bfi_b32 v38, v38, 0, 0
	v_cmp_eq_u64_e64 s[40:41], v[37:38], v[39:40]
	v_mov_b32_e32 v4, v3
	v_mov_b32_e32 v3, v2
	s_and_saveexec_b64 s[50:51], s[40:41]
; %bb.6226:                             ;   in Loop: Header=BB2_5898 Depth=3
	v_bfe_u32 v3, v2, 21, 1
	v_add_co_u32_e64 v3, s[40:41], v2, v3
	v_add_co_u32_e64 v3, s[40:41], -1, v3
; %bb.6227:                             ;   in Loop: Header=BB2_5898 Depth=3
	s_or_b64 exec, exec, s[50:51]
	v_add_u32_e32 v4, 0xffffff81, v9
	v_cndmask_b32_e32 v4, v4, v1, vcc
	v_lshrrev_b32_e32 v9, 23, v2
	v_add3_u32 v18, v18, v4, v9
	v_add_u32_e32 v9, 14, v18
	v_and_b32_e32 v3, 0x1fffff, v3
	v_add_u32_e32 v28, v3, v2
	v_cmp_ne_u32_e32 vcc, 0, v9
                                        ; implicit-def: $vgpr2_vgpr3
                                        ; implicit-def: $vgpr4
	s_and_saveexec_b64 s[40:41], vcc
	s_xor_b64 s[40:41], exec, s[40:41]
; %bb.6228:                             ;   in Loop: Header=BB2_5898 Depth=3
	v_cmp_lt_u64_e32 vcc, s[88:89], v[28:29]
	v_add_u32_e32 v2, 15, v18
	v_cndmask_b32_e32 v4, v9, v2, vcc
	v_cndmask_b32_e64 v2, 0, 1, vcc
	v_lshrrev_b64 v[2:3], v2, v[28:29]
; %bb.6229:                             ;   in Loop: Header=BB2_5898 Depth=3
	s_andn2_saveexec_b64 s[40:41], s[40:41]
; %bb.6230:                             ;   in Loop: Header=BB2_5898 Depth=3
	v_mov_b32_e32 v2, v28
	v_mov_b32_e32 v3, v29
	v_bfe_u32 v4, v28, 23, 1
; %bb.6231:                             ;   in Loop: Header=BB2_5898 Depth=3
	s_or_b64 exec, exec, s[40:41]
	v_lshrrev_b64 v[2:3], 21, v[2:3]
	v_cmp_gt_i32_e32 vcc, 32, v4
	v_cndmask_b32_e32 v3, 0, v3, vcc
	v_cndmask_b32_e32 v2, 3, v2, vcc
	v_cmp_eq_u64_e64 s[40:41], 0, v[2:3]
	v_min_i32_e32 v3, 31, v4
	v_lshlrev_b32_e32 v3, 2, v3
	v_cmp_eq_u32_e32 vcc, 0, v4
	v_and_b32_e32 v3, 0xfc, v3
	v_and_or_b32 v2, v2, 3, v3
	s_and_b64 s[40:41], vcc, s[40:41]
	v_cndmask_b32_e64 v2, v2, 0, s[40:41]
	v_or_b32_e32 v18, v2, v8
.LBB2_6232:                             ;   in Loop: Header=BB2_5898 Depth=3
	s_or_b64 exec, exec, s[48:49]
                                        ; implicit-def: $vgpr8
.LBB2_6233:                             ;   in Loop: Header=BB2_5898 Depth=3
	s_andn2_saveexec_b64 s[40:41], s[38:39]
; %bb.6234:                             ;   in Loop: Header=BB2_5898 Depth=3
	v_or_b32_e32 v18, 0x7b, v8
; %bb.6235:                             ;   in Loop: Header=BB2_5898 Depth=3
	s_or_b64 exec, exec, s[40:41]
                                        ; implicit-def: $vgpr2
.LBB2_6236:                             ;   in Loop: Header=BB2_5898 Depth=3
	s_andn2_saveexec_b64 s[40:41], s[42:43]
	s_cbranch_execz .LBB2_6242
; %bb.6237:                             ;   in Loop: Header=BB2_5898 Depth=3
	v_cmp_ne_u64_e32 vcc, 0, v[28:29]
                                        ; implicit-def: $vgpr18
	s_and_saveexec_b64 s[42:43], vcc
	s_xor_b64 s[42:43], exec, s[42:43]
; %bb.6238:                             ;   in Loop: Header=BB2_5898 Depth=3
	v_or_b32_sdwa v18, v2, s47 dst_sel:DWORD dst_unused:UNUSED_PAD src0_sel:BYTE_3 src1_sel:DWORD
                                        ; implicit-def: $vgpr2
; %bb.6239:                             ;   in Loop: Header=BB2_5898 Depth=3
	s_andn2_saveexec_b64 s[42:43], s[42:43]
; %bb.6240:                             ;   in Loop: Header=BB2_5898 Depth=3
	v_cmp_lt_i32_e32 vcc, -1, v2
	v_cndmask_b32_e32 v18, v6, v22, vcc
; %bb.6241:                             ;   in Loop: Header=BB2_5898 Depth=3
	s_or_b64 exec, exec, s[42:43]
.LBB2_6242:                             ;   in Loop: Header=BB2_5898 Depth=3
	s_or_b64 exec, exec, s[40:41]
	v_mov_b32_e32 v28, v11
	v_cmp_ne_u16_sdwa s[42:43], v11, v29 src0_sel:BYTE_0 src1_sel:DWORD
	v_mov_b32_e32 v2, 0
	s_and_saveexec_b64 s[40:41], s[42:43]
	s_cbranch_execz .LBB2_6250
; %bb.6243:                             ;   in Loop: Header=BB2_5898 Depth=3
	v_cmp_ne_u16_sdwa vcc, v11, s96 src0_sel:BYTE_0 src1_sel:DWORD
	v_bfrev_b32_e32 v2, 1
	s_and_saveexec_b64 s[42:43], vcc
	s_cbranch_execz .LBB2_6249
; %bb.6244:                             ;   in Loop: Header=BB2_5898 Depth=3
	v_and_b32_e32 v2, 0x7c, v11
	v_and_b32_e32 v3, 3, v11
	v_cmp_ne_u32_e32 vcc, s85, v2
                                        ; implicit-def: $vgpr2
	s_and_saveexec_b64 s[38:39], vcc
	s_xor_b64 s[38:39], exec, s[38:39]
	s_cbranch_execz .LBB2_6246
; %bb.6245:                             ;   in Loop: Header=BB2_5898 Depth=3
	v_ffbh_u32_e32 v4, v3
	v_min_u32_e32 v4, 32, v4
	v_bfe_u32 v2, v11, 2, 5
	v_subrev_u32_e32 v8, 29, v4
	v_lshlrev_b64 v[8:9], v8, v[28:29]
	v_sub_u32_e32 v4, 30, v4
	v_cmp_eq_u32_e32 vcc, 0, v2
	v_cndmask_b32_e32 v2, v2, v4, vcc
	v_lshlrev_b32_e32 v4, 24, v11
	v_and_b32_e32 v8, 3, v8
	v_and_b32_e32 v4, 0x80000000, v4
	v_cndmask_b32_e32 v3, v3, v8, vcc
	v_lshl_add_u32 v2, v2, 23, v4
	v_lshl_or_b32 v2, v3, 21, v2
	v_add_u32_e32 v2, 0x38000000, v2
                                        ; implicit-def: $vgpr3
.LBB2_6246:                             ;   in Loop: Header=BB2_5898 Depth=3
	s_andn2_saveexec_b64 s[38:39], s[38:39]
; %bb.6247:                             ;   in Loop: Header=BB2_5898 Depth=3
	v_cmp_gt_i16_sdwa vcc, sext(v11), v48 src0_sel:BYTE_0 src1_sel:DWORD
	v_cndmask_b32_e32 v2, v7, v0, vcc
	v_cmp_eq_u32_e32 vcc, 0, v3
	v_cndmask_b32_e32 v2, v35, v2, vcc
; %bb.6248:                             ;   in Loop: Header=BB2_5898 Depth=3
	s_or_b64 exec, exec, s[38:39]
.LBB2_6249:                             ;   in Loop: Header=BB2_5898 Depth=3
	s_or_b64 exec, exec, s[42:43]
.LBB2_6250:                             ;   in Loop: Header=BB2_5898 Depth=3
	s_or_b64 exec, exec, s[40:41]
	v_mul_f32_e32 v4, v23, v2
	v_and_b32_e32 v8, 0x7f800000, v4
	v_mov_b32_e32 v9, v29
	v_cmp_ne_u64_e32 vcc, s[76:77], v[8:9]
	v_and_b32_e32 v2, 0x7fffff, v4
	v_mov_b32_e32 v3, v29
                                        ; implicit-def: $vgpr37
	s_and_saveexec_b64 s[40:41], vcc
	s_xor_b64 s[42:43], exec, s[40:41]
	s_cbranch_execz .LBB2_6264
; %bb.6251:                             ;   in Loop: Header=BB2_5898 Depth=3
	v_and_b32_e32 v8, 0x7fffffff, v4
	v_mov_b32_e32 v9, v29
	v_cmp_gt_u64_e32 vcc, s[78:79], v[8:9]
	v_and_b32_sdwa v8, v4, s96 dst_sel:DWORD dst_unused:UNUSED_PAD src0_sel:BYTE_3 src1_sel:DWORD
                                        ; implicit-def: $vgpr37
	s_and_saveexec_b64 s[40:41], vcc
	s_xor_b64 s[38:39], exec, s[40:41]
	s_cbranch_execz .LBB2_6261
; %bb.6252:                             ;   in Loop: Header=BB2_5898 Depth=3
	v_mov_b32_e32 v37, 0
	v_cmp_ne_u32_e32 vcc, 0, v4
	s_and_saveexec_b64 s[48:49], vcc
	s_cbranch_execz .LBB2_6260
; %bb.6253:                             ;   in Loop: Header=BB2_5898 Depth=3
	v_bfe_u32 v9, v4, 23, 8
	v_cmp_gt_u32_e64 s[40:41], s46, v9
	v_sub_u32_e32 v4, 0x71, v9
	v_cmp_eq_u32_e32 vcc, 0, v9
	v_cndmask_b32_e64 v4, 0, v4, s[40:41]
	v_mov_b32_e32 v37, 0x70
	v_cndmask_b32_e32 v37, v4, v37, vcc
	v_or_b32_e32 v38, 0x800000, v2
	v_add_u32_e32 v4, 21, v37
	v_cndmask_b32_e32 v2, v38, v2, vcc
	v_lshlrev_b64 v[38:39], v4, -1
	v_add_u32_e32 v4, 20, v37
	v_bfi_b32 v38, v38, 0, v2
	v_lshlrev_b64 v[40:41], v4, 1
	v_lshrrev_b64 v[2:3], v37, v[2:3]
	v_bfi_b32 v39, v39, 0, 0
	v_cmp_eq_u64_e64 s[40:41], v[38:39], v[40:41]
	v_mov_b32_e32 v4, v3
	v_mov_b32_e32 v3, v2
	s_and_saveexec_b64 s[50:51], s[40:41]
; %bb.6254:                             ;   in Loop: Header=BB2_5898 Depth=3
	v_bfe_u32 v3, v2, 21, 1
	v_add_co_u32_e64 v3, s[40:41], v2, v3
	v_add_co_u32_e64 v3, s[40:41], -1, v3
; %bb.6255:                             ;   in Loop: Header=BB2_5898 Depth=3
	s_or_b64 exec, exec, s[50:51]
	v_add_u32_e32 v4, 0xffffff81, v9
	v_cndmask_b32_e32 v4, v4, v1, vcc
	v_lshrrev_b32_e32 v9, 23, v2
	v_add3_u32 v37, v37, v4, v9
	v_add_u32_e32 v9, 14, v37
	v_and_b32_e32 v3, 0x1fffff, v3
	v_add_u32_e32 v2, v3, v2
	v_mov_b32_e32 v3, v29
	v_cmp_ne_u32_e32 vcc, 0, v9
                                        ; implicit-def: $vgpr4
	s_and_saveexec_b64 s[40:41], vcc
	s_xor_b64 s[40:41], exec, s[40:41]
; %bb.6256:                             ;   in Loop: Header=BB2_5898 Depth=3
	v_cmp_lt_u64_e32 vcc, s[88:89], v[2:3]
	v_add_u32_e32 v4, 15, v37
	v_cndmask_b32_e32 v4, v9, v4, vcc
	v_cndmask_b32_e64 v9, 0, 1, vcc
	v_lshrrev_b64 v[2:3], v9, v[2:3]
; %bb.6257:                             ;   in Loop: Header=BB2_5898 Depth=3
	s_andn2_saveexec_b64 s[40:41], s[40:41]
; %bb.6258:                             ;   in Loop: Header=BB2_5898 Depth=3
	v_bfe_u32 v4, v2, 23, 1
; %bb.6259:                             ;   in Loop: Header=BB2_5898 Depth=3
	s_or_b64 exec, exec, s[40:41]
	v_lshrrev_b64 v[2:3], 21, v[2:3]
	v_cmp_gt_i32_e32 vcc, 32, v4
	v_cndmask_b32_e32 v3, 0, v3, vcc
	v_cndmask_b32_e32 v2, 3, v2, vcc
	v_cmp_eq_u64_e64 s[40:41], 0, v[2:3]
	v_min_i32_e32 v3, 31, v4
	v_lshlrev_b32_e32 v3, 2, v3
	v_cmp_eq_u32_e32 vcc, 0, v4
	v_and_b32_e32 v3, 0xfc, v3
	v_and_or_b32 v2, v2, 3, v3
	s_and_b64 s[40:41], vcc, s[40:41]
	v_cndmask_b32_e64 v2, v2, 0, s[40:41]
	v_or_b32_e32 v37, v2, v8
.LBB2_6260:                             ;   in Loop: Header=BB2_5898 Depth=3
	s_or_b64 exec, exec, s[48:49]
                                        ; implicit-def: $vgpr8
.LBB2_6261:                             ;   in Loop: Header=BB2_5898 Depth=3
	s_andn2_saveexec_b64 s[40:41], s[38:39]
; %bb.6262:                             ;   in Loop: Header=BB2_5898 Depth=3
	v_or_b32_e32 v37, 0x7b, v8
; %bb.6263:                             ;   in Loop: Header=BB2_5898 Depth=3
	s_or_b64 exec, exec, s[40:41]
                                        ; implicit-def: $vgpr4
                                        ; implicit-def: $vgpr2_vgpr3
.LBB2_6264:                             ;   in Loop: Header=BB2_5898 Depth=3
	s_andn2_saveexec_b64 s[40:41], s[42:43]
	s_cbranch_execz .LBB2_6270
; %bb.6265:                             ;   in Loop: Header=BB2_5898 Depth=3
	v_cmp_ne_u64_e32 vcc, 0, v[2:3]
                                        ; implicit-def: $vgpr37
	s_and_saveexec_b64 s[42:43], vcc
	s_xor_b64 s[42:43], exec, s[42:43]
; %bb.6266:                             ;   in Loop: Header=BB2_5898 Depth=3
	v_or_b32_sdwa v37, v4, s47 dst_sel:DWORD dst_unused:UNUSED_PAD src0_sel:BYTE_3 src1_sel:DWORD
                                        ; implicit-def: $vgpr4
; %bb.6267:                             ;   in Loop: Header=BB2_5898 Depth=3
	s_andn2_saveexec_b64 s[42:43], s[42:43]
; %bb.6268:                             ;   in Loop: Header=BB2_5898 Depth=3
	v_cmp_lt_i32_e32 vcc, -1, v4
	v_cndmask_b32_e32 v37, v6, v22, vcc
; %bb.6269:                             ;   in Loop: Header=BB2_5898 Depth=3
	s_or_b64 exec, exec, s[42:43]
.LBB2_6270:                             ;   in Loop: Header=BB2_5898 Depth=3
	s_or_b64 exec, exec, s[40:41]
	v_lshrrev_b16_e32 v2, 8, v28
	v_cmp_ne_u16_e32 vcc, 0, v2
	v_mov_b32_e32 v3, 0
	s_and_saveexec_b64 s[40:41], vcc
	s_cbranch_execz .LBB2_6278
; %bb.6271:                             ;   in Loop: Header=BB2_5898 Depth=3
	v_cmp_ne_u16_e32 vcc, s96, v2
	v_bfrev_b32_e32 v3, 1
	s_and_saveexec_b64 s[42:43], vcc
	s_cbranch_execz .LBB2_6277
; %bb.6272:                             ;   in Loop: Header=BB2_5898 Depth=3
	v_and_b32_e32 v3, 0x7c, v2
	v_and_b32_e32 v4, 3, v2
	v_cmp_ne_u32_e32 vcc, s85, v3
                                        ; implicit-def: $vgpr3
	s_and_saveexec_b64 s[38:39], vcc
	s_xor_b64 s[38:39], exec, s[38:39]
	s_cbranch_execz .LBB2_6274
; %bb.6273:                             ;   in Loop: Header=BB2_5898 Depth=3
	v_ffbh_u32_e32 v9, v4
	v_min_u32_e32 v9, 32, v9
	v_mov_b32_e32 v3, v29
	v_subrev_u32_e32 v38, 29, v9
	v_bfe_u32 v8, v2, 2, 5
	v_lshlrev_b64 v[2:3], v38, v[2:3]
	v_cmp_eq_u32_e32 vcc, 0, v8
	v_and_b32_e32 v2, 3, v2
	v_sub_u32_e32 v3, 30, v9
	v_cndmask_b32_e32 v2, v4, v2, vcc
	v_lshlrev_b32_e32 v4, 16, v28
	v_cndmask_b32_e32 v3, v8, v3, vcc
	v_and_b32_e32 v4, 0x80000000, v4
	v_lshl_add_u32 v3, v3, 23, v4
	v_lshl_or_b32 v2, v2, 21, v3
	v_add_u32_e32 v3, 0x38000000, v2
                                        ; implicit-def: $vgpr4
.LBB2_6274:                             ;   in Loop: Header=BB2_5898 Depth=3
	s_andn2_saveexec_b64 s[38:39], s[38:39]
; %bb.6275:                             ;   in Loop: Header=BB2_5898 Depth=3
	v_cmp_lt_i16_e32 vcc, -1, v28
	v_cndmask_b32_e32 v2, v7, v0, vcc
	v_cmp_eq_u32_e32 vcc, 0, v4
	v_cndmask_b32_e32 v3, v35, v2, vcc
; %bb.6276:                             ;   in Loop: Header=BB2_5898 Depth=3
	s_or_b64 exec, exec, s[38:39]
.LBB2_6277:                             ;   in Loop: Header=BB2_5898 Depth=3
	s_or_b64 exec, exec, s[42:43]
.LBB2_6278:                             ;   in Loop: Header=BB2_5898 Depth=3
	s_or_b64 exec, exec, s[40:41]
	v_mul_f32_e32 v2, v23, v3
	v_and_b32_e32 v3, 0x7f800000, v2
	v_mov_b32_e32 v4, v29
	v_cmp_ne_u64_e32 vcc, s[76:77], v[3:4]
	v_and_b32_e32 v28, 0x7fffff, v2
                                        ; implicit-def: $vgpr53
	s_and_saveexec_b64 s[40:41], vcc
	s_xor_b64 s[42:43], exec, s[40:41]
	s_cbranch_execz .LBB2_6292
; %bb.6279:                             ;   in Loop: Header=BB2_5898 Depth=3
	v_and_b32_e32 v3, 0x7fffffff, v2
	v_mov_b32_e32 v4, v29
	v_cmp_gt_u64_e32 vcc, s[78:79], v[3:4]
	v_and_b32_sdwa v8, v2, s96 dst_sel:DWORD dst_unused:UNUSED_PAD src0_sel:BYTE_3 src1_sel:DWORD
                                        ; implicit-def: $vgpr53
	s_and_saveexec_b64 s[40:41], vcc
	s_xor_b64 s[38:39], exec, s[40:41]
	s_cbranch_execz .LBB2_6289
; %bb.6280:                             ;   in Loop: Header=BB2_5898 Depth=3
	v_mov_b32_e32 v53, 0
	v_cmp_ne_u32_e32 vcc, 0, v2
	s_and_saveexec_b64 s[48:49], vcc
	s_cbranch_execz .LBB2_6288
; %bb.6281:                             ;   in Loop: Header=BB2_5898 Depth=3
	v_bfe_u32 v9, v2, 23, 8
	v_cmp_gt_u32_e64 s[40:41], s46, v9
	v_sub_u32_e32 v2, 0x71, v9
	v_cmp_eq_u32_e32 vcc, 0, v9
	v_cndmask_b32_e64 v2, 0, v2, s[40:41]
	v_mov_b32_e32 v4, 0x70
	v_cndmask_b32_e32 v49, v2, v4, vcc
	v_add_u32_e32 v4, 21, v49
	v_or_b32_e32 v3, 0x800000, v28
	v_lshlrev_b64 v[38:39], v4, -1
	v_cndmask_b32_e32 v2, v3, v28, vcc
	v_mov_b32_e32 v3, v29
	v_add_u32_e32 v4, 20, v49
	v_bfi_b32 v38, v38, 0, v2
	v_lshlrev_b64 v[40:41], v4, 1
	v_lshrrev_b64 v[2:3], v49, v[2:3]
	v_bfi_b32 v39, v39, 0, 0
	v_cmp_eq_u64_e64 s[40:41], v[38:39], v[40:41]
	v_mov_b32_e32 v4, v3
	v_mov_b32_e32 v3, v2
	s_and_saveexec_b64 s[50:51], s[40:41]
; %bb.6282:                             ;   in Loop: Header=BB2_5898 Depth=3
	v_bfe_u32 v3, v2, 21, 1
	v_add_co_u32_e64 v3, s[40:41], v2, v3
	v_add_co_u32_e64 v3, s[40:41], -1, v3
; %bb.6283:                             ;   in Loop: Header=BB2_5898 Depth=3
	s_or_b64 exec, exec, s[50:51]
	v_add_u32_e32 v4, 0xffffff81, v9
	v_cndmask_b32_e32 v4, v4, v1, vcc
	v_lshrrev_b32_e32 v9, 23, v2
	v_add3_u32 v49, v49, v4, v9
	v_add_u32_e32 v9, 14, v49
	v_and_b32_e32 v3, 0x1fffff, v3
	v_add_u32_e32 v28, v3, v2
	v_cmp_ne_u32_e32 vcc, 0, v9
                                        ; implicit-def: $vgpr2_vgpr3
                                        ; implicit-def: $vgpr4
	s_and_saveexec_b64 s[40:41], vcc
	s_xor_b64 s[40:41], exec, s[40:41]
; %bb.6284:                             ;   in Loop: Header=BB2_5898 Depth=3
	v_cmp_lt_u64_e32 vcc, s[88:89], v[28:29]
	v_add_u32_e32 v2, 15, v49
	v_cndmask_b32_e32 v4, v9, v2, vcc
	v_cndmask_b32_e64 v2, 0, 1, vcc
	v_lshrrev_b64 v[2:3], v2, v[28:29]
; %bb.6285:                             ;   in Loop: Header=BB2_5898 Depth=3
	s_andn2_saveexec_b64 s[40:41], s[40:41]
; %bb.6286:                             ;   in Loop: Header=BB2_5898 Depth=3
	v_mov_b32_e32 v2, v28
	v_mov_b32_e32 v3, v29
	v_bfe_u32 v4, v28, 23, 1
; %bb.6287:                             ;   in Loop: Header=BB2_5898 Depth=3
	s_or_b64 exec, exec, s[40:41]
	v_lshrrev_b64 v[2:3], 21, v[2:3]
	v_cmp_gt_i32_e32 vcc, 32, v4
	v_cndmask_b32_e32 v3, 0, v3, vcc
	v_cndmask_b32_e32 v2, 3, v2, vcc
	v_cmp_eq_u64_e64 s[40:41], 0, v[2:3]
	v_min_i32_e32 v3, 31, v4
	v_lshlrev_b32_e32 v3, 2, v3
	v_cmp_eq_u32_e32 vcc, 0, v4
	v_and_b32_e32 v3, 0xfc, v3
	v_and_or_b32 v2, v2, 3, v3
	s_and_b64 s[40:41], vcc, s[40:41]
	v_cndmask_b32_e64 v2, v2, 0, s[40:41]
	v_or_b32_e32 v53, v2, v8
.LBB2_6288:                             ;   in Loop: Header=BB2_5898 Depth=3
	s_or_b64 exec, exec, s[48:49]
                                        ; implicit-def: $vgpr8
.LBB2_6289:                             ;   in Loop: Header=BB2_5898 Depth=3
	s_andn2_saveexec_b64 s[40:41], s[38:39]
; %bb.6290:                             ;   in Loop: Header=BB2_5898 Depth=3
	v_or_b32_e32 v53, 0x7b, v8
; %bb.6291:                             ;   in Loop: Header=BB2_5898 Depth=3
	s_or_b64 exec, exec, s[40:41]
                                        ; implicit-def: $vgpr2
.LBB2_6292:                             ;   in Loop: Header=BB2_5898 Depth=3
	s_andn2_saveexec_b64 s[40:41], s[42:43]
	s_cbranch_execz .LBB2_6298
; %bb.6293:                             ;   in Loop: Header=BB2_5898 Depth=3
	v_cmp_ne_u64_e32 vcc, 0, v[28:29]
                                        ; implicit-def: $vgpr53
	s_and_saveexec_b64 s[42:43], vcc
	s_xor_b64 s[42:43], exec, s[42:43]
; %bb.6294:                             ;   in Loop: Header=BB2_5898 Depth=3
	v_or_b32_sdwa v53, v2, s47 dst_sel:DWORD dst_unused:UNUSED_PAD src0_sel:BYTE_3 src1_sel:DWORD
                                        ; implicit-def: $vgpr2
; %bb.6295:                             ;   in Loop: Header=BB2_5898 Depth=3
	s_andn2_saveexec_b64 s[42:43], s[42:43]
; %bb.6296:                             ;   in Loop: Header=BB2_5898 Depth=3
	v_cmp_lt_i32_e32 vcc, -1, v2
	v_cndmask_b32_e32 v53, v6, v22, vcc
; %bb.6297:                             ;   in Loop: Header=BB2_5898 Depth=3
	s_or_b64 exec, exec, s[42:43]
.LBB2_6298:                             ;   in Loop: Header=BB2_5898 Depth=3
	s_or_b64 exec, exec, s[40:41]
	v_lshrrev_b32_e32 v2, 16, v11
	v_cmp_ne_u16_sdwa s[42:43], v2, v29 src0_sel:BYTE_0 src1_sel:DWORD
	v_mov_b32_e32 v3, 0
	s_and_saveexec_b64 s[40:41], s[42:43]
	s_cbranch_execz .LBB2_6306
; %bb.6299:                             ;   in Loop: Header=BB2_5898 Depth=3
	v_cmp_ne_u16_sdwa vcc, v2, s96 src0_sel:BYTE_0 src1_sel:DWORD
	v_bfrev_b32_e32 v3, 1
	s_and_saveexec_b64 s[42:43], vcc
	s_cbranch_execz .LBB2_6305
; %bb.6300:                             ;   in Loop: Header=BB2_5898 Depth=3
	v_and_b32_e32 v3, 0x7c0000, v11
	v_bfe_u32 v4, v11, 16, 2
	v_cmp_ne_u32_e32 vcc, s44, v3
                                        ; implicit-def: $vgpr3
	s_and_saveexec_b64 s[38:39], vcc
	s_xor_b64 s[38:39], exec, s[38:39]
	s_cbranch_execz .LBB2_6302
; %bb.6301:                             ;   in Loop: Header=BB2_5898 Depth=3
	v_ffbh_u32_e32 v3, v4
	v_min_u32_e32 v9, 32, v3
	v_subrev_u32_e32 v3, 29, v9
	v_lshlrev_b64 v[2:3], v3, v[2:3]
	v_bfe_u32 v8, v11, 18, 5
	v_and_b32_e32 v2, 3, v2
	v_cmp_eq_u32_e32 vcc, 0, v8
	v_sub_u32_e32 v3, 30, v9
	v_cndmask_b32_e32 v2, v4, v2, vcc
	v_lshlrev_b32_e32 v4, 8, v11
	v_cndmask_b32_e32 v3, v8, v3, vcc
	v_and_b32_e32 v4, 0x80000000, v4
	v_lshl_add_u32 v3, v3, 23, v4
	v_lshl_or_b32 v2, v2, 21, v3
	v_add_u32_e32 v3, 0x38000000, v2
                                        ; implicit-def: $vgpr4
                                        ; implicit-def: $vgpr2
.LBB2_6302:                             ;   in Loop: Header=BB2_5898 Depth=3
	s_andn2_saveexec_b64 s[38:39], s[38:39]
; %bb.6303:                             ;   in Loop: Header=BB2_5898 Depth=3
	v_cmp_gt_i16_sdwa vcc, sext(v2), v48 src0_sel:BYTE_0 src1_sel:DWORD
	v_cndmask_b32_e32 v2, v7, v0, vcc
	v_cmp_eq_u32_e32 vcc, 0, v4
	v_cndmask_b32_e32 v3, v35, v2, vcc
; %bb.6304:                             ;   in Loop: Header=BB2_5898 Depth=3
	s_or_b64 exec, exec, s[38:39]
.LBB2_6305:                             ;   in Loop: Header=BB2_5898 Depth=3
	s_or_b64 exec, exec, s[42:43]
.LBB2_6306:                             ;   in Loop: Header=BB2_5898 Depth=3
	s_or_b64 exec, exec, s[40:41]
	v_mul_f32_e32 v2, v23, v3
	v_and_b32_e32 v3, 0x7f800000, v2
	v_mov_b32_e32 v4, v29
	v_cmp_ne_u64_e32 vcc, s[76:77], v[3:4]
	v_and_b32_e32 v28, 0x7fffff, v2
                                        ; implicit-def: $vgpr58
	s_and_saveexec_b64 s[40:41], vcc
	s_xor_b64 s[42:43], exec, s[40:41]
	s_cbranch_execz .LBB2_6320
; %bb.6307:                             ;   in Loop: Header=BB2_5898 Depth=3
	v_and_b32_e32 v3, 0x7fffffff, v2
	v_mov_b32_e32 v4, v29
	v_cmp_gt_u64_e32 vcc, s[78:79], v[3:4]
	v_and_b32_sdwa v8, v2, s96 dst_sel:DWORD dst_unused:UNUSED_PAD src0_sel:BYTE_3 src1_sel:DWORD
                                        ; implicit-def: $vgpr58
	s_and_saveexec_b64 s[40:41], vcc
	s_xor_b64 s[38:39], exec, s[40:41]
	s_cbranch_execz .LBB2_6317
; %bb.6308:                             ;   in Loop: Header=BB2_5898 Depth=3
	v_mov_b32_e32 v58, 0
	v_cmp_ne_u32_e32 vcc, 0, v2
	s_and_saveexec_b64 s[48:49], vcc
	s_cbranch_execz .LBB2_6316
; %bb.6309:                             ;   in Loop: Header=BB2_5898 Depth=3
	v_bfe_u32 v9, v2, 23, 8
	v_cmp_gt_u32_e64 s[40:41], s46, v9
	v_sub_u32_e32 v2, 0x71, v9
	v_cmp_eq_u32_e32 vcc, 0, v9
	v_cndmask_b32_e64 v2, 0, v2, s[40:41]
	v_mov_b32_e32 v4, 0x70
	v_cndmask_b32_e32 v49, v2, v4, vcc
	v_add_u32_e32 v4, 21, v49
	v_or_b32_e32 v3, 0x800000, v28
	v_lshlrev_b64 v[38:39], v4, -1
	v_cndmask_b32_e32 v2, v3, v28, vcc
	v_mov_b32_e32 v3, v29
	v_add_u32_e32 v4, 20, v49
	v_bfi_b32 v38, v38, 0, v2
	v_lshlrev_b64 v[40:41], v4, 1
	v_lshrrev_b64 v[2:3], v49, v[2:3]
	v_bfi_b32 v39, v39, 0, 0
	v_cmp_eq_u64_e64 s[40:41], v[38:39], v[40:41]
	v_mov_b32_e32 v4, v3
	v_mov_b32_e32 v3, v2
	s_and_saveexec_b64 s[50:51], s[40:41]
; %bb.6310:                             ;   in Loop: Header=BB2_5898 Depth=3
	v_bfe_u32 v3, v2, 21, 1
	v_add_co_u32_e64 v3, s[40:41], v2, v3
	v_add_co_u32_e64 v3, s[40:41], -1, v3
; %bb.6311:                             ;   in Loop: Header=BB2_5898 Depth=3
	s_or_b64 exec, exec, s[50:51]
	v_add_u32_e32 v4, 0xffffff81, v9
	v_cndmask_b32_e32 v4, v4, v1, vcc
	v_lshrrev_b32_e32 v9, 23, v2
	v_add3_u32 v49, v49, v4, v9
	v_add_u32_e32 v9, 14, v49
	v_and_b32_e32 v3, 0x1fffff, v3
	v_add_u32_e32 v28, v3, v2
	v_cmp_ne_u32_e32 vcc, 0, v9
                                        ; implicit-def: $vgpr2_vgpr3
                                        ; implicit-def: $vgpr4
	s_and_saveexec_b64 s[40:41], vcc
	s_xor_b64 s[40:41], exec, s[40:41]
; %bb.6312:                             ;   in Loop: Header=BB2_5898 Depth=3
	v_cmp_lt_u64_e32 vcc, s[88:89], v[28:29]
	v_add_u32_e32 v2, 15, v49
	v_cndmask_b32_e32 v4, v9, v2, vcc
	v_cndmask_b32_e64 v2, 0, 1, vcc
	v_lshrrev_b64 v[2:3], v2, v[28:29]
; %bb.6313:                             ;   in Loop: Header=BB2_5898 Depth=3
	s_andn2_saveexec_b64 s[40:41], s[40:41]
; %bb.6314:                             ;   in Loop: Header=BB2_5898 Depth=3
	v_mov_b32_e32 v2, v28
	v_mov_b32_e32 v3, v29
	v_bfe_u32 v4, v28, 23, 1
; %bb.6315:                             ;   in Loop: Header=BB2_5898 Depth=3
	s_or_b64 exec, exec, s[40:41]
	v_lshrrev_b64 v[2:3], 21, v[2:3]
	v_cmp_gt_i32_e32 vcc, 32, v4
	v_cndmask_b32_e32 v3, 0, v3, vcc
	v_cndmask_b32_e32 v2, 3, v2, vcc
	v_cmp_eq_u64_e64 s[40:41], 0, v[2:3]
	v_min_i32_e32 v3, 31, v4
	v_lshlrev_b32_e32 v3, 2, v3
	v_cmp_eq_u32_e32 vcc, 0, v4
	v_and_b32_e32 v3, 0xfc, v3
	v_and_or_b32 v2, v2, 3, v3
	s_and_b64 s[40:41], vcc, s[40:41]
	v_cndmask_b32_e64 v2, v2, 0, s[40:41]
	v_or_b32_e32 v58, v2, v8
.LBB2_6316:                             ;   in Loop: Header=BB2_5898 Depth=3
	s_or_b64 exec, exec, s[48:49]
                                        ; implicit-def: $vgpr8
.LBB2_6317:                             ;   in Loop: Header=BB2_5898 Depth=3
	s_andn2_saveexec_b64 s[40:41], s[38:39]
; %bb.6318:                             ;   in Loop: Header=BB2_5898 Depth=3
	v_or_b32_e32 v58, 0x7b, v8
; %bb.6319:                             ;   in Loop: Header=BB2_5898 Depth=3
	s_or_b64 exec, exec, s[40:41]
                                        ; implicit-def: $vgpr2
.LBB2_6320:                             ;   in Loop: Header=BB2_5898 Depth=3
	s_andn2_saveexec_b64 s[40:41], s[42:43]
	s_cbranch_execz .LBB2_6326
; %bb.6321:                             ;   in Loop: Header=BB2_5898 Depth=3
	v_cmp_ne_u64_e32 vcc, 0, v[28:29]
                                        ; implicit-def: $vgpr58
	s_and_saveexec_b64 s[42:43], vcc
	s_xor_b64 s[42:43], exec, s[42:43]
; %bb.6322:                             ;   in Loop: Header=BB2_5898 Depth=3
	v_or_b32_sdwa v58, v2, s47 dst_sel:DWORD dst_unused:UNUSED_PAD src0_sel:BYTE_3 src1_sel:DWORD
                                        ; implicit-def: $vgpr2
; %bb.6323:                             ;   in Loop: Header=BB2_5898 Depth=3
	s_andn2_saveexec_b64 s[42:43], s[42:43]
; %bb.6324:                             ;   in Loop: Header=BB2_5898 Depth=3
	v_cmp_lt_i32_e32 vcc, -1, v2
	v_cndmask_b32_e32 v58, v6, v22, vcc
; %bb.6325:                             ;   in Loop: Header=BB2_5898 Depth=3
	s_or_b64 exec, exec, s[42:43]
.LBB2_6326:                             ;   in Loop: Header=BB2_5898 Depth=3
	s_or_b64 exec, exec, s[40:41]
	v_cmp_lt_u64_e32 vcc, s[56:57], v[10:11]
	v_mov_b32_e32 v3, 0
	s_and_saveexec_b64 s[40:41], vcc
	s_cbranch_execz .LBB2_6334
; %bb.6327:                             ;   in Loop: Header=BB2_5898 Depth=3
	v_lshrrev_b32_e32 v2, 24, v11
	v_cmp_ne_u32_e32 vcc, s96, v2
	v_bfrev_b32_e32 v3, 1
	s_and_saveexec_b64 s[42:43], vcc
	s_cbranch_execz .LBB2_6333
; %bb.6328:                             ;   in Loop: Header=BB2_5898 Depth=3
	v_and_b32_e32 v3, 0x7c000000, v11
	v_bfe_u32 v4, v11, 24, 2
	v_cmp_ne_u32_e32 vcc, s45, v3
                                        ; implicit-def: $vgpr3
	s_and_saveexec_b64 s[38:39], vcc
	s_xor_b64 s[38:39], exec, s[38:39]
	s_cbranch_execz .LBB2_6330
; %bb.6329:                             ;   in Loop: Header=BB2_5898 Depth=3
	v_ffbh_u32_e32 v3, v4
	v_min_u32_e32 v9, 32, v3
	v_subrev_u32_e32 v3, 29, v9
	v_lshlrev_b64 v[2:3], v3, v[2:3]
	v_bfe_u32 v8, v11, 26, 5
	v_sub_u32_e32 v3, 30, v9
	v_and_b32_e32 v2, 3, v2
	v_cmp_eq_u32_e32 vcc, 0, v8
	v_cndmask_b32_e32 v3, v8, v3, vcc
	v_cndmask_b32_e32 v2, v4, v2, vcc
	v_and_b32_e32 v4, 0x80000000, v11
	v_lshl_add_u32 v3, v3, 23, v4
	v_lshl_or_b32 v2, v2, 21, v3
	v_add_u32_e32 v3, 0x38000000, v2
                                        ; implicit-def: $vgpr4
                                        ; implicit-def: $vgpr10_vgpr11
.LBB2_6330:                             ;   in Loop: Header=BB2_5898 Depth=3
	s_andn2_saveexec_b64 s[38:39], s[38:39]
; %bb.6331:                             ;   in Loop: Header=BB2_5898 Depth=3
	v_cmp_lt_i64_e32 vcc, -1, v[10:11]
	v_cndmask_b32_e32 v2, v7, v0, vcc
	v_cmp_eq_u32_e32 vcc, 0, v4
	v_cndmask_b32_e32 v3, v35, v2, vcc
; %bb.6332:                             ;   in Loop: Header=BB2_5898 Depth=3
	s_or_b64 exec, exec, s[38:39]
.LBB2_6333:                             ;   in Loop: Header=BB2_5898 Depth=3
	s_or_b64 exec, exec, s[42:43]
.LBB2_6334:                             ;   in Loop: Header=BB2_5898 Depth=3
	s_or_b64 exec, exec, s[40:41]
	v_mul_f32_e32 v2, v23, v3
	v_and_b32_e32 v3, 0x7f800000, v2
	v_mov_b32_e32 v4, v29
	v_cmp_ne_u64_e32 vcc, s[76:77], v[3:4]
	v_and_b32_e32 v28, 0x7fffff, v2
                                        ; implicit-def: $vgpr60
	s_and_saveexec_b64 s[40:41], vcc
	s_xor_b64 s[42:43], exec, s[40:41]
	s_cbranch_execz .LBB2_6348
; %bb.6335:                             ;   in Loop: Header=BB2_5898 Depth=3
	v_and_b32_e32 v3, 0x7fffffff, v2
	v_mov_b32_e32 v4, v29
	v_cmp_gt_u64_e32 vcc, s[78:79], v[3:4]
	v_and_b32_sdwa v8, v2, s96 dst_sel:DWORD dst_unused:UNUSED_PAD src0_sel:BYTE_3 src1_sel:DWORD
                                        ; implicit-def: $vgpr60
	s_and_saveexec_b64 s[40:41], vcc
	s_xor_b64 s[38:39], exec, s[40:41]
	s_cbranch_execz .LBB2_6345
; %bb.6336:                             ;   in Loop: Header=BB2_5898 Depth=3
	v_mov_b32_e32 v60, 0
	v_cmp_ne_u32_e32 vcc, 0, v2
	s_and_saveexec_b64 s[48:49], vcc
	s_cbranch_execz .LBB2_6344
; %bb.6337:                             ;   in Loop: Header=BB2_5898 Depth=3
	v_bfe_u32 v9, v2, 23, 8
	v_cmp_gt_u32_e64 s[40:41], s46, v9
	v_sub_u32_e32 v2, 0x71, v9
	v_cmp_eq_u32_e32 vcc, 0, v9
	v_cndmask_b32_e64 v2, 0, v2, s[40:41]
	v_mov_b32_e32 v4, 0x70
	v_cndmask_b32_e32 v10, v2, v4, vcc
	v_add_u32_e32 v4, 21, v10
	v_or_b32_e32 v3, 0x800000, v28
	v_lshlrev_b64 v[38:39], v4, -1
	v_cndmask_b32_e32 v2, v3, v28, vcc
	v_mov_b32_e32 v3, v29
	v_add_u32_e32 v4, 20, v10
	v_bfi_b32 v38, v38, 0, v2
	v_lshlrev_b64 v[40:41], v4, 1
	v_lshrrev_b64 v[2:3], v10, v[2:3]
	v_bfi_b32 v39, v39, 0, 0
	v_cmp_eq_u64_e64 s[40:41], v[38:39], v[40:41]
	v_mov_b32_e32 v4, v3
	v_mov_b32_e32 v3, v2
	s_and_saveexec_b64 s[50:51], s[40:41]
; %bb.6338:                             ;   in Loop: Header=BB2_5898 Depth=3
	v_bfe_u32 v3, v2, 21, 1
	v_add_co_u32_e64 v3, s[40:41], v2, v3
	v_add_co_u32_e64 v3, s[40:41], -1, v3
; %bb.6339:                             ;   in Loop: Header=BB2_5898 Depth=3
	s_or_b64 exec, exec, s[50:51]
	v_add_u32_e32 v4, 0xffffff81, v9
	v_cndmask_b32_e32 v4, v4, v1, vcc
	v_lshrrev_b32_e32 v9, 23, v2
	v_add3_u32 v10, v10, v4, v9
	v_add_u32_e32 v9, 14, v10
	v_and_b32_e32 v3, 0x1fffff, v3
	v_add_u32_e32 v28, v3, v2
	v_cmp_ne_u32_e32 vcc, 0, v9
                                        ; implicit-def: $vgpr2_vgpr3
                                        ; implicit-def: $vgpr4
	s_and_saveexec_b64 s[40:41], vcc
	s_xor_b64 s[40:41], exec, s[40:41]
; %bb.6340:                             ;   in Loop: Header=BB2_5898 Depth=3
	v_cmp_lt_u64_e32 vcc, s[88:89], v[28:29]
	v_add_u32_e32 v2, 15, v10
	v_cndmask_b32_e32 v4, v9, v2, vcc
	v_cndmask_b32_e64 v2, 0, 1, vcc
	v_lshrrev_b64 v[2:3], v2, v[28:29]
; %bb.6341:                             ;   in Loop: Header=BB2_5898 Depth=3
	s_andn2_saveexec_b64 s[40:41], s[40:41]
; %bb.6342:                             ;   in Loop: Header=BB2_5898 Depth=3
	v_mov_b32_e32 v2, v28
	v_mov_b32_e32 v3, v29
	v_bfe_u32 v4, v28, 23, 1
; %bb.6343:                             ;   in Loop: Header=BB2_5898 Depth=3
	s_or_b64 exec, exec, s[40:41]
	v_lshrrev_b64 v[2:3], 21, v[2:3]
	v_cmp_gt_i32_e32 vcc, 32, v4
	v_cndmask_b32_e32 v3, 0, v3, vcc
	v_cndmask_b32_e32 v2, 3, v2, vcc
	v_cmp_eq_u64_e64 s[40:41], 0, v[2:3]
	v_min_i32_e32 v3, 31, v4
	v_lshlrev_b32_e32 v3, 2, v3
	v_cmp_eq_u32_e32 vcc, 0, v4
	v_and_b32_e32 v3, 0xfc, v3
	v_and_or_b32 v2, v2, 3, v3
	s_and_b64 s[40:41], vcc, s[40:41]
	v_cndmask_b32_e64 v2, v2, 0, s[40:41]
	v_or_b32_e32 v60, v2, v8
.LBB2_6344:                             ;   in Loop: Header=BB2_5898 Depth=3
	s_or_b64 exec, exec, s[48:49]
                                        ; implicit-def: $vgpr8
.LBB2_6345:                             ;   in Loop: Header=BB2_5898 Depth=3
	s_andn2_saveexec_b64 s[40:41], s[38:39]
; %bb.6346:                             ;   in Loop: Header=BB2_5898 Depth=3
	v_or_b32_e32 v60, 0x7b, v8
; %bb.6347:                             ;   in Loop: Header=BB2_5898 Depth=3
	s_or_b64 exec, exec, s[40:41]
                                        ; implicit-def: $vgpr2
.LBB2_6348:                             ;   in Loop: Header=BB2_5898 Depth=3
	s_andn2_saveexec_b64 s[40:41], s[42:43]
	s_cbranch_execz .LBB2_6354
; %bb.6349:                             ;   in Loop: Header=BB2_5898 Depth=3
	v_cmp_ne_u64_e32 vcc, 0, v[28:29]
                                        ; implicit-def: $vgpr60
	s_and_saveexec_b64 s[42:43], vcc
	s_xor_b64 s[42:43], exec, s[42:43]
; %bb.6350:                             ;   in Loop: Header=BB2_5898 Depth=3
	v_or_b32_sdwa v60, v2, s47 dst_sel:DWORD dst_unused:UNUSED_PAD src0_sel:BYTE_3 src1_sel:DWORD
                                        ; implicit-def: $vgpr2
; %bb.6351:                             ;   in Loop: Header=BB2_5898 Depth=3
	s_andn2_saveexec_b64 s[42:43], s[42:43]
; %bb.6352:                             ;   in Loop: Header=BB2_5898 Depth=3
	v_cmp_lt_i32_e32 vcc, -1, v2
	v_cndmask_b32_e32 v60, v6, v22, vcc
; %bb.6353:                             ;   in Loop: Header=BB2_5898 Depth=3
	s_or_b64 exec, exec, s[42:43]
.LBB2_6354:                             ;   in Loop: Header=BB2_5898 Depth=3
	s_or_b64 exec, exec, s[40:41]
	global_load_dwordx4 v[8:11], v[44:45], off glc slc
	v_lshl_or_b32 v51, v51, 8, v14
	v_lshlrev_b32_e32 v2, 16, v54
	v_lshlrev_b32_e32 v3, 24, v61
	v_or3_b32 v28, v2, v3, v51
	v_cmp_ne_u32_e32 vcc, 0, v14
	v_mov_b32_e32 v2, 0
	s_and_saveexec_b64 s[42:43], vcc
	s_cbranch_execz .LBB2_6362
; %bb.6355:                             ;   in Loop: Header=BB2_5898 Depth=3
	v_cmp_ne_u32_e32 vcc, s96, v14
	v_bfrev_b32_e32 v2, 1
	s_and_saveexec_b64 s[38:39], vcc
	s_cbranch_execz .LBB2_6361
; %bb.6356:                             ;   in Loop: Header=BB2_5898 Depth=3
	v_and_b32_e32 v2, 0x7c, v14
	v_and_b32_e32 v3, 3, v14
	v_cmp_ne_u32_e32 vcc, s85, v2
                                        ; implicit-def: $vgpr2
	s_and_saveexec_b64 s[40:41], vcc
	s_xor_b64 s[40:41], exec, s[40:41]
	s_cbranch_execz .LBB2_6358
; %bb.6357:                             ;   in Loop: Header=BB2_5898 Depth=3
	v_ffbh_u32_e32 v4, v3
	v_min_u32_e32 v4, 32, v4
	v_bfe_u32 v2, v14, 2, 5
	v_subrev_u32_e32 v23, 29, v4
	v_lshlrev_b64 v[38:39], v23, v[28:29]
	v_sub_u32_e32 v4, 30, v4
	v_cmp_eq_u32_e32 vcc, 0, v2
	v_cndmask_b32_e32 v2, v2, v4, vcc
	v_lshlrev_b32_e32 v4, 24, v14
	v_and_b32_e32 v23, 3, v38
	v_and_b32_e32 v4, 0x80000000, v4
	v_cndmask_b32_e32 v3, v3, v23, vcc
	v_lshl_add_u32 v2, v2, 23, v4
	v_lshl_or_b32 v2, v3, 21, v2
	v_add_u32_e32 v2, 0x38000000, v2
                                        ; implicit-def: $vgpr3
                                        ; implicit-def: $vgpr14
.LBB2_6358:                             ;   in Loop: Header=BB2_5898 Depth=3
	s_andn2_saveexec_b64 s[48:49], s[40:41]
; %bb.6359:                             ;   in Loop: Header=BB2_5898 Depth=3
	v_and_b32_e32 v2, 0x80, v14
	v_cmp_eq_u32_e64 s[40:41], 0, v2
	v_cmp_eq_u32_e32 vcc, 0, v3
	v_cndmask_b32_e64 v2, v7, v0, s[40:41]
	v_cndmask_b32_e32 v2, v35, v2, vcc
; %bb.6360:                             ;   in Loop: Header=BB2_5898 Depth=3
	s_or_b64 exec, exec, s[48:49]
.LBB2_6361:                             ;   in Loop: Header=BB2_5898 Depth=3
	s_or_b64 exec, exec, s[38:39]
.LBB2_6362:                             ;   in Loop: Header=BB2_5898 Depth=3
	s_or_b64 exec, exec, s[42:43]
	s_waitcnt vmcnt(0)
	v_cmp_gt_i16_sdwa s[42:43], v8, s47 src0_sel:BYTE_0 src1_sel:DWORD
	s_mov_b64 s[40:41], 0
	s_and_saveexec_b64 vcc, s[42:43]
	s_xor_b64 s[42:43], exec, vcc
	s_cbranch_execz .LBB2_6881
; %bb.6363:                             ;   in Loop: Header=BB2_5898 Depth=3
	v_cmp_eq_u16_sdwa s[38:39], v8, s96 src0_sel:BYTE_0 src1_sel:DWORD
	s_mov_b64 s[40:41], -1
	s_and_saveexec_b64 vcc, s[38:39]
; %bb.6364:                             ;   in Loop: Header=BB2_5898 Depth=3
	s_xor_b64 s[40:41], exec, -1
; %bb.6365:                             ;   in Loop: Header=BB2_5898 Depth=3
	s_or_b64 exec, exec, vcc
	s_and_b64 s[40:41], s[40:41], exec
	s_or_saveexec_b64 s[42:43], s[42:43]
	v_bfrev_b32_e32 v3, 1
	s_xor_b64 exec, exec, s[42:43]
	s_cbranch_execnz .LBB2_6882
.LBB2_6366:                             ;   in Loop: Header=BB2_5898 Depth=3
	s_or_b64 exec, exec, s[42:43]
	s_and_saveexec_b64 s[38:39], s[40:41]
	s_cbranch_execz .LBB2_6368
.LBB2_6367:                             ;   in Loop: Header=BB2_5898 Depth=3
	v_and_b32_e32 v14, 3, v8
	v_and_b32_e32 v3, 0x7c, v8
	v_cmp_eq_u32_e32 vcc, s85, v3
	v_ffbh_u32_e32 v3, v14
	v_min_u32_e32 v38, 32, v3
	v_subrev_u32_e32 v3, 29, v38
	v_bfe_u32 v23, v8, 2, 5
	v_lshlrev_b64 v[3:4], v3, v[8:9]
	v_cmp_eq_u32_e64 s[40:41], 0, v23
	v_sub_u32_e32 v4, 30, v38
	v_cndmask_b32_e64 v4, v23, v4, s[40:41]
	v_lshlrev_b32_e32 v23, 24, v8
	v_and_b32_e32 v3, 3, v3
	v_and_b32_e32 v23, 0x80000000, v23
	v_cndmask_b32_e64 v3, v14, v3, s[40:41]
	v_lshl_add_u32 v4, v4, 23, v23
	v_cmp_gt_i16_sdwa s[42:43], sext(v8), v48 src0_sel:BYTE_0 src1_sel:DWORD
	v_lshl_or_b32 v3, v3, 21, v4
	v_cmp_eq_u32_e64 s[40:41], 0, v14
	v_cndmask_b32_e64 v4, v7, v0, s[42:43]
	v_add_u32_e32 v3, 0x38000000, v3
	v_cndmask_b32_e64 v4, v35, v4, s[40:41]
	v_cndmask_b32_e32 v3, v3, v4, vcc
.LBB2_6368:                             ;   in Loop: Header=BB2_5898 Depth=3
	s_or_b64 exec, exec, s[38:39]
	v_add_f32_e32 v4, v2, v3
	v_and_b32_e32 v38, 0x7f800000, v4
	v_mov_b32_e32 v39, v29
	v_cmp_ne_u64_e32 vcc, s[76:77], v[38:39]
	v_and_b32_e32 v2, 0x7fffff, v4
	v_mov_b32_e32 v3, v29
                                        ; implicit-def: $vgpr23
	s_and_saveexec_b64 s[40:41], vcc
	s_xor_b64 s[42:43], exec, s[40:41]
	s_cbranch_execz .LBB2_6382
; %bb.6369:                             ;   in Loop: Header=BB2_5898 Depth=3
	v_and_b32_e32 v38, 0x7fffffff, v4
	v_mov_b32_e32 v39, v29
	v_cmp_gt_u64_e32 vcc, s[78:79], v[38:39]
	v_and_b32_sdwa v14, v4, s96 dst_sel:DWORD dst_unused:UNUSED_PAD src0_sel:BYTE_3 src1_sel:DWORD
                                        ; implicit-def: $vgpr23
	s_and_saveexec_b64 s[40:41], vcc
	s_xor_b64 s[38:39], exec, s[40:41]
	s_cbranch_execz .LBB2_6379
; %bb.6370:                             ;   in Loop: Header=BB2_5898 Depth=3
	v_mov_b32_e32 v23, 0
	v_cmp_ne_u32_e32 vcc, 0, v4
	s_and_saveexec_b64 s[48:49], vcc
	s_cbranch_execz .LBB2_6378
; %bb.6371:                             ;   in Loop: Header=BB2_5898 Depth=3
	v_bfe_u32 v23, v4, 23, 8
	v_cmp_gt_u32_e64 s[40:41], s46, v23
	v_sub_u32_e32 v4, 0x71, v23
	v_cmp_eq_u32_e32 vcc, 0, v23
	v_cndmask_b32_e64 v4, 0, v4, s[40:41]
	v_mov_b32_e32 v39, 0x70
	v_cndmask_b32_e32 v49, v4, v39, vcc
	v_or_b32_e32 v38, 0x800000, v2
	v_add_u32_e32 v4, 21, v49
	v_cndmask_b32_e32 v2, v38, v2, vcc
	v_lshlrev_b64 v[38:39], v4, -1
	v_add_u32_e32 v4, 20, v49
	v_bfi_b32 v38, v38, 0, v2
	v_lshlrev_b64 v[40:41], v4, 1
	v_lshrrev_b64 v[2:3], v49, v[2:3]
	v_bfi_b32 v39, v39, 0, 0
	v_cmp_eq_u64_e64 s[40:41], v[38:39], v[40:41]
	v_mov_b32_e32 v4, v3
	v_mov_b32_e32 v3, v2
	s_and_saveexec_b64 s[50:51], s[40:41]
; %bb.6372:                             ;   in Loop: Header=BB2_5898 Depth=3
	v_bfe_u32 v3, v2, 21, 1
	v_add_co_u32_e64 v3, s[40:41], v2, v3
	v_add_co_u32_e64 v3, s[40:41], -1, v3
; %bb.6373:                             ;   in Loop: Header=BB2_5898 Depth=3
	s_or_b64 exec, exec, s[50:51]
	v_add_u32_e32 v4, 0xffffff81, v23
	v_cndmask_b32_e32 v4, v4, v1, vcc
	v_lshrrev_b32_e32 v23, 23, v2
	v_add3_u32 v49, v49, v4, v23
	v_add_u32_e32 v23, 14, v49
	v_and_b32_e32 v3, 0x1fffff, v3
	v_add_u32_e32 v2, v3, v2
	v_mov_b32_e32 v3, v29
	v_cmp_ne_u32_e32 vcc, 0, v23
                                        ; implicit-def: $vgpr4
	s_and_saveexec_b64 s[40:41], vcc
	s_xor_b64 s[40:41], exec, s[40:41]
; %bb.6374:                             ;   in Loop: Header=BB2_5898 Depth=3
	v_cmp_lt_u64_e32 vcc, s[88:89], v[2:3]
	v_add_u32_e32 v4, 15, v49
	v_cndmask_b32_e32 v4, v23, v4, vcc
	v_cndmask_b32_e64 v23, 0, 1, vcc
	v_lshrrev_b64 v[2:3], v23, v[2:3]
; %bb.6375:                             ;   in Loop: Header=BB2_5898 Depth=3
	s_andn2_saveexec_b64 s[40:41], s[40:41]
; %bb.6376:                             ;   in Loop: Header=BB2_5898 Depth=3
	v_bfe_u32 v4, v2, 23, 1
; %bb.6377:                             ;   in Loop: Header=BB2_5898 Depth=3
	s_or_b64 exec, exec, s[40:41]
	v_lshrrev_b64 v[2:3], 21, v[2:3]
	v_cmp_gt_i32_e32 vcc, 32, v4
	v_cndmask_b32_e32 v3, 0, v3, vcc
	v_cndmask_b32_e32 v2, 3, v2, vcc
	v_cmp_eq_u64_e64 s[40:41], 0, v[2:3]
	v_min_i32_e32 v3, 31, v4
	v_lshlrev_b32_e32 v3, 2, v3
	v_cmp_eq_u32_e32 vcc, 0, v4
	v_and_b32_e32 v3, 0xfc, v3
	v_and_or_b32 v2, v2, 3, v3
	s_and_b64 s[40:41], vcc, s[40:41]
	v_cndmask_b32_e64 v2, v2, 0, s[40:41]
	v_or_b32_e32 v23, v2, v14
.LBB2_6378:                             ;   in Loop: Header=BB2_5898 Depth=3
	s_or_b64 exec, exec, s[48:49]
                                        ; implicit-def: $vgpr14
.LBB2_6379:                             ;   in Loop: Header=BB2_5898 Depth=3
	s_andn2_saveexec_b64 s[40:41], s[38:39]
; %bb.6380:                             ;   in Loop: Header=BB2_5898 Depth=3
	v_or_b32_e32 v23, 0x7b, v14
; %bb.6381:                             ;   in Loop: Header=BB2_5898 Depth=3
	s_or_b64 exec, exec, s[40:41]
                                        ; implicit-def: $vgpr4
                                        ; implicit-def: $vgpr2_vgpr3
.LBB2_6382:                             ;   in Loop: Header=BB2_5898 Depth=3
	s_andn2_saveexec_b64 s[40:41], s[42:43]
	s_cbranch_execz .LBB2_6388
; %bb.6383:                             ;   in Loop: Header=BB2_5898 Depth=3
	v_cmp_ne_u64_e32 vcc, 0, v[2:3]
                                        ; implicit-def: $vgpr23
	s_and_saveexec_b64 s[42:43], vcc
	s_xor_b64 s[42:43], exec, s[42:43]
; %bb.6384:                             ;   in Loop: Header=BB2_5898 Depth=3
	v_or_b32_sdwa v23, v4, s47 dst_sel:DWORD dst_unused:UNUSED_PAD src0_sel:BYTE_3 src1_sel:DWORD
                                        ; implicit-def: $vgpr4
; %bb.6385:                             ;   in Loop: Header=BB2_5898 Depth=3
	s_andn2_saveexec_b64 s[42:43], s[42:43]
; %bb.6386:                             ;   in Loop: Header=BB2_5898 Depth=3
	v_cmp_lt_i32_e32 vcc, -1, v4
	v_cndmask_b32_e32 v23, v6, v22, vcc
; %bb.6387:                             ;   in Loop: Header=BB2_5898 Depth=3
	s_or_b64 exec, exec, s[42:43]
.LBB2_6388:                             ;   in Loop: Header=BB2_5898 Depth=3
	s_or_b64 exec, exec, s[40:41]
	v_lshrrev_b16_e32 v2, 8, v51
	v_cmp_ne_u16_e32 vcc, 0, v2
	v_mov_b32_e32 v4, 0
	s_and_saveexec_b64 s[40:41], vcc
	s_cbranch_execz .LBB2_6396
; %bb.6389:                             ;   in Loop: Header=BB2_5898 Depth=3
	v_cmp_ne_u16_e32 vcc, s96, v2
	v_bfrev_b32_e32 v4, 1
	s_and_saveexec_b64 s[42:43], vcc
	s_cbranch_execz .LBB2_6395
; %bb.6390:                             ;   in Loop: Header=BB2_5898 Depth=3
	v_and_b32_e32 v3, 0x7c, v2
	v_and_b32_e32 v14, 3, v2
	v_cmp_ne_u32_e32 vcc, s85, v3
                                        ; implicit-def: $vgpr4
	s_and_saveexec_b64 s[38:39], vcc
	s_xor_b64 s[38:39], exec, s[38:39]
	s_cbranch_execz .LBB2_6392
; %bb.6391:                             ;   in Loop: Header=BB2_5898 Depth=3
	v_ffbh_u32_e32 v38, v14
	v_min_u32_e32 v38, 32, v38
	v_mov_b32_e32 v3, v29
	v_subrev_u32_e32 v39, 29, v38
	v_bfe_u32 v4, v2, 2, 5
	v_lshlrev_b64 v[2:3], v39, v[2:3]
	v_sub_u32_e32 v3, 30, v38
	v_cmp_eq_u32_e32 vcc, 0, v4
	v_cndmask_b32_e32 v3, v4, v3, vcc
	v_lshlrev_b32_e32 v4, 16, v51
	v_and_b32_e32 v2, 3, v2
	v_and_b32_e32 v4, 0x80000000, v4
	v_cndmask_b32_e32 v2, v14, v2, vcc
	v_lshl_add_u32 v3, v3, 23, v4
	v_lshl_or_b32 v2, v2, 21, v3
	v_add_u32_e32 v4, 0x38000000, v2
                                        ; implicit-def: $vgpr14
                                        ; implicit-def: $vgpr51
.LBB2_6392:                             ;   in Loop: Header=BB2_5898 Depth=3
	s_andn2_saveexec_b64 s[38:39], s[38:39]
; %bb.6393:                             ;   in Loop: Header=BB2_5898 Depth=3
	v_cmp_lt_i16_e32 vcc, -1, v51
	v_cndmask_b32_e32 v2, v7, v0, vcc
	v_cmp_eq_u32_e32 vcc, 0, v14
	v_cndmask_b32_e32 v4, v35, v2, vcc
; %bb.6394:                             ;   in Loop: Header=BB2_5898 Depth=3
	s_or_b64 exec, exec, s[38:39]
.LBB2_6395:                             ;   in Loop: Header=BB2_5898 Depth=3
	s_or_b64 exec, exec, s[42:43]
.LBB2_6396:                             ;   in Loop: Header=BB2_5898 Depth=3
	s_or_b64 exec, exec, s[40:41]
	v_lshrrev_b16_e32 v2, 8, v8
	v_cmp_lt_i16_e32 vcc, s47, v2
	s_mov_b64 s[40:41], 0
	s_and_saveexec_b64 s[42:43], vcc
	s_xor_b64 s[42:43], exec, s[42:43]
	s_cbranch_execz .LBB2_6883
; %bb.6397:                             ;   in Loop: Header=BB2_5898 Depth=3
	v_cmp_eq_u16_e32 vcc, s96, v2
	s_mov_b64 s[40:41], -1
	s_and_saveexec_b64 s[38:39], vcc
; %bb.6398:                             ;   in Loop: Header=BB2_5898 Depth=3
	s_xor_b64 s[40:41], exec, -1
; %bb.6399:                             ;   in Loop: Header=BB2_5898 Depth=3
	s_or_b64 exec, exec, s[38:39]
	s_and_b64 s[40:41], s[40:41], exec
	s_or_saveexec_b64 s[42:43], s[42:43]
	v_bfrev_b32_e32 v3, 1
	s_xor_b64 exec, exec, s[42:43]
	s_cbranch_execnz .LBB2_6884
.LBB2_6400:                             ;   in Loop: Header=BB2_5898 Depth=3
	s_or_b64 exec, exec, s[42:43]
	s_and_saveexec_b64 s[38:39], s[40:41]
	s_cbranch_execz .LBB2_6402
.LBB2_6401:                             ;   in Loop: Header=BB2_5898 Depth=3
	v_and_b32_e32 v14, 3, v2
	v_and_b32_e32 v38, 0x7c, v2
	v_cmp_eq_u32_e32 vcc, s85, v38
	v_ffbh_u32_e32 v38, v14
	v_min_u32_e32 v51, 32, v38
	v_mov_b32_e32 v3, v29
	v_subrev_u32_e32 v38, 29, v51
	v_bfe_u32 v49, v2, 2, 5
	v_lshlrev_b64 v[38:39], v38, v[2:3]
	v_cmp_eq_u32_e64 s[40:41], 0, v49
	v_sub_u32_e32 v3, 30, v51
	v_lshlrev_b32_e32 v2, 24, v2
	v_and_b32_e32 v38, 3, v38
	v_cndmask_b32_e64 v3, v49, v3, s[40:41]
	v_and_b32_e32 v2, 0x80000000, v2
	v_cndmask_b32_e64 v38, v14, v38, s[40:41]
	v_lshl_add_u32 v2, v3, 23, v2
	v_cmp_lt_i16_e64 s[42:43], -1, v8
	v_lshl_or_b32 v2, v38, 21, v2
	v_cmp_eq_u32_e64 s[40:41], 0, v14
	v_cndmask_b32_e64 v3, v7, v0, s[42:43]
	v_add_u32_e32 v2, 0x38000000, v2
	v_cndmask_b32_e64 v3, v35, v3, s[40:41]
	v_cndmask_b32_e32 v3, v2, v3, vcc
.LBB2_6402:                             ;   in Loop: Header=BB2_5898 Depth=3
	s_or_b64 exec, exec, s[38:39]
	v_add_f32_e32 v4, v4, v3
	v_and_b32_e32 v38, 0x7f800000, v4
	v_mov_b32_e32 v39, v29
	v_cmp_ne_u64_e32 vcc, s[76:77], v[38:39]
	v_and_b32_e32 v2, 0x7fffff, v4
	v_mov_b32_e32 v3, v29
                                        ; implicit-def: $vgpr51
	s_and_saveexec_b64 s[40:41], vcc
	s_xor_b64 s[42:43], exec, s[40:41]
	s_cbranch_execz .LBB2_6416
; %bb.6403:                             ;   in Loop: Header=BB2_5898 Depth=3
	v_and_b32_e32 v38, 0x7fffffff, v4
	v_mov_b32_e32 v39, v29
	v_cmp_gt_u64_e32 vcc, s[78:79], v[38:39]
	v_and_b32_sdwa v14, v4, s96 dst_sel:DWORD dst_unused:UNUSED_PAD src0_sel:BYTE_3 src1_sel:DWORD
                                        ; implicit-def: $vgpr51
	s_and_saveexec_b64 s[40:41], vcc
	s_xor_b64 s[38:39], exec, s[40:41]
	s_cbranch_execz .LBB2_6413
; %bb.6404:                             ;   in Loop: Header=BB2_5898 Depth=3
	v_mov_b32_e32 v51, 0
	v_cmp_ne_u32_e32 vcc, 0, v4
	s_and_saveexec_b64 s[48:49], vcc
	s_cbranch_execz .LBB2_6412
; %bb.6405:                             ;   in Loop: Header=BB2_5898 Depth=3
	v_bfe_u32 v49, v4, 23, 8
	v_cmp_gt_u32_e64 s[40:41], s46, v49
	v_sub_u32_e32 v4, 0x71, v49
	v_cmp_eq_u32_e32 vcc, 0, v49
	v_cndmask_b32_e64 v4, 0, v4, s[40:41]
	v_mov_b32_e32 v39, 0x70
	v_cndmask_b32_e32 v51, v4, v39, vcc
	v_or_b32_e32 v38, 0x800000, v2
	v_add_u32_e32 v4, 21, v51
	v_cndmask_b32_e32 v2, v38, v2, vcc
	v_lshlrev_b64 v[38:39], v4, -1
	v_add_u32_e32 v4, 20, v51
	v_bfi_b32 v38, v38, 0, v2
	v_lshlrev_b64 v[40:41], v4, 1
	v_lshrrev_b64 v[2:3], v51, v[2:3]
	v_bfi_b32 v39, v39, 0, 0
	v_cmp_eq_u64_e64 s[40:41], v[38:39], v[40:41]
	v_mov_b32_e32 v4, v3
	v_mov_b32_e32 v3, v2
	s_and_saveexec_b64 s[50:51], s[40:41]
; %bb.6406:                             ;   in Loop: Header=BB2_5898 Depth=3
	v_bfe_u32 v3, v2, 21, 1
	v_add_co_u32_e64 v3, s[40:41], v2, v3
	v_add_co_u32_e64 v3, s[40:41], -1, v3
; %bb.6407:                             ;   in Loop: Header=BB2_5898 Depth=3
	s_or_b64 exec, exec, s[50:51]
	v_add_u32_e32 v4, 0xffffff81, v49
	v_cndmask_b32_e32 v4, v4, v1, vcc
	v_lshrrev_b32_e32 v38, 23, v2
	v_add3_u32 v51, v51, v4, v38
	v_add_u32_e32 v49, 14, v51
	v_and_b32_e32 v3, 0x1fffff, v3
	v_add_u32_e32 v2, v3, v2
	v_mov_b32_e32 v3, v29
	v_cmp_ne_u32_e32 vcc, 0, v49
                                        ; implicit-def: $vgpr4
	s_and_saveexec_b64 s[40:41], vcc
	s_xor_b64 s[40:41], exec, s[40:41]
; %bb.6408:                             ;   in Loop: Header=BB2_5898 Depth=3
	v_cmp_lt_u64_e32 vcc, s[88:89], v[2:3]
	v_add_u32_e32 v4, 15, v51
	v_cndmask_b32_e64 v38, 0, 1, vcc
	v_cndmask_b32_e32 v4, v49, v4, vcc
	v_lshrrev_b64 v[2:3], v38, v[2:3]
; %bb.6409:                             ;   in Loop: Header=BB2_5898 Depth=3
	s_andn2_saveexec_b64 s[40:41], s[40:41]
; %bb.6410:                             ;   in Loop: Header=BB2_5898 Depth=3
	v_bfe_u32 v4, v2, 23, 1
; %bb.6411:                             ;   in Loop: Header=BB2_5898 Depth=3
	s_or_b64 exec, exec, s[40:41]
	v_lshrrev_b64 v[2:3], 21, v[2:3]
	v_cmp_gt_i32_e32 vcc, 32, v4
	v_cndmask_b32_e32 v3, 0, v3, vcc
	v_cndmask_b32_e32 v2, 3, v2, vcc
	v_cmp_eq_u64_e64 s[40:41], 0, v[2:3]
	v_min_i32_e32 v3, 31, v4
	v_lshlrev_b32_e32 v3, 2, v3
	v_cmp_eq_u32_e32 vcc, 0, v4
	v_and_b32_e32 v3, 0xfc, v3
	v_and_or_b32 v2, v2, 3, v3
	s_and_b64 s[40:41], vcc, s[40:41]
	v_cndmask_b32_e64 v2, v2, 0, s[40:41]
	v_or_b32_e32 v51, v2, v14
.LBB2_6412:                             ;   in Loop: Header=BB2_5898 Depth=3
	s_or_b64 exec, exec, s[48:49]
                                        ; implicit-def: $vgpr14
.LBB2_6413:                             ;   in Loop: Header=BB2_5898 Depth=3
	s_andn2_saveexec_b64 s[40:41], s[38:39]
; %bb.6414:                             ;   in Loop: Header=BB2_5898 Depth=3
	v_or_b32_e32 v51, 0x7b, v14
; %bb.6415:                             ;   in Loop: Header=BB2_5898 Depth=3
	s_or_b64 exec, exec, s[40:41]
                                        ; implicit-def: $vgpr4
                                        ; implicit-def: $vgpr2_vgpr3
.LBB2_6416:                             ;   in Loop: Header=BB2_5898 Depth=3
	s_andn2_saveexec_b64 s[40:41], s[42:43]
	s_cbranch_execz .LBB2_6422
; %bb.6417:                             ;   in Loop: Header=BB2_5898 Depth=3
	v_cmp_ne_u64_e32 vcc, 0, v[2:3]
                                        ; implicit-def: $vgpr51
	s_and_saveexec_b64 s[42:43], vcc
	s_xor_b64 s[42:43], exec, s[42:43]
; %bb.6418:                             ;   in Loop: Header=BB2_5898 Depth=3
	v_or_b32_sdwa v51, v4, s47 dst_sel:DWORD dst_unused:UNUSED_PAD src0_sel:BYTE_3 src1_sel:DWORD
                                        ; implicit-def: $vgpr4
; %bb.6419:                             ;   in Loop: Header=BB2_5898 Depth=3
	s_andn2_saveexec_b64 s[42:43], s[42:43]
; %bb.6420:                             ;   in Loop: Header=BB2_5898 Depth=3
	v_cmp_lt_i32_e32 vcc, -1, v4
	v_cndmask_b32_e32 v51, v6, v22, vcc
; %bb.6421:                             ;   in Loop: Header=BB2_5898 Depth=3
	s_or_b64 exec, exec, s[42:43]
.LBB2_6422:                             ;   in Loop: Header=BB2_5898 Depth=3
	s_or_b64 exec, exec, s[40:41]
	v_and_b32_sdwa v4, v28, s87 dst_sel:DWORD dst_unused:UNUSED_PAD src0_sel:WORD_1 src1_sel:DWORD
	v_lshrrev_b32_e32 v2, 16, v28
	v_cmp_ne_u16_e32 vcc, 0, v4
	v_mov_b32_e32 v3, 0
	s_and_saveexec_b64 s[40:41], vcc
	s_cbranch_execz .LBB2_6430
; %bb.6423:                             ;   in Loop: Header=BB2_5898 Depth=3
	v_cmp_ne_u16_e32 vcc, s96, v4
	v_bfrev_b32_e32 v3, 1
	s_and_saveexec_b64 s[42:43], vcc
	s_cbranch_execz .LBB2_6429
; %bb.6424:                             ;   in Loop: Header=BB2_5898 Depth=3
	v_and_b32_e32 v3, 0x7c0000, v28
	v_bfe_u32 v4, v28, 16, 2
	v_cmp_ne_u32_e32 vcc, s44, v3
                                        ; implicit-def: $vgpr3
	s_and_saveexec_b64 s[38:39], vcc
	s_xor_b64 s[38:39], exec, s[38:39]
	s_cbranch_execz .LBB2_6426
; %bb.6425:                             ;   in Loop: Header=BB2_5898 Depth=3
	v_ffbh_u32_e32 v3, v4
	v_min_u32_e32 v38, 32, v3
	v_lshrrev_b32_e32 v2, 16, v28
	v_subrev_u32_e32 v3, 29, v38
	v_lshlrev_b64 v[2:3], v3, v[2:3]
	v_bfe_u32 v14, v28, 18, 5
	v_and_b32_e32 v2, 3, v2
	v_cmp_eq_u32_e32 vcc, 0, v14
	v_sub_u32_e32 v3, 30, v38
	v_cndmask_b32_e32 v2, v4, v2, vcc
	v_lshlrev_b32_e32 v4, 8, v28
	v_cndmask_b32_e32 v3, v14, v3, vcc
	v_and_b32_e32 v4, 0x80000000, v4
	v_lshl_add_u32 v3, v3, 23, v4
	v_lshl_or_b32 v2, v2, 21, v3
	v_add_u32_e32 v3, 0x38000000, v2
                                        ; implicit-def: $vgpr4
                                        ; implicit-def: $vgpr2
.LBB2_6426:                             ;   in Loop: Header=BB2_5898 Depth=3
	s_andn2_saveexec_b64 s[38:39], s[38:39]
; %bb.6427:                             ;   in Loop: Header=BB2_5898 Depth=3
	v_cmp_gt_i16_sdwa vcc, sext(v2), v48 src0_sel:BYTE_0 src1_sel:DWORD
	v_cndmask_b32_e32 v2, v7, v0, vcc
	v_cmp_eq_u32_e32 vcc, 0, v4
	v_cndmask_b32_e32 v3, v35, v2, vcc
; %bb.6428:                             ;   in Loop: Header=BB2_5898 Depth=3
	s_or_b64 exec, exec, s[38:39]
.LBB2_6429:                             ;   in Loop: Header=BB2_5898 Depth=3
	s_or_b64 exec, exec, s[42:43]
.LBB2_6430:                             ;   in Loop: Header=BB2_5898 Depth=3
	s_or_b64 exec, exec, s[40:41]
	v_lshrrev_b32_e32 v2, 16, v8
	v_cmp_gt_i16_sdwa s[42:43], v2, s47 src0_sel:BYTE_0 src1_sel:DWORD
	s_mov_b64 s[40:41], 0
	s_and_saveexec_b64 vcc, s[42:43]
	s_xor_b64 s[42:43], exec, vcc
	s_cbranch_execz .LBB2_6885
; %bb.6431:                             ;   in Loop: Header=BB2_5898 Depth=3
	v_cmp_eq_u16_sdwa s[38:39], v2, s96 src0_sel:BYTE_0 src1_sel:DWORD
	s_mov_b64 s[40:41], -1
	s_and_saveexec_b64 vcc, s[38:39]
; %bb.6432:                             ;   in Loop: Header=BB2_5898 Depth=3
	s_xor_b64 s[40:41], exec, -1
; %bb.6433:                             ;   in Loop: Header=BB2_5898 Depth=3
	s_or_b64 exec, exec, vcc
	s_and_b64 s[40:41], s[40:41], exec
	s_or_saveexec_b64 s[42:43], s[42:43]
	v_bfrev_b32_e32 v4, 1
	s_xor_b64 exec, exec, s[42:43]
	s_cbranch_execnz .LBB2_6886
.LBB2_6434:                             ;   in Loop: Header=BB2_5898 Depth=3
	s_or_b64 exec, exec, s[42:43]
	s_and_saveexec_b64 s[38:39], s[40:41]
	s_cbranch_execz .LBB2_6436
.LBB2_6435:                             ;   in Loop: Header=BB2_5898 Depth=3
	v_and_b32_e32 v4, 3, v2
	v_and_b32_e32 v38, 0x7c0000, v8
	v_cmp_eq_u32_e32 vcc, s44, v38
	v_ffbh_u32_e32 v38, v4
	v_min_u32_e32 v49, 32, v38
	v_subrev_u32_e32 v38, 29, v49
	v_bfe_u32 v14, v8, 18, 5
	v_lshlrev_b64 v[38:39], v38, v[2:3]
	v_cmp_eq_u32_e64 s[40:41], 0, v14
	v_sub_u32_e32 v39, 30, v49
	v_cndmask_b32_e64 v14, v14, v39, s[40:41]
	v_lshlrev_b32_e32 v39, 24, v2
	v_and_b32_e32 v38, 3, v38
	v_and_b32_e32 v39, 0x80000000, v39
	v_cndmask_b32_e64 v38, v4, v38, s[40:41]
	v_lshl_add_u32 v14, v14, 23, v39
	v_cmp_gt_i16_sdwa s[42:43], sext(v2), v48 src0_sel:BYTE_0 src1_sel:DWORD
	v_lshl_or_b32 v14, v38, 21, v14
	v_cmp_eq_u32_e64 s[40:41], 0, v4
	v_cndmask_b32_e64 v2, v7, v0, s[42:43]
	v_add_u32_e32 v14, 0x38000000, v14
	v_cndmask_b32_e64 v2, v35, v2, s[40:41]
	v_cndmask_b32_e32 v4, v14, v2, vcc
.LBB2_6436:                             ;   in Loop: Header=BB2_5898 Depth=3
	s_or_b64 exec, exec, s[38:39]
	v_add_f32_e32 v4, v3, v4
	v_and_b32_e32 v38, 0x7f800000, v4
	v_mov_b32_e32 v39, v29
	v_cmp_ne_u64_e32 vcc, s[76:77], v[38:39]
	v_and_b32_e32 v2, 0x7fffff, v4
	v_mov_b32_e32 v3, v29
                                        ; implicit-def: $vgpr54
	s_and_saveexec_b64 s[40:41], vcc
	s_xor_b64 s[42:43], exec, s[40:41]
	s_cbranch_execz .LBB2_6450
; %bb.6437:                             ;   in Loop: Header=BB2_5898 Depth=3
	v_and_b32_e32 v38, 0x7fffffff, v4
	v_mov_b32_e32 v39, v29
	v_cmp_gt_u64_e32 vcc, s[78:79], v[38:39]
	v_and_b32_sdwa v14, v4, s96 dst_sel:DWORD dst_unused:UNUSED_PAD src0_sel:BYTE_3 src1_sel:DWORD
                                        ; implicit-def: $vgpr54
	s_and_saveexec_b64 s[40:41], vcc
	s_xor_b64 s[38:39], exec, s[40:41]
	s_cbranch_execz .LBB2_6447
; %bb.6438:                             ;   in Loop: Header=BB2_5898 Depth=3
	v_mov_b32_e32 v54, 0
	v_cmp_ne_u32_e32 vcc, 0, v4
	s_and_saveexec_b64 s[48:49], vcc
	s_cbranch_execz .LBB2_6446
; %bb.6439:                             ;   in Loop: Header=BB2_5898 Depth=3
	v_bfe_u32 v49, v4, 23, 8
	v_cmp_gt_u32_e64 s[40:41], s46, v49
	v_sub_u32_e32 v4, 0x71, v49
	v_cmp_eq_u32_e32 vcc, 0, v49
	v_cndmask_b32_e64 v4, 0, v4, s[40:41]
	v_mov_b32_e32 v39, 0x70
	v_cndmask_b32_e32 v54, v4, v39, vcc
	v_or_b32_e32 v38, 0x800000, v2
	v_add_u32_e32 v4, 21, v54
	v_cndmask_b32_e32 v2, v38, v2, vcc
	v_lshlrev_b64 v[38:39], v4, -1
	v_add_u32_e32 v4, 20, v54
	v_bfi_b32 v38, v38, 0, v2
	v_lshlrev_b64 v[40:41], v4, 1
	v_lshrrev_b64 v[2:3], v54, v[2:3]
	v_bfi_b32 v39, v39, 0, 0
	v_cmp_eq_u64_e64 s[40:41], v[38:39], v[40:41]
	v_mov_b32_e32 v4, v3
	v_mov_b32_e32 v3, v2
	s_and_saveexec_b64 s[50:51], s[40:41]
; %bb.6440:                             ;   in Loop: Header=BB2_5898 Depth=3
	v_bfe_u32 v3, v2, 21, 1
	v_add_co_u32_e64 v3, s[40:41], v2, v3
	v_add_co_u32_e64 v3, s[40:41], -1, v3
; %bb.6441:                             ;   in Loop: Header=BB2_5898 Depth=3
	s_or_b64 exec, exec, s[50:51]
	v_add_u32_e32 v4, 0xffffff81, v49
	v_cndmask_b32_e32 v4, v4, v1, vcc
	v_lshrrev_b32_e32 v38, 23, v2
	v_add3_u32 v54, v54, v4, v38
	v_add_u32_e32 v49, 14, v54
	v_and_b32_e32 v3, 0x1fffff, v3
	v_add_u32_e32 v2, v3, v2
	v_mov_b32_e32 v3, v29
	v_cmp_ne_u32_e32 vcc, 0, v49
                                        ; implicit-def: $vgpr4
	s_and_saveexec_b64 s[40:41], vcc
	s_xor_b64 s[40:41], exec, s[40:41]
; %bb.6442:                             ;   in Loop: Header=BB2_5898 Depth=3
	v_cmp_lt_u64_e32 vcc, s[88:89], v[2:3]
	v_add_u32_e32 v4, 15, v54
	v_cndmask_b32_e64 v38, 0, 1, vcc
	v_cndmask_b32_e32 v4, v49, v4, vcc
	v_lshrrev_b64 v[2:3], v38, v[2:3]
; %bb.6443:                             ;   in Loop: Header=BB2_5898 Depth=3
	s_andn2_saveexec_b64 s[40:41], s[40:41]
; %bb.6444:                             ;   in Loop: Header=BB2_5898 Depth=3
	v_bfe_u32 v4, v2, 23, 1
; %bb.6445:                             ;   in Loop: Header=BB2_5898 Depth=3
	s_or_b64 exec, exec, s[40:41]
	v_lshrrev_b64 v[2:3], 21, v[2:3]
	v_cmp_gt_i32_e32 vcc, 32, v4
	v_cndmask_b32_e32 v3, 0, v3, vcc
	v_cndmask_b32_e32 v2, 3, v2, vcc
	v_cmp_eq_u64_e64 s[40:41], 0, v[2:3]
	v_min_i32_e32 v3, 31, v4
	v_lshlrev_b32_e32 v3, 2, v3
	v_cmp_eq_u32_e32 vcc, 0, v4
	v_and_b32_e32 v3, 0xfc, v3
	v_and_or_b32 v2, v2, 3, v3
	s_and_b64 s[40:41], vcc, s[40:41]
	v_cndmask_b32_e64 v2, v2, 0, s[40:41]
	v_or_b32_e32 v54, v2, v14
.LBB2_6446:                             ;   in Loop: Header=BB2_5898 Depth=3
	s_or_b64 exec, exec, s[48:49]
                                        ; implicit-def: $vgpr14
.LBB2_6447:                             ;   in Loop: Header=BB2_5898 Depth=3
	s_andn2_saveexec_b64 s[40:41], s[38:39]
; %bb.6448:                             ;   in Loop: Header=BB2_5898 Depth=3
	v_or_b32_e32 v54, 0x7b, v14
; %bb.6449:                             ;   in Loop: Header=BB2_5898 Depth=3
	s_or_b64 exec, exec, s[40:41]
                                        ; implicit-def: $vgpr4
                                        ; implicit-def: $vgpr2_vgpr3
.LBB2_6450:                             ;   in Loop: Header=BB2_5898 Depth=3
	s_andn2_saveexec_b64 s[40:41], s[42:43]
	s_cbranch_execz .LBB2_6456
; %bb.6451:                             ;   in Loop: Header=BB2_5898 Depth=3
	v_cmp_ne_u64_e32 vcc, 0, v[2:3]
                                        ; implicit-def: $vgpr54
	s_and_saveexec_b64 s[42:43], vcc
	s_xor_b64 s[42:43], exec, s[42:43]
; %bb.6452:                             ;   in Loop: Header=BB2_5898 Depth=3
	v_or_b32_sdwa v54, v4, s47 dst_sel:DWORD dst_unused:UNUSED_PAD src0_sel:BYTE_3 src1_sel:DWORD
                                        ; implicit-def: $vgpr4
; %bb.6453:                             ;   in Loop: Header=BB2_5898 Depth=3
	s_andn2_saveexec_b64 s[42:43], s[42:43]
; %bb.6454:                             ;   in Loop: Header=BB2_5898 Depth=3
	v_cmp_lt_i32_e32 vcc, -1, v4
	v_cndmask_b32_e32 v54, v6, v22, vcc
; %bb.6455:                             ;   in Loop: Header=BB2_5898 Depth=3
	s_or_b64 exec, exec, s[42:43]
.LBB2_6456:                             ;   in Loop: Header=BB2_5898 Depth=3
	s_or_b64 exec, exec, s[40:41]
	v_cmp_lt_u32_e32 vcc, s57, v28
	v_mov_b32_e32 v3, 0
	s_and_saveexec_b64 s[40:41], vcc
	s_cbranch_execz .LBB2_6464
; %bb.6457:                             ;   in Loop: Header=BB2_5898 Depth=3
	v_lshrrev_b32_e32 v2, 24, v28
	v_cmp_ne_u32_e32 vcc, s96, v2
	v_bfrev_b32_e32 v3, 1
	s_and_saveexec_b64 s[42:43], vcc
	s_cbranch_execz .LBB2_6463
; %bb.6458:                             ;   in Loop: Header=BB2_5898 Depth=3
	v_and_b32_e32 v3, 0x7c000000, v28
	v_bfe_u32 v4, v28, 24, 2
	v_cmp_ne_u32_e32 vcc, s45, v3
                                        ; implicit-def: $vgpr3
	s_and_saveexec_b64 s[38:39], vcc
	s_xor_b64 s[38:39], exec, s[38:39]
	s_cbranch_execz .LBB2_6460
; %bb.6459:                             ;   in Loop: Header=BB2_5898 Depth=3
	v_ffbh_u32_e32 v3, v4
	v_min_u32_e32 v38, 32, v3
	v_subrev_u32_e32 v3, 29, v38
	v_lshlrev_b64 v[2:3], v3, v[2:3]
	v_bfe_u32 v14, v28, 26, 5
	v_sub_u32_e32 v3, 30, v38
	v_and_b32_e32 v2, 3, v2
	v_cmp_eq_u32_e32 vcc, 0, v14
	v_cndmask_b32_e32 v3, v14, v3, vcc
	v_cndmask_b32_e32 v2, v4, v2, vcc
	v_and_b32_e32 v4, 0x80000000, v28
	v_lshl_add_u32 v3, v3, 23, v4
	v_lshl_or_b32 v2, v2, 21, v3
	v_add_u32_e32 v3, 0x38000000, v2
                                        ; implicit-def: $vgpr4
.LBB2_6460:                             ;   in Loop: Header=BB2_5898 Depth=3
	s_andn2_saveexec_b64 s[38:39], s[38:39]
; %bb.6461:                             ;   in Loop: Header=BB2_5898 Depth=3
	v_cmp_lt_i32_e32 vcc, -1, v28
	v_cndmask_b32_e32 v2, v7, v0, vcc
	v_cmp_eq_u32_e32 vcc, 0, v4
	v_cndmask_b32_e32 v3, v35, v2, vcc
; %bb.6462:                             ;   in Loop: Header=BB2_5898 Depth=3
	s_or_b64 exec, exec, s[38:39]
.LBB2_6463:                             ;   in Loop: Header=BB2_5898 Depth=3
	s_or_b64 exec, exec, s[42:43]
.LBB2_6464:                             ;   in Loop: Header=BB2_5898 Depth=3
	s_or_b64 exec, exec, s[40:41]
	v_bfe_u32 v4, v8, 24, 2
	v_and_b32_e32 v28, 0x7c000000, v8
	v_cmp_eq_u32_e32 vcc, s45, v28
	v_ffbh_u32_e32 v28, v4
	v_min_u32_e32 v28, 32, v28
	v_lshrrev_b32_e32 v2, 24, v8
	v_subrev_u32_e32 v38, 29, v28
	v_lshlrev_b64 v[38:39], v38, v[2:3]
	v_bfe_u32 v14, v8, 26, 5
	v_cmp_eq_u32_e64 s[40:41], 0, v14
	v_sub_u32_e32 v28, 30, v28
	v_and_b32_e32 v38, 3, v38
	v_cndmask_b32_e64 v14, v14, v28, s[40:41]
	v_cndmask_b32_e64 v28, v4, v38, s[40:41]
	v_and_b32_e32 v38, 0x80000000, v8
	v_lshl_add_u32 v14, v14, 23, v38
	v_cmp_lt_i32_e64 s[42:43], -1, v8
	v_lshl_or_b32 v14, v28, 21, v14
	v_cmp_eq_u32_e64 s[40:41], 0, v4
	v_cndmask_b32_e64 v4, v7, v0, s[42:43]
	v_add_u32_e32 v14, 0x38000000, v14
	v_cndmask_b32_e64 v4, v35, v4, s[40:41]
	v_cndmask_b32_e32 v4, v14, v4, vcc
	v_cmp_ne_u32_e32 vcc, s96, v2
	v_bfrev_b32_e32 v2, 1
	v_cndmask_b32_e32 v2, v2, v4, vcc
	v_cmp_lt_u32_e32 vcc, s57, v8
	v_cndmask_b32_e32 v2, 0, v2, vcc
	v_add_f32_e32 v2, v2, v3
	v_and_b32_e32 v3, 0x7f800000, v2
	v_mov_b32_e32 v4, v29
	v_cmp_ne_u64_e32 vcc, s[76:77], v[3:4]
	v_and_b32_e32 v28, 0x7fffff, v2
                                        ; implicit-def: $vgpr61
	s_and_saveexec_b64 s[40:41], vcc
	s_xor_b64 s[42:43], exec, s[40:41]
	s_cbranch_execz .LBB2_6478
; %bb.6465:                             ;   in Loop: Header=BB2_5898 Depth=3
	v_and_b32_e32 v3, 0x7fffffff, v2
	v_mov_b32_e32 v4, v29
	v_cmp_gt_u64_e32 vcc, s[78:79], v[3:4]
	v_and_b32_sdwa v14, v2, s96 dst_sel:DWORD dst_unused:UNUSED_PAD src0_sel:BYTE_3 src1_sel:DWORD
                                        ; implicit-def: $vgpr61
	s_and_saveexec_b64 s[40:41], vcc
	s_xor_b64 s[38:39], exec, s[40:41]
	s_cbranch_execz .LBB2_6475
; %bb.6466:                             ;   in Loop: Header=BB2_5898 Depth=3
	v_mov_b32_e32 v61, 0
	v_cmp_ne_u32_e32 vcc, 0, v2
	s_and_saveexec_b64 s[48:49], vcc
	s_cbranch_execz .LBB2_6474
; %bb.6467:                             ;   in Loop: Header=BB2_5898 Depth=3
	v_bfe_u32 v49, v2, 23, 8
	v_cmp_gt_u32_e64 s[40:41], s46, v49
	v_sub_u32_e32 v2, 0x71, v49
	v_cmp_eq_u32_e32 vcc, 0, v49
	v_cndmask_b32_e64 v2, 0, v2, s[40:41]
	v_mov_b32_e32 v4, 0x70
	v_cndmask_b32_e32 v57, v2, v4, vcc
	v_add_u32_e32 v4, 21, v57
	v_or_b32_e32 v3, 0x800000, v28
	v_lshlrev_b64 v[38:39], v4, -1
	v_cndmask_b32_e32 v2, v3, v28, vcc
	v_mov_b32_e32 v3, v29
	v_add_u32_e32 v4, 20, v57
	v_bfi_b32 v38, v38, 0, v2
	v_lshlrev_b64 v[40:41], v4, 1
	v_lshrrev_b64 v[2:3], v57, v[2:3]
	v_bfi_b32 v39, v39, 0, 0
	v_cmp_eq_u64_e64 s[40:41], v[38:39], v[40:41]
	v_mov_b32_e32 v4, v3
	v_mov_b32_e32 v3, v2
	s_and_saveexec_b64 s[50:51], s[40:41]
; %bb.6468:                             ;   in Loop: Header=BB2_5898 Depth=3
	v_bfe_u32 v3, v2, 21, 1
	v_add_co_u32_e64 v3, s[40:41], v2, v3
	v_add_co_u32_e64 v3, s[40:41], -1, v3
; %bb.6469:                             ;   in Loop: Header=BB2_5898 Depth=3
	s_or_b64 exec, exec, s[50:51]
	v_add_u32_e32 v4, 0xffffff81, v49
	v_cndmask_b32_e32 v4, v4, v1, vcc
	v_lshrrev_b32_e32 v28, 23, v2
	v_add3_u32 v57, v57, v4, v28
	v_add_u32_e32 v49, 14, v57
	v_and_b32_e32 v3, 0x1fffff, v3
	v_add_u32_e32 v28, v3, v2
	v_cmp_ne_u32_e32 vcc, 0, v49
                                        ; implicit-def: $vgpr2_vgpr3
                                        ; implicit-def: $vgpr4
	s_and_saveexec_b64 s[40:41], vcc
	s_xor_b64 s[40:41], exec, s[40:41]
; %bb.6470:                             ;   in Loop: Header=BB2_5898 Depth=3
	v_cmp_lt_u64_e32 vcc, s[88:89], v[28:29]
	v_add_u32_e32 v2, 15, v57
	v_cndmask_b32_e32 v4, v49, v2, vcc
	v_cndmask_b32_e64 v2, 0, 1, vcc
	v_lshrrev_b64 v[2:3], v2, v[28:29]
; %bb.6471:                             ;   in Loop: Header=BB2_5898 Depth=3
	s_andn2_saveexec_b64 s[40:41], s[40:41]
; %bb.6472:                             ;   in Loop: Header=BB2_5898 Depth=3
	v_mov_b32_e32 v2, v28
	v_mov_b32_e32 v3, v29
	v_bfe_u32 v4, v28, 23, 1
; %bb.6473:                             ;   in Loop: Header=BB2_5898 Depth=3
	s_or_b64 exec, exec, s[40:41]
	v_lshrrev_b64 v[2:3], 21, v[2:3]
	v_cmp_gt_i32_e32 vcc, 32, v4
	v_cndmask_b32_e32 v3, 0, v3, vcc
	v_cndmask_b32_e32 v2, 3, v2, vcc
	v_cmp_eq_u64_e64 s[40:41], 0, v[2:3]
	v_min_i32_e32 v3, 31, v4
	v_lshlrev_b32_e32 v3, 2, v3
	v_cmp_eq_u32_e32 vcc, 0, v4
	v_and_b32_e32 v3, 0xfc, v3
	v_and_or_b32 v2, v2, 3, v3
	s_and_b64 s[40:41], vcc, s[40:41]
	v_cndmask_b32_e64 v2, v2, 0, s[40:41]
	v_or_b32_e32 v61, v2, v14
.LBB2_6474:                             ;   in Loop: Header=BB2_5898 Depth=3
	s_or_b64 exec, exec, s[48:49]
                                        ; implicit-def: $vgpr14
.LBB2_6475:                             ;   in Loop: Header=BB2_5898 Depth=3
	s_andn2_saveexec_b64 s[40:41], s[38:39]
; %bb.6476:                             ;   in Loop: Header=BB2_5898 Depth=3
	v_or_b32_e32 v61, 0x7b, v14
; %bb.6477:                             ;   in Loop: Header=BB2_5898 Depth=3
	s_or_b64 exec, exec, s[40:41]
                                        ; implicit-def: $vgpr2
.LBB2_6478:                             ;   in Loop: Header=BB2_5898 Depth=3
	s_andn2_saveexec_b64 s[40:41], s[42:43]
	s_cbranch_execz .LBB2_6484
; %bb.6479:                             ;   in Loop: Header=BB2_5898 Depth=3
	v_cmp_ne_u64_e32 vcc, 0, v[28:29]
                                        ; implicit-def: $vgpr61
	s_and_saveexec_b64 s[42:43], vcc
	s_xor_b64 s[42:43], exec, s[42:43]
; %bb.6480:                             ;   in Loop: Header=BB2_5898 Depth=3
	v_or_b32_sdwa v61, v2, s47 dst_sel:DWORD dst_unused:UNUSED_PAD src0_sel:BYTE_3 src1_sel:DWORD
                                        ; implicit-def: $vgpr2
; %bb.6481:                             ;   in Loop: Header=BB2_5898 Depth=3
	s_andn2_saveexec_b64 s[42:43], s[42:43]
; %bb.6482:                             ;   in Loop: Header=BB2_5898 Depth=3
	v_cmp_lt_i32_e32 vcc, -1, v2
	v_cndmask_b32_e32 v61, v6, v22, vcc
; %bb.6483:                             ;   in Loop: Header=BB2_5898 Depth=3
	s_or_b64 exec, exec, s[42:43]
.LBB2_6484:                             ;   in Loop: Header=BB2_5898 Depth=3
	s_or_b64 exec, exec, s[40:41]
	v_lshl_or_b32 v57, v15, 8, v5
	v_lshlrev_b32_e32 v2, 16, v30
	v_lshlrev_b32_e32 v3, 24, v31
	v_or3_b32 v28, v2, v3, v57
	v_cmp_ne_u32_e32 vcc, 0, v5
	v_mov_b32_e32 v2, 0
	s_and_saveexec_b64 s[42:43], vcc
	s_cbranch_execz .LBB2_6492
; %bb.6485:                             ;   in Loop: Header=BB2_5898 Depth=3
	v_cmp_ne_u32_e32 vcc, s96, v5
	v_bfrev_b32_e32 v2, 1
	s_and_saveexec_b64 s[38:39], vcc
	s_cbranch_execz .LBB2_6491
; %bb.6486:                             ;   in Loop: Header=BB2_5898 Depth=3
	v_and_b32_e32 v2, 0x7c, v5
	v_and_b32_e32 v3, 3, v5
	v_cmp_ne_u32_e32 vcc, s85, v2
                                        ; implicit-def: $vgpr2
	s_and_saveexec_b64 s[40:41], vcc
	s_xor_b64 s[40:41], exec, s[40:41]
	s_cbranch_execz .LBB2_6488
; %bb.6487:                             ;   in Loop: Header=BB2_5898 Depth=3
	v_ffbh_u32_e32 v4, v3
	v_min_u32_e32 v4, 32, v4
	v_bfe_u32 v2, v5, 2, 5
	v_subrev_u32_e32 v14, 29, v4
	v_lshlrev_b64 v[14:15], v14, v[28:29]
	v_sub_u32_e32 v4, 30, v4
	v_cmp_eq_u32_e32 vcc, 0, v2
	v_cndmask_b32_e32 v2, v2, v4, vcc
	v_lshlrev_b32_e32 v4, 24, v5
	v_and_b32_e32 v14, 3, v14
	v_and_b32_e32 v4, 0x80000000, v4
	v_cndmask_b32_e32 v3, v3, v14, vcc
	v_lshl_add_u32 v2, v2, 23, v4
	v_lshl_or_b32 v2, v3, 21, v2
	v_add_u32_e32 v2, 0x38000000, v2
                                        ; implicit-def: $vgpr3
                                        ; implicit-def: $vgpr5
.LBB2_6488:                             ;   in Loop: Header=BB2_5898 Depth=3
	s_andn2_saveexec_b64 s[48:49], s[40:41]
; %bb.6489:                             ;   in Loop: Header=BB2_5898 Depth=3
	v_and_b32_e32 v2, 0x80, v5
	v_cmp_eq_u32_e64 s[40:41], 0, v2
	v_cmp_eq_u32_e32 vcc, 0, v3
	v_cndmask_b32_e64 v2, v7, v0, s[40:41]
	v_cndmask_b32_e32 v2, v35, v2, vcc
; %bb.6490:                             ;   in Loop: Header=BB2_5898 Depth=3
	s_or_b64 exec, exec, s[48:49]
.LBB2_6491:                             ;   in Loop: Header=BB2_5898 Depth=3
	s_or_b64 exec, exec, s[38:39]
.LBB2_6492:                             ;   in Loop: Header=BB2_5898 Depth=3
	s_or_b64 exec, exec, s[42:43]
	v_cmp_gt_i16_sdwa s[42:43], v9, s47 src0_sel:BYTE_0 src1_sel:DWORD
	s_mov_b64 s[40:41], 0
	s_and_saveexec_b64 vcc, s[42:43]
	s_xor_b64 s[42:43], exec, vcc
	s_cbranch_execz .LBB2_6496
; %bb.6493:                             ;   in Loop: Header=BB2_5898 Depth=3
	v_cmp_eq_u16_sdwa s[38:39], v9, s96 src0_sel:BYTE_0 src1_sel:DWORD
	s_mov_b64 s[40:41], -1
	s_and_saveexec_b64 vcc, s[38:39]
; %bb.6494:                             ;   in Loop: Header=BB2_5898 Depth=3
	s_xor_b64 s[40:41], exec, -1
; %bb.6495:                             ;   in Loop: Header=BB2_5898 Depth=3
	s_or_b64 exec, exec, vcc
	s_and_b64 s[40:41], s[40:41], exec
.LBB2_6496:                             ;   in Loop: Header=BB2_5898 Depth=3
	s_or_saveexec_b64 s[42:43], s[42:43]
	v_bfrev_b32_e32 v3, 1
	s_xor_b64 exec, exec, s[42:43]
; %bb.6497:                             ;   in Loop: Header=BB2_5898 Depth=3
	v_cmp_ne_u16_sdwa vcc, v9, v29 src0_sel:BYTE_0 src1_sel:DWORD
	s_andn2_b64 s[40:41], s[40:41], exec
	s_and_b64 vcc, vcc, exec
	v_mov_b32_e32 v3, 0
	s_or_b64 s[40:41], s[40:41], vcc
; %bb.6498:                             ;   in Loop: Header=BB2_5898 Depth=3
	s_or_b64 exec, exec, s[42:43]
	v_mov_b32_e32 v4, v9
	v_mov_b32_e32 v5, v29
	s_and_saveexec_b64 s[38:39], s[40:41]
	s_cbranch_execz .LBB2_6500
; %bb.6499:                             ;   in Loop: Header=BB2_5898 Depth=3
	v_and_b32_e32 v3, 3, v9
	v_and_b32_e32 v14, 0x7c, v9
	v_cmp_eq_u32_e32 vcc, s85, v14
	v_ffbh_u32_e32 v14, v3
	v_min_u32_e32 v31, 32, v14
	v_subrev_u32_e32 v14, 29, v31
	v_bfe_u32 v30, v9, 2, 5
	v_lshlrev_b64 v[14:15], v14, v[4:5]
	v_cmp_eq_u32_e64 s[40:41], 0, v30
	v_sub_u32_e32 v5, 30, v31
	v_lshlrev_b32_e32 v15, 24, v9
	v_and_b32_e32 v14, 3, v14
	v_cndmask_b32_e64 v5, v30, v5, s[40:41]
	v_and_b32_e32 v15, 0x80000000, v15
	v_cndmask_b32_e64 v14, v3, v14, s[40:41]
	v_lshl_add_u32 v5, v5, 23, v15
	v_cmp_gt_i16_sdwa s[42:43], sext(v9), v48 src0_sel:BYTE_0 src1_sel:DWORD
	v_lshl_or_b32 v5, v14, 21, v5
	v_cmp_eq_u32_e64 s[40:41], 0, v3
	v_cndmask_b32_e64 v3, v7, v0, s[42:43]
	v_add_u32_e32 v5, 0x38000000, v5
	v_cndmask_b32_e64 v3, v35, v3, s[40:41]
	v_cndmask_b32_e32 v3, v5, v3, vcc
.LBB2_6500:                             ;   in Loop: Header=BB2_5898 Depth=3
	s_or_b64 exec, exec, s[38:39]
	v_add_f32_e32 v15, v2, v3
	v_and_b32_e32 v30, 0x7f800000, v15
	v_mov_b32_e32 v31, v29
	v_cmp_ne_u64_e32 vcc, s[76:77], v[30:31]
	v_and_b32_e32 v2, 0x7fffff, v15
	v_mov_b32_e32 v3, v29
                                        ; implicit-def: $vgpr14
	s_and_saveexec_b64 s[40:41], vcc
	s_xor_b64 s[42:43], exec, s[40:41]
	s_cbranch_execz .LBB2_6514
; %bb.6501:                             ;   in Loop: Header=BB2_5898 Depth=3
	v_and_b32_e32 v30, 0x7fffffff, v15
	v_mov_b32_e32 v31, v29
	v_cmp_gt_u64_e32 vcc, s[78:79], v[30:31]
	v_and_b32_sdwa v5, v15, s96 dst_sel:DWORD dst_unused:UNUSED_PAD src0_sel:BYTE_3 src1_sel:DWORD
                                        ; implicit-def: $vgpr14
	s_and_saveexec_b64 s[40:41], vcc
	s_xor_b64 s[38:39], exec, s[40:41]
	s_cbranch_execz .LBB2_6511
; %bb.6502:                             ;   in Loop: Header=BB2_5898 Depth=3
	v_mov_b32_e32 v14, 0
	v_cmp_ne_u32_e32 vcc, 0, v15
	s_and_saveexec_b64 s[48:49], vcc
	s_cbranch_execz .LBB2_6510
; %bb.6503:                             ;   in Loop: Header=BB2_5898 Depth=3
	v_bfe_u32 v30, v15, 23, 8
	v_cmp_gt_u32_e64 s[40:41], s46, v30
	v_sub_u32_e32 v14, 0x71, v30
	v_cmp_eq_u32_e32 vcc, 0, v30
	v_cndmask_b32_e64 v14, 0, v14, s[40:41]
	v_mov_b32_e32 v31, 0x70
	v_cndmask_b32_e32 v31, v14, v31, vcc
	v_or_b32_e32 v15, 0x800000, v2
	v_add_u32_e32 v14, 21, v31
	v_cndmask_b32_e32 v2, v15, v2, vcc
	v_lshlrev_b64 v[14:15], v14, -1
	v_add_u32_e32 v38, 20, v31
	v_bfi_b32 v14, v14, 0, v2
	v_lshlrev_b64 v[38:39], v38, 1
	v_lshrrev_b64 v[2:3], v31, v[2:3]
	v_bfi_b32 v15, v15, 0, 0
	v_cmp_eq_u64_e64 s[40:41], v[14:15], v[38:39]
	v_mov_b32_e32 v15, v3
	v_mov_b32_e32 v14, v2
	s_and_saveexec_b64 s[50:51], s[40:41]
; %bb.6504:                             ;   in Loop: Header=BB2_5898 Depth=3
	v_bfe_u32 v3, v2, 21, 1
	v_add_co_u32_e64 v3, s[40:41], v2, v3
	v_add_co_u32_e64 v14, s[40:41], -1, v3
; %bb.6505:                             ;   in Loop: Header=BB2_5898 Depth=3
	s_or_b64 exec, exec, s[50:51]
	v_add_u32_e32 v3, 0xffffff81, v30
	v_cndmask_b32_e32 v3, v3, v1, vcc
	v_lshrrev_b32_e32 v15, 23, v2
	v_add3_u32 v30, v31, v3, v15
	v_add_u32_e32 v15, 14, v30
	v_and_b32_e32 v3, 0x1fffff, v14
	v_add_u32_e32 v2, v3, v2
	v_mov_b32_e32 v3, v29
	v_cmp_ne_u32_e32 vcc, 0, v15
                                        ; implicit-def: $vgpr14
	s_and_saveexec_b64 s[40:41], vcc
	s_xor_b64 s[40:41], exec, s[40:41]
; %bb.6506:                             ;   in Loop: Header=BB2_5898 Depth=3
	v_cmp_lt_u64_e32 vcc, s[88:89], v[2:3]
	v_add_u32_e32 v14, 15, v30
	v_cndmask_b32_e32 v14, v15, v14, vcc
	v_cndmask_b32_e64 v15, 0, 1, vcc
	v_lshrrev_b64 v[2:3], v15, v[2:3]
; %bb.6507:                             ;   in Loop: Header=BB2_5898 Depth=3
	s_andn2_saveexec_b64 s[40:41], s[40:41]
; %bb.6508:                             ;   in Loop: Header=BB2_5898 Depth=3
	v_bfe_u32 v14, v2, 23, 1
; %bb.6509:                             ;   in Loop: Header=BB2_5898 Depth=3
	s_or_b64 exec, exec, s[40:41]
	v_lshrrev_b64 v[2:3], 21, v[2:3]
	v_cmp_gt_i32_e32 vcc, 32, v14
	v_cndmask_b32_e32 v3, 0, v3, vcc
	v_cndmask_b32_e32 v2, 3, v2, vcc
	v_cmp_eq_u64_e64 s[40:41], 0, v[2:3]
	v_min_i32_e32 v3, 31, v14
	v_lshlrev_b32_e32 v3, 2, v3
	v_cmp_eq_u32_e32 vcc, 0, v14
	v_and_b32_e32 v3, 0xfc, v3
	v_and_or_b32 v2, v2, 3, v3
	s_and_b64 s[40:41], vcc, s[40:41]
	v_cndmask_b32_e64 v2, v2, 0, s[40:41]
	v_or_b32_e32 v14, v2, v5
.LBB2_6510:                             ;   in Loop: Header=BB2_5898 Depth=3
	s_or_b64 exec, exec, s[48:49]
                                        ; implicit-def: $vgpr5
.LBB2_6511:                             ;   in Loop: Header=BB2_5898 Depth=3
	s_andn2_saveexec_b64 s[40:41], s[38:39]
; %bb.6512:                             ;   in Loop: Header=BB2_5898 Depth=3
	v_or_b32_e32 v14, 0x7b, v5
; %bb.6513:                             ;   in Loop: Header=BB2_5898 Depth=3
	s_or_b64 exec, exec, s[40:41]
                                        ; implicit-def: $vgpr15
                                        ; implicit-def: $vgpr2_vgpr3
.LBB2_6514:                             ;   in Loop: Header=BB2_5898 Depth=3
	s_andn2_saveexec_b64 s[40:41], s[42:43]
	s_cbranch_execz .LBB2_6520
; %bb.6515:                             ;   in Loop: Header=BB2_5898 Depth=3
	v_cmp_ne_u64_e32 vcc, 0, v[2:3]
                                        ; implicit-def: $vgpr14
	s_and_saveexec_b64 s[42:43], vcc
	s_xor_b64 s[42:43], exec, s[42:43]
; %bb.6516:                             ;   in Loop: Header=BB2_5898 Depth=3
	v_or_b32_sdwa v14, v15, s47 dst_sel:DWORD dst_unused:UNUSED_PAD src0_sel:BYTE_3 src1_sel:DWORD
                                        ; implicit-def: $vgpr15
; %bb.6517:                             ;   in Loop: Header=BB2_5898 Depth=3
	s_andn2_saveexec_b64 s[42:43], s[42:43]
; %bb.6518:                             ;   in Loop: Header=BB2_5898 Depth=3
	v_cmp_lt_i32_e32 vcc, -1, v15
	v_cndmask_b32_e32 v14, v6, v22, vcc
; %bb.6519:                             ;   in Loop: Header=BB2_5898 Depth=3
	s_or_b64 exec, exec, s[42:43]
.LBB2_6520:                             ;   in Loop: Header=BB2_5898 Depth=3
	s_or_b64 exec, exec, s[40:41]
	v_lshrrev_b16_e32 v2, 8, v57
	v_cmp_ne_u16_e32 vcc, 0, v2
	v_mov_b32_e32 v5, 0
	s_and_saveexec_b64 s[40:41], vcc
	s_cbranch_execz .LBB2_6528
; %bb.6521:                             ;   in Loop: Header=BB2_5898 Depth=3
	v_cmp_ne_u16_e32 vcc, s96, v2
	v_bfrev_b32_e32 v5, 1
	s_and_saveexec_b64 s[42:43], vcc
	s_cbranch_execz .LBB2_6527
; %bb.6522:                             ;   in Loop: Header=BB2_5898 Depth=3
	v_and_b32_e32 v3, 0x7c, v2
	v_and_b32_e32 v15, 3, v2
	v_cmp_ne_u32_e32 vcc, s85, v3
                                        ; implicit-def: $vgpr5
	s_and_saveexec_b64 s[38:39], vcc
	s_xor_b64 s[38:39], exec, s[38:39]
	s_cbranch_execz .LBB2_6524
; %bb.6523:                             ;   in Loop: Header=BB2_5898 Depth=3
	v_ffbh_u32_e32 v30, v15
	v_min_u32_e32 v30, 32, v30
	v_mov_b32_e32 v3, v29
	v_subrev_u32_e32 v31, 29, v30
	v_bfe_u32 v5, v2, 2, 5
	v_lshlrev_b64 v[2:3], v31, v[2:3]
	v_sub_u32_e32 v3, 30, v30
	v_cmp_eq_u32_e32 vcc, 0, v5
	v_cndmask_b32_e32 v3, v5, v3, vcc
	v_lshlrev_b32_e32 v5, 16, v57
	v_and_b32_e32 v2, 3, v2
	v_and_b32_e32 v5, 0x80000000, v5
	v_cndmask_b32_e32 v2, v15, v2, vcc
	v_lshl_add_u32 v3, v3, 23, v5
	v_lshl_or_b32 v2, v2, 21, v3
	v_add_u32_e32 v5, 0x38000000, v2
                                        ; implicit-def: $vgpr15
                                        ; implicit-def: $vgpr57
.LBB2_6524:                             ;   in Loop: Header=BB2_5898 Depth=3
	s_andn2_saveexec_b64 s[38:39], s[38:39]
; %bb.6525:                             ;   in Loop: Header=BB2_5898 Depth=3
	v_cmp_lt_i16_e32 vcc, -1, v57
	v_cndmask_b32_e32 v2, v7, v0, vcc
	v_cmp_eq_u32_e32 vcc, 0, v15
	v_cndmask_b32_e32 v5, v35, v2, vcc
; %bb.6526:                             ;   in Loop: Header=BB2_5898 Depth=3
	s_or_b64 exec, exec, s[38:39]
.LBB2_6527:                             ;   in Loop: Header=BB2_5898 Depth=3
	s_or_b64 exec, exec, s[42:43]
.LBB2_6528:                             ;   in Loop: Header=BB2_5898 Depth=3
	s_or_b64 exec, exec, s[40:41]
	v_lshrrev_b16_e32 v2, 8, v4
	v_cmp_lt_i16_e32 vcc, s47, v2
	s_mov_b64 s[40:41], 0
	s_and_saveexec_b64 s[42:43], vcc
	s_xor_b64 s[42:43], exec, s[42:43]
	s_cbranch_execz .LBB2_6887
; %bb.6529:                             ;   in Loop: Header=BB2_5898 Depth=3
	v_cmp_eq_u16_e32 vcc, s96, v2
	s_mov_b64 s[40:41], -1
	s_and_saveexec_b64 s[38:39], vcc
; %bb.6530:                             ;   in Loop: Header=BB2_5898 Depth=3
	s_xor_b64 s[40:41], exec, -1
; %bb.6531:                             ;   in Loop: Header=BB2_5898 Depth=3
	s_or_b64 exec, exec, s[38:39]
	s_and_b64 s[40:41], s[40:41], exec
	s_or_saveexec_b64 s[42:43], s[42:43]
	v_bfrev_b32_e32 v3, 1
	s_xor_b64 exec, exec, s[42:43]
	s_cbranch_execnz .LBB2_6888
.LBB2_6532:                             ;   in Loop: Header=BB2_5898 Depth=3
	s_or_b64 exec, exec, s[42:43]
	s_and_saveexec_b64 s[38:39], s[40:41]
	s_cbranch_execz .LBB2_6534
.LBB2_6533:                             ;   in Loop: Header=BB2_5898 Depth=3
	v_and_b32_e32 v15, 3, v2
	v_and_b32_e32 v30, 0x7c, v2
	v_cmp_eq_u32_e32 vcc, s85, v30
	v_ffbh_u32_e32 v30, v15
	v_min_u32_e32 v39, 32, v30
	v_mov_b32_e32 v3, v29
	v_subrev_u32_e32 v30, 29, v39
	v_bfe_u32 v38, v2, 2, 5
	v_lshlrev_b64 v[30:31], v30, v[2:3]
	v_cmp_eq_u32_e64 s[40:41], 0, v38
	v_sub_u32_e32 v3, 30, v39
	v_lshlrev_b32_e32 v2, 24, v2
	v_and_b32_e32 v30, 3, v30
	v_cndmask_b32_e64 v3, v38, v3, s[40:41]
	v_and_b32_e32 v2, 0x80000000, v2
	v_cndmask_b32_e64 v30, v15, v30, s[40:41]
	v_lshl_add_u32 v2, v3, 23, v2
	v_cmp_lt_i16_e64 s[42:43], -1, v4
	v_lshl_or_b32 v2, v30, 21, v2
	v_cmp_eq_u32_e64 s[40:41], 0, v15
	v_cndmask_b32_e64 v3, v7, v0, s[42:43]
	v_add_u32_e32 v2, 0x38000000, v2
	v_cndmask_b32_e64 v3, v35, v3, s[40:41]
	v_cndmask_b32_e32 v3, v2, v3, vcc
.LBB2_6534:                             ;   in Loop: Header=BB2_5898 Depth=3
	s_or_b64 exec, exec, s[38:39]
	v_add_f32_e32 v4, v5, v3
	v_and_b32_e32 v30, 0x7f800000, v4
	v_mov_b32_e32 v31, v29
	v_cmp_ne_u64_e32 vcc, s[76:77], v[30:31]
	v_and_b32_e32 v2, 0x7fffff, v4
	v_mov_b32_e32 v3, v29
                                        ; implicit-def: $vgpr15
	s_and_saveexec_b64 s[40:41], vcc
	s_xor_b64 s[42:43], exec, s[40:41]
	s_cbranch_execz .LBB2_6548
; %bb.6535:                             ;   in Loop: Header=BB2_5898 Depth=3
	v_and_b32_e32 v30, 0x7fffffff, v4
	v_mov_b32_e32 v31, v29
	v_cmp_gt_u64_e32 vcc, s[78:79], v[30:31]
	v_and_b32_sdwa v5, v4, s96 dst_sel:DWORD dst_unused:UNUSED_PAD src0_sel:BYTE_3 src1_sel:DWORD
                                        ; implicit-def: $vgpr15
	s_and_saveexec_b64 s[40:41], vcc
	s_xor_b64 s[38:39], exec, s[40:41]
	s_cbranch_execz .LBB2_6545
; %bb.6536:                             ;   in Loop: Header=BB2_5898 Depth=3
	v_mov_b32_e32 v15, 0
	v_cmp_ne_u32_e32 vcc, 0, v4
	s_and_saveexec_b64 s[48:49], vcc
	s_cbranch_execz .LBB2_6544
; %bb.6537:                             ;   in Loop: Header=BB2_5898 Depth=3
	v_bfe_u32 v15, v4, 23, 8
	v_cmp_gt_u32_e64 s[40:41], s46, v15
	v_sub_u32_e32 v4, 0x71, v15
	v_cmp_eq_u32_e32 vcc, 0, v15
	v_cndmask_b32_e64 v4, 0, v4, s[40:41]
	v_mov_b32_e32 v30, 0x70
	v_cndmask_b32_e32 v30, v4, v30, vcc
	v_add_u32_e32 v4, 21, v30
	v_or_b32_e32 v31, 0x800000, v2
	v_lshlrev_b64 v[38:39], v4, -1
	v_cndmask_b32_e32 v2, v31, v2, vcc
	v_add_u32_e32 v4, 20, v30
	v_bfi_b32 v38, v38, 0, v2
	v_lshlrev_b64 v[40:41], v4, 1
	v_lshrrev_b64 v[2:3], v30, v[2:3]
	v_bfi_b32 v39, v39, 0, 0
	v_cmp_eq_u64_e64 s[40:41], v[38:39], v[40:41]
	v_mov_b32_e32 v4, v3
	v_mov_b32_e32 v3, v2
	s_and_saveexec_b64 s[50:51], s[40:41]
; %bb.6538:                             ;   in Loop: Header=BB2_5898 Depth=3
	v_bfe_u32 v3, v2, 21, 1
	v_add_co_u32_e64 v3, s[40:41], v2, v3
	v_add_co_u32_e64 v3, s[40:41], -1, v3
; %bb.6539:                             ;   in Loop: Header=BB2_5898 Depth=3
	s_or_b64 exec, exec, s[50:51]
	v_add_u32_e32 v4, 0xffffff81, v15
	v_cndmask_b32_e32 v4, v4, v1, vcc
	v_lshrrev_b32_e32 v15, 23, v2
	v_add3_u32 v30, v30, v4, v15
	v_add_u32_e32 v15, 14, v30
	v_and_b32_e32 v3, 0x1fffff, v3
	v_add_u32_e32 v2, v3, v2
	v_mov_b32_e32 v3, v29
	v_cmp_ne_u32_e32 vcc, 0, v15
                                        ; implicit-def: $vgpr4
	s_and_saveexec_b64 s[40:41], vcc
	s_xor_b64 s[40:41], exec, s[40:41]
; %bb.6540:                             ;   in Loop: Header=BB2_5898 Depth=3
	v_cmp_lt_u64_e32 vcc, s[88:89], v[2:3]
	v_add_u32_e32 v4, 15, v30
	v_cndmask_b32_e32 v4, v15, v4, vcc
	v_cndmask_b32_e64 v15, 0, 1, vcc
	v_lshrrev_b64 v[2:3], v15, v[2:3]
; %bb.6541:                             ;   in Loop: Header=BB2_5898 Depth=3
	s_andn2_saveexec_b64 s[40:41], s[40:41]
; %bb.6542:                             ;   in Loop: Header=BB2_5898 Depth=3
	v_bfe_u32 v4, v2, 23, 1
; %bb.6543:                             ;   in Loop: Header=BB2_5898 Depth=3
	s_or_b64 exec, exec, s[40:41]
	v_lshrrev_b64 v[2:3], 21, v[2:3]
	v_cmp_gt_i32_e32 vcc, 32, v4
	v_cndmask_b32_e32 v3, 0, v3, vcc
	v_cndmask_b32_e32 v2, 3, v2, vcc
	v_cmp_eq_u64_e64 s[40:41], 0, v[2:3]
	v_min_i32_e32 v3, 31, v4
	v_lshlrev_b32_e32 v3, 2, v3
	v_cmp_eq_u32_e32 vcc, 0, v4
	v_and_b32_e32 v3, 0xfc, v3
	v_and_or_b32 v2, v2, 3, v3
	s_and_b64 s[40:41], vcc, s[40:41]
	v_cndmask_b32_e64 v2, v2, 0, s[40:41]
	v_or_b32_e32 v15, v2, v5
.LBB2_6544:                             ;   in Loop: Header=BB2_5898 Depth=3
	s_or_b64 exec, exec, s[48:49]
                                        ; implicit-def: $vgpr5
.LBB2_6545:                             ;   in Loop: Header=BB2_5898 Depth=3
	s_andn2_saveexec_b64 s[40:41], s[38:39]
; %bb.6546:                             ;   in Loop: Header=BB2_5898 Depth=3
	v_or_b32_e32 v15, 0x7b, v5
; %bb.6547:                             ;   in Loop: Header=BB2_5898 Depth=3
	s_or_b64 exec, exec, s[40:41]
                                        ; implicit-def: $vgpr4
                                        ; implicit-def: $vgpr2_vgpr3
.LBB2_6548:                             ;   in Loop: Header=BB2_5898 Depth=3
	s_andn2_saveexec_b64 s[40:41], s[42:43]
	s_cbranch_execz .LBB2_6554
; %bb.6549:                             ;   in Loop: Header=BB2_5898 Depth=3
	v_cmp_ne_u64_e32 vcc, 0, v[2:3]
                                        ; implicit-def: $vgpr15
	s_and_saveexec_b64 s[42:43], vcc
	s_xor_b64 s[42:43], exec, s[42:43]
; %bb.6550:                             ;   in Loop: Header=BB2_5898 Depth=3
	v_or_b32_sdwa v15, v4, s47 dst_sel:DWORD dst_unused:UNUSED_PAD src0_sel:BYTE_3 src1_sel:DWORD
                                        ; implicit-def: $vgpr4
; %bb.6551:                             ;   in Loop: Header=BB2_5898 Depth=3
	s_andn2_saveexec_b64 s[42:43], s[42:43]
; %bb.6552:                             ;   in Loop: Header=BB2_5898 Depth=3
	v_cmp_lt_i32_e32 vcc, -1, v4
	v_cndmask_b32_e32 v15, v6, v22, vcc
; %bb.6553:                             ;   in Loop: Header=BB2_5898 Depth=3
	s_or_b64 exec, exec, s[42:43]
.LBB2_6554:                             ;   in Loop: Header=BB2_5898 Depth=3
	s_or_b64 exec, exec, s[40:41]
	v_and_b32_sdwa v4, v28, s87 dst_sel:DWORD dst_unused:UNUSED_PAD src0_sel:WORD_1 src1_sel:DWORD
	v_lshrrev_b32_e32 v2, 16, v28
	v_cmp_ne_u16_e32 vcc, 0, v4
	v_mov_b32_e32 v3, 0
	s_and_saveexec_b64 s[40:41], vcc
	s_cbranch_execz .LBB2_6562
; %bb.6555:                             ;   in Loop: Header=BB2_5898 Depth=3
	v_cmp_ne_u16_e32 vcc, s96, v4
	v_bfrev_b32_e32 v3, 1
	s_and_saveexec_b64 s[42:43], vcc
	s_cbranch_execz .LBB2_6561
; %bb.6556:                             ;   in Loop: Header=BB2_5898 Depth=3
	v_and_b32_e32 v3, 0x7c0000, v28
	v_bfe_u32 v4, v28, 16, 2
	v_cmp_ne_u32_e32 vcc, s44, v3
                                        ; implicit-def: $vgpr3
	s_and_saveexec_b64 s[38:39], vcc
	s_xor_b64 s[38:39], exec, s[38:39]
	s_cbranch_execz .LBB2_6558
; %bb.6557:                             ;   in Loop: Header=BB2_5898 Depth=3
	v_ffbh_u32_e32 v3, v4
	v_min_u32_e32 v30, 32, v3
	v_subrev_u32_e32 v3, 29, v30
	v_lshlrev_b64 v[2:3], v3, v[2:3]
	v_bfe_u32 v5, v28, 18, 5
	v_and_b32_e32 v2, 3, v2
	v_cmp_eq_u32_e32 vcc, 0, v5
	v_sub_u32_e32 v3, 30, v30
	v_cndmask_b32_e32 v2, v4, v2, vcc
	v_lshlrev_b32_e32 v4, 8, v28
	v_cndmask_b32_e32 v3, v5, v3, vcc
	v_and_b32_e32 v4, 0x80000000, v4
	v_lshl_add_u32 v3, v3, 23, v4
	v_lshl_or_b32 v2, v2, 21, v3
	v_add_u32_e32 v3, 0x38000000, v2
                                        ; implicit-def: $vgpr4
                                        ; implicit-def: $vgpr2
.LBB2_6558:                             ;   in Loop: Header=BB2_5898 Depth=3
	s_andn2_saveexec_b64 s[38:39], s[38:39]
; %bb.6559:                             ;   in Loop: Header=BB2_5898 Depth=3
	v_cmp_gt_i16_sdwa vcc, sext(v2), v48 src0_sel:BYTE_0 src1_sel:DWORD
	v_cndmask_b32_e32 v2, v7, v0, vcc
	v_cmp_eq_u32_e32 vcc, 0, v4
	v_cndmask_b32_e32 v3, v35, v2, vcc
; %bb.6560:                             ;   in Loop: Header=BB2_5898 Depth=3
	s_or_b64 exec, exec, s[38:39]
.LBB2_6561:                             ;   in Loop: Header=BB2_5898 Depth=3
	s_or_b64 exec, exec, s[42:43]
.LBB2_6562:                             ;   in Loop: Header=BB2_5898 Depth=3
	s_or_b64 exec, exec, s[40:41]
	v_lshrrev_b32_e32 v2, 16, v9
	v_cmp_gt_i16_sdwa s[42:43], v2, s47 src0_sel:BYTE_0 src1_sel:DWORD
	s_mov_b64 s[40:41], 0
	s_and_saveexec_b64 vcc, s[42:43]
	s_xor_b64 s[42:43], exec, vcc
	s_cbranch_execz .LBB2_6889
; %bb.6563:                             ;   in Loop: Header=BB2_5898 Depth=3
	v_cmp_eq_u16_sdwa s[38:39], v2, s96 src0_sel:BYTE_0 src1_sel:DWORD
	s_mov_b64 s[40:41], -1
	s_and_saveexec_b64 vcc, s[38:39]
; %bb.6564:                             ;   in Loop: Header=BB2_5898 Depth=3
	s_xor_b64 s[40:41], exec, -1
; %bb.6565:                             ;   in Loop: Header=BB2_5898 Depth=3
	s_or_b64 exec, exec, vcc
	s_and_b64 s[40:41], s[40:41], exec
	s_or_saveexec_b64 s[42:43], s[42:43]
	v_bfrev_b32_e32 v4, 1
	s_xor_b64 exec, exec, s[42:43]
	s_cbranch_execnz .LBB2_6890
.LBB2_6566:                             ;   in Loop: Header=BB2_5898 Depth=3
	s_or_b64 exec, exec, s[42:43]
	s_and_saveexec_b64 s[38:39], s[40:41]
	s_cbranch_execz .LBB2_6568
.LBB2_6567:                             ;   in Loop: Header=BB2_5898 Depth=3
	v_and_b32_e32 v30, 3, v2
	v_and_b32_e32 v4, 0x7c0000, v9
	v_cmp_eq_u32_e32 vcc, s44, v4
	v_ffbh_u32_e32 v4, v30
	v_min_u32_e32 v38, 32, v4
	v_subrev_u32_e32 v4, 29, v38
	v_bfe_u32 v31, v9, 18, 5
	v_lshlrev_b64 v[4:5], v4, v[2:3]
	v_cmp_eq_u32_e64 s[40:41], 0, v31
	v_sub_u32_e32 v5, 30, v38
	v_cndmask_b32_e64 v5, v31, v5, s[40:41]
	v_lshlrev_b32_e32 v31, 24, v2
	v_and_b32_e32 v4, 3, v4
	v_and_b32_e32 v31, 0x80000000, v31
	v_cndmask_b32_e64 v4, v30, v4, s[40:41]
	v_lshl_add_u32 v5, v5, 23, v31
	v_cmp_gt_i16_sdwa s[42:43], sext(v2), v48 src0_sel:BYTE_0 src1_sel:DWORD
	v_lshl_or_b32 v4, v4, 21, v5
	v_cmp_eq_u32_e64 s[40:41], 0, v30
	v_cndmask_b32_e64 v2, v7, v0, s[42:43]
	v_add_u32_e32 v4, 0x38000000, v4
	v_cndmask_b32_e64 v2, v35, v2, s[40:41]
	v_cndmask_b32_e32 v4, v4, v2, vcc
.LBB2_6568:                             ;   in Loop: Header=BB2_5898 Depth=3
	s_or_b64 exec, exec, s[38:39]
	v_add_f32_e32 v4, v3, v4
	v_and_b32_e32 v30, 0x7f800000, v4
	v_mov_b32_e32 v31, v29
	v_cmp_ne_u64_e32 vcc, s[76:77], v[30:31]
	v_and_b32_e32 v2, 0x7fffff, v4
	v_mov_b32_e32 v3, v29
                                        ; implicit-def: $vgpr30
	s_and_saveexec_b64 s[40:41], vcc
	s_xor_b64 s[42:43], exec, s[40:41]
	s_cbranch_execz .LBB2_6582
; %bb.6569:                             ;   in Loop: Header=BB2_5898 Depth=3
	v_and_b32_e32 v30, 0x7fffffff, v4
	v_mov_b32_e32 v31, v29
	v_cmp_gt_u64_e32 vcc, s[78:79], v[30:31]
	v_and_b32_sdwa v5, v4, s96 dst_sel:DWORD dst_unused:UNUSED_PAD src0_sel:BYTE_3 src1_sel:DWORD
                                        ; implicit-def: $vgpr30
	s_and_saveexec_b64 s[40:41], vcc
	s_xor_b64 s[38:39], exec, s[40:41]
	s_cbranch_execz .LBB2_6579
; %bb.6570:                             ;   in Loop: Header=BB2_5898 Depth=3
	v_mov_b32_e32 v30, 0
	v_cmp_ne_u32_e32 vcc, 0, v4
	s_and_saveexec_b64 s[48:49], vcc
	s_cbranch_execz .LBB2_6578
; %bb.6571:                             ;   in Loop: Header=BB2_5898 Depth=3
	v_bfe_u32 v30, v4, 23, 8
	v_cmp_gt_u32_e64 s[40:41], s46, v30
	v_sub_u32_e32 v4, 0x71, v30
	v_cmp_eq_u32_e32 vcc, 0, v30
	v_cndmask_b32_e64 v4, 0, v4, s[40:41]
	v_mov_b32_e32 v31, 0x70
	v_cndmask_b32_e32 v31, v4, v31, vcc
	v_or_b32_e32 v38, 0x800000, v2
	v_add_u32_e32 v4, 21, v31
	v_cndmask_b32_e32 v2, v38, v2, vcc
	v_lshlrev_b64 v[38:39], v4, -1
	v_add_u32_e32 v4, 20, v31
	v_bfi_b32 v38, v38, 0, v2
	v_lshlrev_b64 v[40:41], v4, 1
	v_lshrrev_b64 v[2:3], v31, v[2:3]
	v_bfi_b32 v39, v39, 0, 0
	v_cmp_eq_u64_e64 s[40:41], v[38:39], v[40:41]
	v_mov_b32_e32 v4, v3
	v_mov_b32_e32 v3, v2
	s_and_saveexec_b64 s[50:51], s[40:41]
; %bb.6572:                             ;   in Loop: Header=BB2_5898 Depth=3
	v_bfe_u32 v3, v2, 21, 1
	v_add_co_u32_e64 v3, s[40:41], v2, v3
	v_add_co_u32_e64 v3, s[40:41], -1, v3
; %bb.6573:                             ;   in Loop: Header=BB2_5898 Depth=3
	s_or_b64 exec, exec, s[50:51]
	v_add_u32_e32 v4, 0xffffff81, v30
	v_cndmask_b32_e32 v4, v4, v1, vcc
	v_lshrrev_b32_e32 v30, 23, v2
	v_add3_u32 v31, v31, v4, v30
	v_add_u32_e32 v30, 14, v31
	v_and_b32_e32 v3, 0x1fffff, v3
	v_add_u32_e32 v2, v3, v2
	v_mov_b32_e32 v3, v29
	v_cmp_ne_u32_e32 vcc, 0, v30
                                        ; implicit-def: $vgpr4
	s_and_saveexec_b64 s[40:41], vcc
	s_xor_b64 s[40:41], exec, s[40:41]
; %bb.6574:                             ;   in Loop: Header=BB2_5898 Depth=3
	v_cmp_lt_u64_e32 vcc, s[88:89], v[2:3]
	v_add_u32_e32 v4, 15, v31
	v_cndmask_b32_e32 v4, v30, v4, vcc
	v_cndmask_b32_e64 v30, 0, 1, vcc
	v_lshrrev_b64 v[2:3], v30, v[2:3]
; %bb.6575:                             ;   in Loop: Header=BB2_5898 Depth=3
	s_andn2_saveexec_b64 s[40:41], s[40:41]
; %bb.6576:                             ;   in Loop: Header=BB2_5898 Depth=3
	v_bfe_u32 v4, v2, 23, 1
; %bb.6577:                             ;   in Loop: Header=BB2_5898 Depth=3
	s_or_b64 exec, exec, s[40:41]
	v_lshrrev_b64 v[2:3], 21, v[2:3]
	v_cmp_gt_i32_e32 vcc, 32, v4
	v_cndmask_b32_e32 v3, 0, v3, vcc
	v_cndmask_b32_e32 v2, 3, v2, vcc
	v_cmp_eq_u64_e64 s[40:41], 0, v[2:3]
	v_min_i32_e32 v3, 31, v4
	v_lshlrev_b32_e32 v3, 2, v3
	v_cmp_eq_u32_e32 vcc, 0, v4
	v_and_b32_e32 v3, 0xfc, v3
	v_and_or_b32 v2, v2, 3, v3
	s_and_b64 s[40:41], vcc, s[40:41]
	v_cndmask_b32_e64 v2, v2, 0, s[40:41]
	v_or_b32_e32 v30, v2, v5
.LBB2_6578:                             ;   in Loop: Header=BB2_5898 Depth=3
	s_or_b64 exec, exec, s[48:49]
                                        ; implicit-def: $vgpr5
.LBB2_6579:                             ;   in Loop: Header=BB2_5898 Depth=3
	s_andn2_saveexec_b64 s[40:41], s[38:39]
; %bb.6580:                             ;   in Loop: Header=BB2_5898 Depth=3
	v_or_b32_e32 v30, 0x7b, v5
; %bb.6581:                             ;   in Loop: Header=BB2_5898 Depth=3
	s_or_b64 exec, exec, s[40:41]
                                        ; implicit-def: $vgpr4
                                        ; implicit-def: $vgpr2_vgpr3
.LBB2_6582:                             ;   in Loop: Header=BB2_5898 Depth=3
	s_andn2_saveexec_b64 s[40:41], s[42:43]
	s_cbranch_execz .LBB2_6588
; %bb.6583:                             ;   in Loop: Header=BB2_5898 Depth=3
	v_cmp_ne_u64_e32 vcc, 0, v[2:3]
                                        ; implicit-def: $vgpr30
	s_and_saveexec_b64 s[42:43], vcc
	s_xor_b64 s[42:43], exec, s[42:43]
; %bb.6584:                             ;   in Loop: Header=BB2_5898 Depth=3
	v_or_b32_sdwa v30, v4, s47 dst_sel:DWORD dst_unused:UNUSED_PAD src0_sel:BYTE_3 src1_sel:DWORD
                                        ; implicit-def: $vgpr4
; %bb.6585:                             ;   in Loop: Header=BB2_5898 Depth=3
	s_andn2_saveexec_b64 s[42:43], s[42:43]
; %bb.6586:                             ;   in Loop: Header=BB2_5898 Depth=3
	v_cmp_lt_i32_e32 vcc, -1, v4
	v_cndmask_b32_e32 v30, v6, v22, vcc
; %bb.6587:                             ;   in Loop: Header=BB2_5898 Depth=3
	s_or_b64 exec, exec, s[42:43]
.LBB2_6588:                             ;   in Loop: Header=BB2_5898 Depth=3
	s_or_b64 exec, exec, s[40:41]
	v_cmp_lt_u32_e32 vcc, s57, v28
	v_mov_b32_e32 v3, 0
	s_and_saveexec_b64 s[40:41], vcc
	s_cbranch_execz .LBB2_6596
; %bb.6589:                             ;   in Loop: Header=BB2_5898 Depth=3
	v_lshrrev_b32_e32 v2, 24, v28
	v_cmp_ne_u32_e32 vcc, s96, v2
	v_bfrev_b32_e32 v3, 1
	s_and_saveexec_b64 s[42:43], vcc
	s_cbranch_execz .LBB2_6595
; %bb.6590:                             ;   in Loop: Header=BB2_5898 Depth=3
	v_and_b32_e32 v3, 0x7c000000, v28
	v_bfe_u32 v4, v28, 24, 2
	v_cmp_ne_u32_e32 vcc, s45, v3
                                        ; implicit-def: $vgpr3
	s_and_saveexec_b64 s[38:39], vcc
	s_xor_b64 s[38:39], exec, s[38:39]
	s_cbranch_execz .LBB2_6592
; %bb.6591:                             ;   in Loop: Header=BB2_5898 Depth=3
	v_ffbh_u32_e32 v3, v4
	v_min_u32_e32 v31, 32, v3
	v_subrev_u32_e32 v3, 29, v31
	v_lshlrev_b64 v[2:3], v3, v[2:3]
	v_bfe_u32 v5, v28, 26, 5
	v_sub_u32_e32 v3, 30, v31
	v_and_b32_e32 v2, 3, v2
	v_cmp_eq_u32_e32 vcc, 0, v5
	v_cndmask_b32_e32 v3, v5, v3, vcc
	v_cndmask_b32_e32 v2, v4, v2, vcc
	v_and_b32_e32 v4, 0x80000000, v28
	v_lshl_add_u32 v3, v3, 23, v4
	v_lshl_or_b32 v2, v2, 21, v3
	v_add_u32_e32 v3, 0x38000000, v2
                                        ; implicit-def: $vgpr4
.LBB2_6592:                             ;   in Loop: Header=BB2_5898 Depth=3
	s_andn2_saveexec_b64 s[38:39], s[38:39]
; %bb.6593:                             ;   in Loop: Header=BB2_5898 Depth=3
	v_cmp_lt_i32_e32 vcc, -1, v28
	v_cndmask_b32_e32 v2, v7, v0, vcc
	v_cmp_eq_u32_e32 vcc, 0, v4
	v_cndmask_b32_e32 v3, v35, v2, vcc
; %bb.6594:                             ;   in Loop: Header=BB2_5898 Depth=3
	s_or_b64 exec, exec, s[38:39]
.LBB2_6595:                             ;   in Loop: Header=BB2_5898 Depth=3
	s_or_b64 exec, exec, s[42:43]
.LBB2_6596:                             ;   in Loop: Header=BB2_5898 Depth=3
	s_or_b64 exec, exec, s[40:41]
	v_bfe_u32 v28, v9, 24, 2
	v_and_b32_e32 v4, 0x7c000000, v9
	v_cmp_eq_u32_e32 vcc, s45, v4
	v_ffbh_u32_e32 v4, v28
	v_min_u32_e32 v38, 32, v4
	v_lshrrev_b32_e32 v2, 24, v9
	v_subrev_u32_e32 v4, 29, v38
	v_bfe_u32 v31, v9, 26, 5
	v_lshlrev_b64 v[4:5], v4, v[2:3]
	v_cmp_eq_u32_e64 s[40:41], 0, v31
	v_sub_u32_e32 v5, 30, v38
	v_and_b32_e32 v4, 3, v4
	v_cndmask_b32_e64 v5, v31, v5, s[40:41]
	v_and_b32_e32 v31, 0x80000000, v9
	v_cmp_lt_i64_e64 s[42:43], -1, v[8:9]
	v_cndmask_b32_e64 v4, v28, v4, s[40:41]
	v_lshl_add_u32 v5, v5, 23, v31
	v_lshl_or_b32 v4, v4, 21, v5
	v_cmp_eq_u32_e64 s[40:41], 0, v28
	v_cndmask_b32_e64 v5, v7, v0, s[42:43]
	v_add_u32_e32 v4, 0x38000000, v4
	v_cndmask_b32_e64 v5, v35, v5, s[40:41]
	v_cndmask_b32_e32 v4, v4, v5, vcc
	v_cmp_ne_u32_e32 vcc, s96, v2
	v_bfrev_b32_e32 v2, 1
	v_cndmask_b32_e32 v2, v2, v4, vcc
	v_cmp_lt_u64_e32 vcc, s[56:57], v[8:9]
	v_mov_b32_e32 v4, v29
	v_cndmask_b32_e32 v2, 0, v2, vcc
	v_add_f32_e32 v2, v2, v3
	v_and_b32_e32 v3, 0x7f800000, v2
	v_cmp_ne_u64_e32 vcc, s[76:77], v[3:4]
	v_and_b32_e32 v28, 0x7fffff, v2
                                        ; implicit-def: $vgpr31
	s_and_saveexec_b64 s[40:41], vcc
	s_xor_b64 s[42:43], exec, s[40:41]
	s_cbranch_execz .LBB2_6610
; %bb.6597:                             ;   in Loop: Header=BB2_5898 Depth=3
	v_and_b32_e32 v3, 0x7fffffff, v2
	v_mov_b32_e32 v4, v29
	v_cmp_gt_u64_e32 vcc, s[78:79], v[3:4]
	v_and_b32_sdwa v5, v2, s96 dst_sel:DWORD dst_unused:UNUSED_PAD src0_sel:BYTE_3 src1_sel:DWORD
                                        ; implicit-def: $vgpr31
	s_and_saveexec_b64 s[40:41], vcc
	s_xor_b64 s[38:39], exec, s[40:41]
	s_cbranch_execz .LBB2_6607
; %bb.6598:                             ;   in Loop: Header=BB2_5898 Depth=3
	v_mov_b32_e32 v31, 0
	v_cmp_ne_u32_e32 vcc, 0, v2
	s_and_saveexec_b64 s[48:49], vcc
	s_cbranch_execz .LBB2_6606
; %bb.6599:                             ;   in Loop: Header=BB2_5898 Depth=3
	v_bfe_u32 v8, v2, 23, 8
	v_cmp_gt_u32_e64 s[40:41], s46, v8
	v_sub_u32_e32 v2, 0x71, v8
	v_cmp_eq_u32_e32 vcc, 0, v8
	v_cndmask_b32_e64 v2, 0, v2, s[40:41]
	v_mov_b32_e32 v4, 0x70
	v_cndmask_b32_e32 v9, v2, v4, vcc
	v_add_u32_e32 v4, 21, v9
	v_or_b32_e32 v3, 0x800000, v28
	v_lshlrev_b64 v[38:39], v4, -1
	v_cndmask_b32_e32 v2, v3, v28, vcc
	v_mov_b32_e32 v3, v29
	v_add_u32_e32 v4, 20, v9
	v_bfi_b32 v38, v38, 0, v2
	v_lshlrev_b64 v[40:41], v4, 1
	v_lshrrev_b64 v[2:3], v9, v[2:3]
	v_bfi_b32 v39, v39, 0, 0
	v_cmp_eq_u64_e64 s[40:41], v[38:39], v[40:41]
	v_mov_b32_e32 v4, v3
	v_mov_b32_e32 v3, v2
	s_and_saveexec_b64 s[50:51], s[40:41]
; %bb.6600:                             ;   in Loop: Header=BB2_5898 Depth=3
	v_bfe_u32 v3, v2, 21, 1
	v_add_co_u32_e64 v3, s[40:41], v2, v3
	v_add_co_u32_e64 v3, s[40:41], -1, v3
; %bb.6601:                             ;   in Loop: Header=BB2_5898 Depth=3
	s_or_b64 exec, exec, s[50:51]
	v_add_u32_e32 v4, 0xffffff81, v8
	v_cndmask_b32_e32 v4, v4, v1, vcc
	v_lshrrev_b32_e32 v8, 23, v2
	v_add3_u32 v9, v9, v4, v8
	v_add_u32_e32 v8, 14, v9
	v_and_b32_e32 v3, 0x1fffff, v3
	v_add_u32_e32 v28, v3, v2
	v_cmp_ne_u32_e32 vcc, 0, v8
                                        ; implicit-def: $vgpr2_vgpr3
                                        ; implicit-def: $vgpr4
	s_and_saveexec_b64 s[40:41], vcc
	s_xor_b64 s[40:41], exec, s[40:41]
; %bb.6602:                             ;   in Loop: Header=BB2_5898 Depth=3
	v_cmp_lt_u64_e32 vcc, s[88:89], v[28:29]
	v_add_u32_e32 v2, 15, v9
	v_cndmask_b32_e32 v4, v8, v2, vcc
	v_cndmask_b32_e64 v2, 0, 1, vcc
	v_lshrrev_b64 v[2:3], v2, v[28:29]
; %bb.6603:                             ;   in Loop: Header=BB2_5898 Depth=3
	s_andn2_saveexec_b64 s[40:41], s[40:41]
; %bb.6604:                             ;   in Loop: Header=BB2_5898 Depth=3
	v_mov_b32_e32 v2, v28
	v_mov_b32_e32 v3, v29
	v_bfe_u32 v4, v28, 23, 1
; %bb.6605:                             ;   in Loop: Header=BB2_5898 Depth=3
	s_or_b64 exec, exec, s[40:41]
	v_lshrrev_b64 v[2:3], 21, v[2:3]
	v_cmp_gt_i32_e32 vcc, 32, v4
	v_cndmask_b32_e32 v3, 0, v3, vcc
	v_cndmask_b32_e32 v2, 3, v2, vcc
	v_cmp_eq_u64_e64 s[40:41], 0, v[2:3]
	v_min_i32_e32 v3, 31, v4
	v_lshlrev_b32_e32 v3, 2, v3
	v_cmp_eq_u32_e32 vcc, 0, v4
	v_and_b32_e32 v3, 0xfc, v3
	v_and_or_b32 v2, v2, 3, v3
	s_and_b64 s[40:41], vcc, s[40:41]
	v_cndmask_b32_e64 v2, v2, 0, s[40:41]
	v_or_b32_e32 v31, v2, v5
.LBB2_6606:                             ;   in Loop: Header=BB2_5898 Depth=3
	s_or_b64 exec, exec, s[48:49]
                                        ; implicit-def: $vgpr5
.LBB2_6607:                             ;   in Loop: Header=BB2_5898 Depth=3
	s_andn2_saveexec_b64 s[40:41], s[38:39]
; %bb.6608:                             ;   in Loop: Header=BB2_5898 Depth=3
	v_or_b32_e32 v31, 0x7b, v5
; %bb.6609:                             ;   in Loop: Header=BB2_5898 Depth=3
	s_or_b64 exec, exec, s[40:41]
                                        ; implicit-def: $vgpr2
.LBB2_6610:                             ;   in Loop: Header=BB2_5898 Depth=3
	s_andn2_saveexec_b64 s[40:41], s[42:43]
	s_cbranch_execz .LBB2_6616
; %bb.6611:                             ;   in Loop: Header=BB2_5898 Depth=3
	v_cmp_ne_u64_e32 vcc, 0, v[28:29]
                                        ; implicit-def: $vgpr31
	s_and_saveexec_b64 s[42:43], vcc
	s_xor_b64 s[42:43], exec, s[42:43]
; %bb.6612:                             ;   in Loop: Header=BB2_5898 Depth=3
	v_or_b32_sdwa v31, v2, s47 dst_sel:DWORD dst_unused:UNUSED_PAD src0_sel:BYTE_3 src1_sel:DWORD
                                        ; implicit-def: $vgpr2
; %bb.6613:                             ;   in Loop: Header=BB2_5898 Depth=3
	s_andn2_saveexec_b64 s[42:43], s[42:43]
; %bb.6614:                             ;   in Loop: Header=BB2_5898 Depth=3
	v_cmp_lt_i32_e32 vcc, -1, v2
	v_cndmask_b32_e32 v31, v6, v22, vcc
; %bb.6615:                             ;   in Loop: Header=BB2_5898 Depth=3
	s_or_b64 exec, exec, s[42:43]
.LBB2_6616:                             ;   in Loop: Header=BB2_5898 Depth=3
	s_or_b64 exec, exec, s[40:41]
	v_lshl_or_b32 v5, v59, 8, v52
	v_lshlrev_b32_e32 v2, 16, v17
	v_lshlrev_b32_e32 v3, 24, v18
	v_or3_b32 v28, v2, v3, v5
	v_cmp_ne_u32_e32 vcc, 0, v52
	v_mov_b32_e32 v2, 0
	s_and_saveexec_b64 s[42:43], vcc
	s_cbranch_execz .LBB2_6624
; %bb.6617:                             ;   in Loop: Header=BB2_5898 Depth=3
	v_cmp_ne_u32_e32 vcc, s96, v52
	v_bfrev_b32_e32 v2, 1
	s_and_saveexec_b64 s[38:39], vcc
	s_cbranch_execz .LBB2_6623
; %bb.6618:                             ;   in Loop: Header=BB2_5898 Depth=3
	v_and_b32_e32 v2, 0x7c, v52
	v_and_b32_e32 v3, 3, v52
	v_cmp_ne_u32_e32 vcc, s85, v2
                                        ; implicit-def: $vgpr2
	s_and_saveexec_b64 s[40:41], vcc
	s_xor_b64 s[40:41], exec, s[40:41]
	s_cbranch_execz .LBB2_6620
; %bb.6619:                             ;   in Loop: Header=BB2_5898 Depth=3
	v_ffbh_u32_e32 v4, v3
	v_min_u32_e32 v4, 32, v4
	v_bfe_u32 v2, v52, 2, 5
	v_subrev_u32_e32 v8, 29, v4
	v_lshlrev_b64 v[8:9], v8, v[28:29]
	v_sub_u32_e32 v4, 30, v4
	v_cmp_eq_u32_e32 vcc, 0, v2
	v_cndmask_b32_e32 v2, v2, v4, vcc
	v_lshlrev_b32_e32 v4, 24, v52
	v_and_b32_e32 v8, 3, v8
	v_and_b32_e32 v4, 0x80000000, v4
	v_cndmask_b32_e32 v3, v3, v8, vcc
	v_lshl_add_u32 v2, v2, 23, v4
	v_lshl_or_b32 v2, v3, 21, v2
	v_add_u32_e32 v2, 0x38000000, v2
                                        ; implicit-def: $vgpr3
                                        ; implicit-def: $vgpr52
.LBB2_6620:                             ;   in Loop: Header=BB2_5898 Depth=3
	s_andn2_saveexec_b64 s[48:49], s[40:41]
; %bb.6621:                             ;   in Loop: Header=BB2_5898 Depth=3
	v_and_b32_e32 v2, 0x80, v52
	v_cmp_eq_u32_e64 s[40:41], 0, v2
	v_cmp_eq_u32_e32 vcc, 0, v3
	v_cndmask_b32_e64 v2, v7, v0, s[40:41]
	v_cndmask_b32_e32 v2, v35, v2, vcc
; %bb.6622:                             ;   in Loop: Header=BB2_5898 Depth=3
	s_or_b64 exec, exec, s[48:49]
.LBB2_6623:                             ;   in Loop: Header=BB2_5898 Depth=3
	s_or_b64 exec, exec, s[38:39]
.LBB2_6624:                             ;   in Loop: Header=BB2_5898 Depth=3
	s_or_b64 exec, exec, s[42:43]
	v_cmp_gt_i16_sdwa s[42:43], v10, s47 src0_sel:BYTE_0 src1_sel:DWORD
	s_mov_b64 s[40:41], 0
	s_and_saveexec_b64 vcc, s[42:43]
	s_xor_b64 s[42:43], exec, vcc
	s_cbranch_execz .LBB2_6891
; %bb.6625:                             ;   in Loop: Header=BB2_5898 Depth=3
	v_cmp_eq_u16_sdwa s[38:39], v10, s96 src0_sel:BYTE_0 src1_sel:DWORD
	s_mov_b64 s[40:41], -1
	s_and_saveexec_b64 vcc, s[38:39]
; %bb.6626:                             ;   in Loop: Header=BB2_5898 Depth=3
	s_xor_b64 s[40:41], exec, -1
; %bb.6627:                             ;   in Loop: Header=BB2_5898 Depth=3
	s_or_b64 exec, exec, vcc
	s_and_b64 s[40:41], s[40:41], exec
	s_or_saveexec_b64 s[42:43], s[42:43]
	v_bfrev_b32_e32 v3, 1
	s_xor_b64 exec, exec, s[42:43]
	s_cbranch_execnz .LBB2_6892
.LBB2_6628:                             ;   in Loop: Header=BB2_5898 Depth=3
	s_or_b64 exec, exec, s[42:43]
	s_and_saveexec_b64 s[38:39], s[40:41]
	s_cbranch_execz .LBB2_6630
.LBB2_6629:                             ;   in Loop: Header=BB2_5898 Depth=3
	v_and_b32_e32 v8, 3, v10
	v_and_b32_e32 v3, 0x7c, v10
	v_cmp_eq_u32_e32 vcc, s85, v3
	v_ffbh_u32_e32 v3, v8
	v_min_u32_e32 v17, 32, v3
	v_subrev_u32_e32 v3, 29, v17
	v_bfe_u32 v9, v10, 2, 5
	v_lshlrev_b64 v[3:4], v3, v[10:11]
	v_cmp_eq_u32_e64 s[40:41], 0, v9
	v_sub_u32_e32 v4, 30, v17
	v_cndmask_b32_e64 v4, v9, v4, s[40:41]
	v_lshlrev_b32_e32 v9, 24, v10
	v_and_b32_e32 v3, 3, v3
	v_and_b32_e32 v9, 0x80000000, v9
	v_cndmask_b32_e64 v3, v8, v3, s[40:41]
	v_lshl_add_u32 v4, v4, 23, v9
	v_cmp_gt_i16_sdwa s[42:43], sext(v10), v48 src0_sel:BYTE_0 src1_sel:DWORD
	v_lshl_or_b32 v3, v3, 21, v4
	v_cmp_eq_u32_e64 s[40:41], 0, v8
	v_cndmask_b32_e64 v4, v7, v0, s[42:43]
	v_add_u32_e32 v3, 0x38000000, v3
	v_cndmask_b32_e64 v4, v35, v4, s[40:41]
	v_cndmask_b32_e32 v3, v3, v4, vcc
.LBB2_6630:                             ;   in Loop: Header=BB2_5898 Depth=3
	s_or_b64 exec, exec, s[38:39]
	v_add_f32_e32 v4, v2, v3
	v_and_b32_e32 v8, 0x7f800000, v4
	v_mov_b32_e32 v9, v29
	v_cmp_ne_u64_e32 vcc, s[76:77], v[8:9]
	v_and_b32_e32 v2, 0x7fffff, v4
	v_mov_b32_e32 v3, v29
                                        ; implicit-def: $vgpr17
	s_and_saveexec_b64 s[40:41], vcc
	s_xor_b64 s[42:43], exec, s[40:41]
	s_cbranch_execz .LBB2_6644
; %bb.6631:                             ;   in Loop: Header=BB2_5898 Depth=3
	v_and_b32_e32 v8, 0x7fffffff, v4
	v_mov_b32_e32 v9, v29
	v_cmp_gt_u64_e32 vcc, s[78:79], v[8:9]
	v_and_b32_sdwa v8, v4, s96 dst_sel:DWORD dst_unused:UNUSED_PAD src0_sel:BYTE_3 src1_sel:DWORD
                                        ; implicit-def: $vgpr17
	s_and_saveexec_b64 s[40:41], vcc
	s_xor_b64 s[38:39], exec, s[40:41]
	s_cbranch_execz .LBB2_6641
; %bb.6632:                             ;   in Loop: Header=BB2_5898 Depth=3
	v_mov_b32_e32 v17, 0
	v_cmp_ne_u32_e32 vcc, 0, v4
	s_and_saveexec_b64 s[48:49], vcc
	s_cbranch_execz .LBB2_6640
; %bb.6633:                             ;   in Loop: Header=BB2_5898 Depth=3
	v_bfe_u32 v9, v4, 23, 8
	v_cmp_gt_u32_e64 s[40:41], s46, v9
	v_sub_u32_e32 v4, 0x71, v9
	v_cmp_eq_u32_e32 vcc, 0, v9
	v_cndmask_b32_e64 v4, 0, v4, s[40:41]
	v_mov_b32_e32 v17, 0x70
	v_cndmask_b32_e32 v17, v4, v17, vcc
	v_add_u32_e32 v4, 21, v17
	v_or_b32_e32 v18, 0x800000, v2
	v_lshlrev_b64 v[38:39], v4, -1
	v_cndmask_b32_e32 v2, v18, v2, vcc
	v_add_u32_e32 v4, 20, v17
	v_bfi_b32 v38, v38, 0, v2
	v_lshlrev_b64 v[40:41], v4, 1
	v_lshrrev_b64 v[2:3], v17, v[2:3]
	v_bfi_b32 v39, v39, 0, 0
	v_cmp_eq_u64_e64 s[40:41], v[38:39], v[40:41]
	v_mov_b32_e32 v4, v3
	v_mov_b32_e32 v3, v2
	s_and_saveexec_b64 s[50:51], s[40:41]
; %bb.6634:                             ;   in Loop: Header=BB2_5898 Depth=3
	v_bfe_u32 v3, v2, 21, 1
	v_add_co_u32_e64 v3, s[40:41], v2, v3
	v_add_co_u32_e64 v3, s[40:41], -1, v3
; %bb.6635:                             ;   in Loop: Header=BB2_5898 Depth=3
	s_or_b64 exec, exec, s[50:51]
	v_add_u32_e32 v4, 0xffffff81, v9
	v_cndmask_b32_e32 v4, v4, v1, vcc
	v_lshrrev_b32_e32 v9, 23, v2
	v_add3_u32 v17, v17, v4, v9
	v_add_u32_e32 v9, 14, v17
	v_and_b32_e32 v3, 0x1fffff, v3
	v_add_u32_e32 v2, v3, v2
	v_mov_b32_e32 v3, v29
	v_cmp_ne_u32_e32 vcc, 0, v9
                                        ; implicit-def: $vgpr4
	s_and_saveexec_b64 s[40:41], vcc
	s_xor_b64 s[40:41], exec, s[40:41]
; %bb.6636:                             ;   in Loop: Header=BB2_5898 Depth=3
	v_cmp_lt_u64_e32 vcc, s[88:89], v[2:3]
	v_add_u32_e32 v4, 15, v17
	v_cndmask_b32_e32 v4, v9, v4, vcc
	v_cndmask_b32_e64 v9, 0, 1, vcc
	v_lshrrev_b64 v[2:3], v9, v[2:3]
; %bb.6637:                             ;   in Loop: Header=BB2_5898 Depth=3
	s_andn2_saveexec_b64 s[40:41], s[40:41]
; %bb.6638:                             ;   in Loop: Header=BB2_5898 Depth=3
	v_bfe_u32 v4, v2, 23, 1
; %bb.6639:                             ;   in Loop: Header=BB2_5898 Depth=3
	s_or_b64 exec, exec, s[40:41]
	v_lshrrev_b64 v[2:3], 21, v[2:3]
	v_cmp_gt_i32_e32 vcc, 32, v4
	v_cndmask_b32_e32 v3, 0, v3, vcc
	v_cndmask_b32_e32 v2, 3, v2, vcc
	v_cmp_eq_u64_e64 s[40:41], 0, v[2:3]
	v_min_i32_e32 v3, 31, v4
	v_lshlrev_b32_e32 v3, 2, v3
	v_cmp_eq_u32_e32 vcc, 0, v4
	v_and_b32_e32 v3, 0xfc, v3
	v_and_or_b32 v2, v2, 3, v3
	s_and_b64 s[40:41], vcc, s[40:41]
	v_cndmask_b32_e64 v2, v2, 0, s[40:41]
	v_or_b32_e32 v17, v2, v8
.LBB2_6640:                             ;   in Loop: Header=BB2_5898 Depth=3
	s_or_b64 exec, exec, s[48:49]
                                        ; implicit-def: $vgpr8
.LBB2_6641:                             ;   in Loop: Header=BB2_5898 Depth=3
	s_andn2_saveexec_b64 s[40:41], s[38:39]
; %bb.6642:                             ;   in Loop: Header=BB2_5898 Depth=3
	v_or_b32_e32 v17, 0x7b, v8
; %bb.6643:                             ;   in Loop: Header=BB2_5898 Depth=3
	s_or_b64 exec, exec, s[40:41]
                                        ; implicit-def: $vgpr4
                                        ; implicit-def: $vgpr2_vgpr3
.LBB2_6644:                             ;   in Loop: Header=BB2_5898 Depth=3
	s_andn2_saveexec_b64 s[40:41], s[42:43]
	s_cbranch_execz .LBB2_6650
; %bb.6645:                             ;   in Loop: Header=BB2_5898 Depth=3
	v_cmp_ne_u64_e32 vcc, 0, v[2:3]
                                        ; implicit-def: $vgpr17
	s_and_saveexec_b64 s[42:43], vcc
	s_xor_b64 s[42:43], exec, s[42:43]
; %bb.6646:                             ;   in Loop: Header=BB2_5898 Depth=3
	v_or_b32_sdwa v17, v4, s47 dst_sel:DWORD dst_unused:UNUSED_PAD src0_sel:BYTE_3 src1_sel:DWORD
                                        ; implicit-def: $vgpr4
; %bb.6647:                             ;   in Loop: Header=BB2_5898 Depth=3
	s_andn2_saveexec_b64 s[42:43], s[42:43]
; %bb.6648:                             ;   in Loop: Header=BB2_5898 Depth=3
	v_cmp_lt_i32_e32 vcc, -1, v4
	v_cndmask_b32_e32 v17, v6, v22, vcc
; %bb.6649:                             ;   in Loop: Header=BB2_5898 Depth=3
	s_or_b64 exec, exec, s[42:43]
.LBB2_6650:                             ;   in Loop: Header=BB2_5898 Depth=3
	s_or_b64 exec, exec, s[40:41]
	v_lshrrev_b16_e32 v2, 8, v5
	v_cmp_ne_u16_e32 vcc, 0, v2
	v_mov_b32_e32 v4, 0
	s_and_saveexec_b64 s[40:41], vcc
	s_cbranch_execz .LBB2_6658
; %bb.6651:                             ;   in Loop: Header=BB2_5898 Depth=3
	v_cmp_ne_u16_e32 vcc, s96, v2
	v_bfrev_b32_e32 v4, 1
	s_and_saveexec_b64 s[42:43], vcc
	s_cbranch_execz .LBB2_6657
; %bb.6652:                             ;   in Loop: Header=BB2_5898 Depth=3
	v_and_b32_e32 v3, 0x7c, v2
	v_and_b32_e32 v8, 3, v2
	v_cmp_ne_u32_e32 vcc, s85, v3
                                        ; implicit-def: $vgpr4
	s_and_saveexec_b64 s[38:39], vcc
	s_xor_b64 s[38:39], exec, s[38:39]
	s_cbranch_execz .LBB2_6654
; %bb.6653:                             ;   in Loop: Header=BB2_5898 Depth=3
	v_ffbh_u32_e32 v9, v8
	v_min_u32_e32 v9, 32, v9
	v_mov_b32_e32 v3, v29
	v_subrev_u32_e32 v18, 29, v9
	v_bfe_u32 v4, v2, 2, 5
	v_lshlrev_b64 v[2:3], v18, v[2:3]
	v_sub_u32_e32 v3, 30, v9
	v_cmp_eq_u32_e32 vcc, 0, v4
	v_cndmask_b32_e32 v3, v4, v3, vcc
	v_lshlrev_b32_e32 v4, 16, v5
	v_and_b32_e32 v2, 3, v2
	v_and_b32_e32 v4, 0x80000000, v4
	v_cndmask_b32_e32 v2, v8, v2, vcc
	v_lshl_add_u32 v3, v3, 23, v4
	v_lshl_or_b32 v2, v2, 21, v3
	v_add_u32_e32 v4, 0x38000000, v2
                                        ; implicit-def: $vgpr8
                                        ; implicit-def: $vgpr5
.LBB2_6654:                             ;   in Loop: Header=BB2_5898 Depth=3
	s_andn2_saveexec_b64 s[38:39], s[38:39]
; %bb.6655:                             ;   in Loop: Header=BB2_5898 Depth=3
	v_cmp_lt_i16_e32 vcc, -1, v5
	v_cndmask_b32_e32 v2, v7, v0, vcc
	v_cmp_eq_u32_e32 vcc, 0, v8
	v_cndmask_b32_e32 v4, v35, v2, vcc
; %bb.6656:                             ;   in Loop: Header=BB2_5898 Depth=3
	s_or_b64 exec, exec, s[38:39]
.LBB2_6657:                             ;   in Loop: Header=BB2_5898 Depth=3
	s_or_b64 exec, exec, s[42:43]
.LBB2_6658:                             ;   in Loop: Header=BB2_5898 Depth=3
	s_or_b64 exec, exec, s[40:41]
	v_lshrrev_b16_e32 v2, 8, v10
	v_cmp_lt_i16_e32 vcc, s47, v2
	s_mov_b64 s[40:41], 0
	s_and_saveexec_b64 s[42:43], vcc
	s_xor_b64 s[42:43], exec, s[42:43]
	s_cbranch_execz .LBB2_6893
; %bb.6659:                             ;   in Loop: Header=BB2_5898 Depth=3
	v_cmp_eq_u16_e32 vcc, s96, v2
	s_mov_b64 s[40:41], -1
	s_and_saveexec_b64 s[38:39], vcc
; %bb.6660:                             ;   in Loop: Header=BB2_5898 Depth=3
	s_xor_b64 s[40:41], exec, -1
; %bb.6661:                             ;   in Loop: Header=BB2_5898 Depth=3
	s_or_b64 exec, exec, s[38:39]
	s_and_b64 s[40:41], s[40:41], exec
	s_or_saveexec_b64 s[42:43], s[42:43]
	v_bfrev_b32_e32 v3, 1
	s_xor_b64 exec, exec, s[42:43]
	s_cbranch_execnz .LBB2_6894
.LBB2_6662:                             ;   in Loop: Header=BB2_5898 Depth=3
	s_or_b64 exec, exec, s[42:43]
	s_and_saveexec_b64 s[38:39], s[40:41]
	s_cbranch_execz .LBB2_6664
.LBB2_6663:                             ;   in Loop: Header=BB2_5898 Depth=3
	v_and_b32_e32 v5, 3, v2
	v_and_b32_e32 v8, 0x7c, v2
	v_cmp_eq_u32_e32 vcc, s85, v8
	v_ffbh_u32_e32 v8, v5
	v_min_u32_e32 v38, 32, v8
	v_mov_b32_e32 v3, v29
	v_subrev_u32_e32 v8, 29, v38
	v_bfe_u32 v18, v2, 2, 5
	v_lshlrev_b64 v[8:9], v8, v[2:3]
	v_cmp_eq_u32_e64 s[40:41], 0, v18
	v_sub_u32_e32 v3, 30, v38
	v_lshlrev_b32_e32 v2, 24, v2
	v_and_b32_e32 v8, 3, v8
	v_cndmask_b32_e64 v3, v18, v3, s[40:41]
	v_and_b32_e32 v2, 0x80000000, v2
	v_cndmask_b32_e64 v8, v5, v8, s[40:41]
	v_lshl_add_u32 v2, v3, 23, v2
	v_cmp_lt_i16_e64 s[42:43], -1, v10
	v_lshl_or_b32 v2, v8, 21, v2
	v_cmp_eq_u32_e64 s[40:41], 0, v5
	v_cndmask_b32_e64 v3, v7, v0, s[42:43]
	v_add_u32_e32 v2, 0x38000000, v2
	v_cndmask_b32_e64 v3, v35, v3, s[40:41]
	v_cndmask_b32_e32 v3, v2, v3, vcc
.LBB2_6664:                             ;   in Loop: Header=BB2_5898 Depth=3
	s_or_b64 exec, exec, s[38:39]
	v_add_f32_e32 v4, v4, v3
	v_and_b32_e32 v8, 0x7f800000, v4
	v_mov_b32_e32 v9, v29
	v_cmp_ne_u64_e32 vcc, s[76:77], v[8:9]
	v_and_b32_e32 v2, 0x7fffff, v4
	v_mov_b32_e32 v3, v29
                                        ; implicit-def: $vgpr18
	s_and_saveexec_b64 s[40:41], vcc
	s_xor_b64 s[42:43], exec, s[40:41]
	s_cbranch_execz .LBB2_6678
; %bb.6665:                             ;   in Loop: Header=BB2_5898 Depth=3
	v_and_b32_e32 v8, 0x7fffffff, v4
	v_mov_b32_e32 v9, v29
	v_cmp_gt_u64_e32 vcc, s[78:79], v[8:9]
	v_and_b32_sdwa v5, v4, s96 dst_sel:DWORD dst_unused:UNUSED_PAD src0_sel:BYTE_3 src1_sel:DWORD
                                        ; implicit-def: $vgpr18
	s_and_saveexec_b64 s[40:41], vcc
	s_xor_b64 s[38:39], exec, s[40:41]
	s_cbranch_execz .LBB2_6675
; %bb.6666:                             ;   in Loop: Header=BB2_5898 Depth=3
	v_mov_b32_e32 v18, 0
	v_cmp_ne_u32_e32 vcc, 0, v4
	s_and_saveexec_b64 s[48:49], vcc
	s_cbranch_execz .LBB2_6674
; %bb.6667:                             ;   in Loop: Header=BB2_5898 Depth=3
	v_bfe_u32 v8, v4, 23, 8
	v_cmp_gt_u32_e64 s[40:41], s46, v8
	v_sub_u32_e32 v4, 0x71, v8
	v_cmp_eq_u32_e32 vcc, 0, v8
	v_cndmask_b32_e64 v4, 0, v4, s[40:41]
	v_mov_b32_e32 v9, 0x70
	v_cndmask_b32_e32 v9, v4, v9, vcc
	v_add_u32_e32 v4, 21, v9
	v_or_b32_e32 v18, 0x800000, v2
	v_lshlrev_b64 v[38:39], v4, -1
	v_cndmask_b32_e32 v2, v18, v2, vcc
	v_add_u32_e32 v4, 20, v9
	v_bfi_b32 v38, v38, 0, v2
	v_lshlrev_b64 v[40:41], v4, 1
	v_lshrrev_b64 v[2:3], v9, v[2:3]
	v_bfi_b32 v39, v39, 0, 0
	v_cmp_eq_u64_e64 s[40:41], v[38:39], v[40:41]
	v_mov_b32_e32 v4, v3
	v_mov_b32_e32 v3, v2
	s_and_saveexec_b64 s[50:51], s[40:41]
; %bb.6668:                             ;   in Loop: Header=BB2_5898 Depth=3
	v_bfe_u32 v3, v2, 21, 1
	v_add_co_u32_e64 v3, s[40:41], v2, v3
	v_add_co_u32_e64 v3, s[40:41], -1, v3
; %bb.6669:                             ;   in Loop: Header=BB2_5898 Depth=3
	s_or_b64 exec, exec, s[50:51]
	v_add_u32_e32 v4, 0xffffff81, v8
	v_cndmask_b32_e32 v4, v4, v1, vcc
	v_lshrrev_b32_e32 v8, 23, v2
	v_add3_u32 v9, v9, v4, v8
	v_add_u32_e32 v8, 14, v9
	v_and_b32_e32 v3, 0x1fffff, v3
	v_add_u32_e32 v2, v3, v2
	v_mov_b32_e32 v3, v29
	v_cmp_ne_u32_e32 vcc, 0, v8
                                        ; implicit-def: $vgpr4
	s_and_saveexec_b64 s[40:41], vcc
	s_xor_b64 s[40:41], exec, s[40:41]
; %bb.6670:                             ;   in Loop: Header=BB2_5898 Depth=3
	v_cmp_lt_u64_e32 vcc, s[88:89], v[2:3]
	v_add_u32_e32 v4, 15, v9
	v_cndmask_b32_e32 v4, v8, v4, vcc
	v_cndmask_b32_e64 v8, 0, 1, vcc
	v_lshrrev_b64 v[2:3], v8, v[2:3]
; %bb.6671:                             ;   in Loop: Header=BB2_5898 Depth=3
	s_andn2_saveexec_b64 s[40:41], s[40:41]
; %bb.6672:                             ;   in Loop: Header=BB2_5898 Depth=3
	v_bfe_u32 v4, v2, 23, 1
; %bb.6673:                             ;   in Loop: Header=BB2_5898 Depth=3
	s_or_b64 exec, exec, s[40:41]
	v_lshrrev_b64 v[2:3], 21, v[2:3]
	v_cmp_gt_i32_e32 vcc, 32, v4
	v_cndmask_b32_e32 v3, 0, v3, vcc
	v_cndmask_b32_e32 v2, 3, v2, vcc
	v_cmp_eq_u64_e64 s[40:41], 0, v[2:3]
	v_min_i32_e32 v3, 31, v4
	v_lshlrev_b32_e32 v3, 2, v3
	v_cmp_eq_u32_e32 vcc, 0, v4
	v_and_b32_e32 v3, 0xfc, v3
	v_and_or_b32 v2, v2, 3, v3
	s_and_b64 s[40:41], vcc, s[40:41]
	v_cndmask_b32_e64 v2, v2, 0, s[40:41]
	v_or_b32_e32 v18, v2, v5
.LBB2_6674:                             ;   in Loop: Header=BB2_5898 Depth=3
	s_or_b64 exec, exec, s[48:49]
                                        ; implicit-def: $vgpr5
.LBB2_6675:                             ;   in Loop: Header=BB2_5898 Depth=3
	s_andn2_saveexec_b64 s[40:41], s[38:39]
; %bb.6676:                             ;   in Loop: Header=BB2_5898 Depth=3
	v_or_b32_e32 v18, 0x7b, v5
; %bb.6677:                             ;   in Loop: Header=BB2_5898 Depth=3
	s_or_b64 exec, exec, s[40:41]
                                        ; implicit-def: $vgpr4
                                        ; implicit-def: $vgpr2_vgpr3
.LBB2_6678:                             ;   in Loop: Header=BB2_5898 Depth=3
	s_andn2_saveexec_b64 s[40:41], s[42:43]
	s_cbranch_execz .LBB2_6684
; %bb.6679:                             ;   in Loop: Header=BB2_5898 Depth=3
	v_cmp_ne_u64_e32 vcc, 0, v[2:3]
                                        ; implicit-def: $vgpr18
	s_and_saveexec_b64 s[42:43], vcc
	s_xor_b64 s[42:43], exec, s[42:43]
; %bb.6680:                             ;   in Loop: Header=BB2_5898 Depth=3
	v_or_b32_sdwa v18, v4, s47 dst_sel:DWORD dst_unused:UNUSED_PAD src0_sel:BYTE_3 src1_sel:DWORD
                                        ; implicit-def: $vgpr4
; %bb.6681:                             ;   in Loop: Header=BB2_5898 Depth=3
	s_andn2_saveexec_b64 s[42:43], s[42:43]
; %bb.6682:                             ;   in Loop: Header=BB2_5898 Depth=3
	v_cmp_lt_i32_e32 vcc, -1, v4
	v_cndmask_b32_e32 v18, v6, v22, vcc
; %bb.6683:                             ;   in Loop: Header=BB2_5898 Depth=3
	s_or_b64 exec, exec, s[42:43]
.LBB2_6684:                             ;   in Loop: Header=BB2_5898 Depth=3
	s_or_b64 exec, exec, s[40:41]
	v_and_b32_sdwa v4, v28, s87 dst_sel:DWORD dst_unused:UNUSED_PAD src0_sel:WORD_1 src1_sel:DWORD
	v_lshrrev_b32_e32 v2, 16, v28
	v_cmp_ne_u16_e32 vcc, 0, v4
	v_mov_b32_e32 v3, 0
	s_and_saveexec_b64 s[40:41], vcc
	s_cbranch_execz .LBB2_6692
; %bb.6685:                             ;   in Loop: Header=BB2_5898 Depth=3
	v_cmp_ne_u16_e32 vcc, s96, v4
	v_bfrev_b32_e32 v3, 1
	s_and_saveexec_b64 s[42:43], vcc
	s_cbranch_execz .LBB2_6691
; %bb.6686:                             ;   in Loop: Header=BB2_5898 Depth=3
	v_and_b32_e32 v3, 0x7c0000, v28
	v_bfe_u32 v4, v28, 16, 2
	v_cmp_ne_u32_e32 vcc, s44, v3
                                        ; implicit-def: $vgpr3
	s_and_saveexec_b64 s[38:39], vcc
	s_xor_b64 s[38:39], exec, s[38:39]
	s_cbranch_execz .LBB2_6688
; %bb.6687:                             ;   in Loop: Header=BB2_5898 Depth=3
	v_ffbh_u32_e32 v3, v4
	v_min_u32_e32 v8, 32, v3
	v_subrev_u32_e32 v3, 29, v8
	v_lshlrev_b64 v[2:3], v3, v[2:3]
	v_bfe_u32 v5, v28, 18, 5
	v_and_b32_e32 v2, 3, v2
	v_cmp_eq_u32_e32 vcc, 0, v5
	v_sub_u32_e32 v3, 30, v8
	v_cndmask_b32_e32 v2, v4, v2, vcc
	v_lshlrev_b32_e32 v4, 8, v28
	v_cndmask_b32_e32 v3, v5, v3, vcc
	v_and_b32_e32 v4, 0x80000000, v4
	v_lshl_add_u32 v3, v3, 23, v4
	v_lshl_or_b32 v2, v2, 21, v3
	v_add_u32_e32 v3, 0x38000000, v2
                                        ; implicit-def: $vgpr4
                                        ; implicit-def: $vgpr2
.LBB2_6688:                             ;   in Loop: Header=BB2_5898 Depth=3
	s_andn2_saveexec_b64 s[38:39], s[38:39]
; %bb.6689:                             ;   in Loop: Header=BB2_5898 Depth=3
	v_cmp_gt_i16_sdwa vcc, sext(v2), v48 src0_sel:BYTE_0 src1_sel:DWORD
	v_cndmask_b32_e32 v2, v7, v0, vcc
	v_cmp_eq_u32_e32 vcc, 0, v4
	v_cndmask_b32_e32 v3, v35, v2, vcc
; %bb.6690:                             ;   in Loop: Header=BB2_5898 Depth=3
	s_or_b64 exec, exec, s[38:39]
.LBB2_6691:                             ;   in Loop: Header=BB2_5898 Depth=3
	s_or_b64 exec, exec, s[42:43]
.LBB2_6692:                             ;   in Loop: Header=BB2_5898 Depth=3
	s_or_b64 exec, exec, s[40:41]
	v_lshrrev_b32_e32 v2, 16, v10
	v_cmp_gt_i16_sdwa s[42:43], v2, s47 src0_sel:BYTE_0 src1_sel:DWORD
	s_mov_b64 s[40:41], 0
	s_and_saveexec_b64 vcc, s[42:43]
	s_xor_b64 s[42:43], exec, vcc
	s_cbranch_execz .LBB2_6895
; %bb.6693:                             ;   in Loop: Header=BB2_5898 Depth=3
	v_cmp_eq_u16_sdwa s[38:39], v2, s96 src0_sel:BYTE_0 src1_sel:DWORD
	s_mov_b64 s[40:41], -1
	s_and_saveexec_b64 vcc, s[38:39]
; %bb.6694:                             ;   in Loop: Header=BB2_5898 Depth=3
	s_xor_b64 s[40:41], exec, -1
; %bb.6695:                             ;   in Loop: Header=BB2_5898 Depth=3
	s_or_b64 exec, exec, vcc
	s_and_b64 s[40:41], s[40:41], exec
	s_or_saveexec_b64 s[42:43], s[42:43]
	v_bfrev_b32_e32 v4, 1
	s_xor_b64 exec, exec, s[42:43]
	s_cbranch_execnz .LBB2_6896
.LBB2_6696:                             ;   in Loop: Header=BB2_5898 Depth=3
	s_or_b64 exec, exec, s[42:43]
	s_and_saveexec_b64 s[38:39], s[40:41]
	s_cbranch_execz .LBB2_6698
.LBB2_6697:                             ;   in Loop: Header=BB2_5898 Depth=3
	v_and_b32_e32 v8, 3, v2
	v_and_b32_e32 v4, 0x7c0000, v10
	v_cmp_eq_u32_e32 vcc, s44, v4
	v_ffbh_u32_e32 v4, v8
	v_min_u32_e32 v38, 32, v4
	v_subrev_u32_e32 v4, 29, v38
	v_bfe_u32 v9, v10, 18, 5
	v_lshlrev_b64 v[4:5], v4, v[2:3]
	v_cmp_eq_u32_e64 s[40:41], 0, v9
	v_sub_u32_e32 v5, 30, v38
	v_cndmask_b32_e64 v5, v9, v5, s[40:41]
	v_lshlrev_b32_e32 v9, 24, v2
	v_and_b32_e32 v4, 3, v4
	v_and_b32_e32 v9, 0x80000000, v9
	v_cndmask_b32_e64 v4, v8, v4, s[40:41]
	v_lshl_add_u32 v5, v5, 23, v9
	v_cmp_gt_i16_sdwa s[42:43], sext(v2), v48 src0_sel:BYTE_0 src1_sel:DWORD
	v_lshl_or_b32 v4, v4, 21, v5
	v_cmp_eq_u32_e64 s[40:41], 0, v8
	v_cndmask_b32_e64 v2, v7, v0, s[42:43]
	v_add_u32_e32 v4, 0x38000000, v4
	v_cndmask_b32_e64 v2, v35, v2, s[40:41]
	v_cndmask_b32_e32 v4, v4, v2, vcc
.LBB2_6698:                             ;   in Loop: Header=BB2_5898 Depth=3
	s_or_b64 exec, exec, s[38:39]
	v_add_f32_e32 v4, v3, v4
	v_and_b32_e32 v8, 0x7f800000, v4
	v_mov_b32_e32 v9, v29
	v_cmp_ne_u64_e32 vcc, s[76:77], v[8:9]
	v_and_b32_e32 v2, 0x7fffff, v4
	v_mov_b32_e32 v3, v29
                                        ; implicit-def: $vgpr52
	s_and_saveexec_b64 s[40:41], vcc
	s_xor_b64 s[42:43], exec, s[40:41]
	s_cbranch_execz .LBB2_6712
; %bb.6699:                             ;   in Loop: Header=BB2_5898 Depth=3
	v_and_b32_e32 v8, 0x7fffffff, v4
	v_mov_b32_e32 v9, v29
	v_cmp_gt_u64_e32 vcc, s[78:79], v[8:9]
	v_and_b32_sdwa v5, v4, s96 dst_sel:DWORD dst_unused:UNUSED_PAD src0_sel:BYTE_3 src1_sel:DWORD
                                        ; implicit-def: $vgpr52
	s_and_saveexec_b64 s[40:41], vcc
	s_xor_b64 s[38:39], exec, s[40:41]
	s_cbranch_execz .LBB2_6709
; %bb.6700:                             ;   in Loop: Header=BB2_5898 Depth=3
	v_mov_b32_e32 v52, 0
	v_cmp_ne_u32_e32 vcc, 0, v4
	s_and_saveexec_b64 s[48:49], vcc
	s_cbranch_execz .LBB2_6708
; %bb.6701:                             ;   in Loop: Header=BB2_5898 Depth=3
	v_bfe_u32 v8, v4, 23, 8
	v_cmp_gt_u32_e64 s[40:41], s46, v8
	v_sub_u32_e32 v4, 0x71, v8
	v_cmp_eq_u32_e32 vcc, 0, v8
	v_cndmask_b32_e64 v4, 0, v4, s[40:41]
	v_mov_b32_e32 v9, 0x70
	v_cndmask_b32_e32 v9, v4, v9, vcc
	v_or_b32_e32 v38, 0x800000, v2
	v_add_u32_e32 v4, 21, v9
	v_cndmask_b32_e32 v2, v38, v2, vcc
	v_lshlrev_b64 v[38:39], v4, -1
	v_add_u32_e32 v4, 20, v9
	v_bfi_b32 v38, v38, 0, v2
	v_lshlrev_b64 v[40:41], v4, 1
	v_lshrrev_b64 v[2:3], v9, v[2:3]
	v_bfi_b32 v39, v39, 0, 0
	v_cmp_eq_u64_e64 s[40:41], v[38:39], v[40:41]
	v_mov_b32_e32 v4, v3
	v_mov_b32_e32 v3, v2
	s_and_saveexec_b64 s[50:51], s[40:41]
; %bb.6702:                             ;   in Loop: Header=BB2_5898 Depth=3
	v_bfe_u32 v3, v2, 21, 1
	v_add_co_u32_e64 v3, s[40:41], v2, v3
	v_add_co_u32_e64 v3, s[40:41], -1, v3
; %bb.6703:                             ;   in Loop: Header=BB2_5898 Depth=3
	s_or_b64 exec, exec, s[50:51]
	v_add_u32_e32 v4, 0xffffff81, v8
	v_cndmask_b32_e32 v4, v4, v1, vcc
	v_lshrrev_b32_e32 v8, 23, v2
	v_add3_u32 v9, v9, v4, v8
	v_add_u32_e32 v8, 14, v9
	v_and_b32_e32 v3, 0x1fffff, v3
	v_add_u32_e32 v2, v3, v2
	v_mov_b32_e32 v3, v29
	v_cmp_ne_u32_e32 vcc, 0, v8
                                        ; implicit-def: $vgpr4
	s_and_saveexec_b64 s[40:41], vcc
	s_xor_b64 s[40:41], exec, s[40:41]
; %bb.6704:                             ;   in Loop: Header=BB2_5898 Depth=3
	v_cmp_lt_u64_e32 vcc, s[88:89], v[2:3]
	v_add_u32_e32 v4, 15, v9
	v_cndmask_b32_e32 v4, v8, v4, vcc
	v_cndmask_b32_e64 v8, 0, 1, vcc
	v_lshrrev_b64 v[2:3], v8, v[2:3]
; %bb.6705:                             ;   in Loop: Header=BB2_5898 Depth=3
	s_andn2_saveexec_b64 s[40:41], s[40:41]
; %bb.6706:                             ;   in Loop: Header=BB2_5898 Depth=3
	v_bfe_u32 v4, v2, 23, 1
; %bb.6707:                             ;   in Loop: Header=BB2_5898 Depth=3
	s_or_b64 exec, exec, s[40:41]
	v_lshrrev_b64 v[2:3], 21, v[2:3]
	v_cmp_gt_i32_e32 vcc, 32, v4
	v_cndmask_b32_e32 v3, 0, v3, vcc
	v_cndmask_b32_e32 v2, 3, v2, vcc
	v_cmp_eq_u64_e64 s[40:41], 0, v[2:3]
	v_min_i32_e32 v3, 31, v4
	v_lshlrev_b32_e32 v3, 2, v3
	v_cmp_eq_u32_e32 vcc, 0, v4
	v_and_b32_e32 v3, 0xfc, v3
	v_and_or_b32 v2, v2, 3, v3
	s_and_b64 s[40:41], vcc, s[40:41]
	v_cndmask_b32_e64 v2, v2, 0, s[40:41]
	v_or_b32_e32 v52, v2, v5
.LBB2_6708:                             ;   in Loop: Header=BB2_5898 Depth=3
	s_or_b64 exec, exec, s[48:49]
                                        ; implicit-def: $vgpr5
.LBB2_6709:                             ;   in Loop: Header=BB2_5898 Depth=3
	s_andn2_saveexec_b64 s[40:41], s[38:39]
; %bb.6710:                             ;   in Loop: Header=BB2_5898 Depth=3
	v_or_b32_e32 v52, 0x7b, v5
; %bb.6711:                             ;   in Loop: Header=BB2_5898 Depth=3
	s_or_b64 exec, exec, s[40:41]
                                        ; implicit-def: $vgpr4
                                        ; implicit-def: $vgpr2_vgpr3
.LBB2_6712:                             ;   in Loop: Header=BB2_5898 Depth=3
	s_andn2_saveexec_b64 s[40:41], s[42:43]
	s_cbranch_execz .LBB2_6718
; %bb.6713:                             ;   in Loop: Header=BB2_5898 Depth=3
	v_cmp_ne_u64_e32 vcc, 0, v[2:3]
                                        ; implicit-def: $vgpr52
	s_and_saveexec_b64 s[42:43], vcc
	s_xor_b64 s[42:43], exec, s[42:43]
; %bb.6714:                             ;   in Loop: Header=BB2_5898 Depth=3
	v_or_b32_sdwa v52, v4, s47 dst_sel:DWORD dst_unused:UNUSED_PAD src0_sel:BYTE_3 src1_sel:DWORD
                                        ; implicit-def: $vgpr4
; %bb.6715:                             ;   in Loop: Header=BB2_5898 Depth=3
	s_andn2_saveexec_b64 s[42:43], s[42:43]
; %bb.6716:                             ;   in Loop: Header=BB2_5898 Depth=3
	v_cmp_lt_i32_e32 vcc, -1, v4
	v_cndmask_b32_e32 v52, v6, v22, vcc
; %bb.6717:                             ;   in Loop: Header=BB2_5898 Depth=3
	s_or_b64 exec, exec, s[42:43]
.LBB2_6718:                             ;   in Loop: Header=BB2_5898 Depth=3
	s_or_b64 exec, exec, s[40:41]
	v_cmp_lt_u32_e32 vcc, s57, v28
	v_mov_b32_e32 v3, 0
	s_and_saveexec_b64 s[40:41], vcc
	s_cbranch_execz .LBB2_6726
; %bb.6719:                             ;   in Loop: Header=BB2_5898 Depth=3
	v_lshrrev_b32_e32 v2, 24, v28
	v_cmp_ne_u32_e32 vcc, s96, v2
	v_bfrev_b32_e32 v3, 1
	s_and_saveexec_b64 s[42:43], vcc
	s_cbranch_execz .LBB2_6725
; %bb.6720:                             ;   in Loop: Header=BB2_5898 Depth=3
	v_and_b32_e32 v3, 0x7c000000, v28
	v_bfe_u32 v4, v28, 24, 2
	v_cmp_ne_u32_e32 vcc, s45, v3
                                        ; implicit-def: $vgpr3
	s_and_saveexec_b64 s[38:39], vcc
	s_xor_b64 s[38:39], exec, s[38:39]
	s_cbranch_execz .LBB2_6722
; %bb.6721:                             ;   in Loop: Header=BB2_5898 Depth=3
	v_ffbh_u32_e32 v3, v4
	v_min_u32_e32 v8, 32, v3
	v_subrev_u32_e32 v3, 29, v8
	v_lshlrev_b64 v[2:3], v3, v[2:3]
	v_bfe_u32 v5, v28, 26, 5
	v_sub_u32_e32 v3, 30, v8
	v_and_b32_e32 v2, 3, v2
	v_cmp_eq_u32_e32 vcc, 0, v5
	v_cndmask_b32_e32 v3, v5, v3, vcc
	v_cndmask_b32_e32 v2, v4, v2, vcc
	v_and_b32_e32 v4, 0x80000000, v28
	v_lshl_add_u32 v3, v3, 23, v4
	v_lshl_or_b32 v2, v2, 21, v3
	v_add_u32_e32 v3, 0x38000000, v2
                                        ; implicit-def: $vgpr4
.LBB2_6722:                             ;   in Loop: Header=BB2_5898 Depth=3
	s_andn2_saveexec_b64 s[38:39], s[38:39]
; %bb.6723:                             ;   in Loop: Header=BB2_5898 Depth=3
	v_cmp_lt_i32_e32 vcc, -1, v28
	v_cndmask_b32_e32 v2, v7, v0, vcc
	v_cmp_eq_u32_e32 vcc, 0, v4
	v_cndmask_b32_e32 v3, v35, v2, vcc
; %bb.6724:                             ;   in Loop: Header=BB2_5898 Depth=3
	s_or_b64 exec, exec, s[38:39]
.LBB2_6725:                             ;   in Loop: Header=BB2_5898 Depth=3
	s_or_b64 exec, exec, s[42:43]
.LBB2_6726:                             ;   in Loop: Header=BB2_5898 Depth=3
	s_or_b64 exec, exec, s[40:41]
	v_bfe_u32 v8, v10, 24, 2
	v_and_b32_e32 v4, 0x7c000000, v10
	v_cmp_eq_u32_e32 vcc, s45, v4
	v_ffbh_u32_e32 v4, v8
	v_min_u32_e32 v28, 32, v4
	v_lshrrev_b32_e32 v2, 24, v10
	v_subrev_u32_e32 v4, 29, v28
	v_bfe_u32 v9, v10, 26, 5
	v_lshlrev_b64 v[4:5], v4, v[2:3]
	v_cmp_eq_u32_e64 s[40:41], 0, v9
	v_sub_u32_e32 v5, 30, v28
	v_and_b32_e32 v4, 3, v4
	v_cndmask_b32_e64 v5, v9, v5, s[40:41]
	v_and_b32_e32 v9, 0x80000000, v10
	v_cndmask_b32_e64 v4, v8, v4, s[40:41]
	v_lshl_add_u32 v5, v5, 23, v9
	v_cmp_lt_i32_e64 s[42:43], -1, v10
	v_lshl_or_b32 v4, v4, 21, v5
	v_cmp_eq_u32_e64 s[40:41], 0, v8
	v_cndmask_b32_e64 v5, v7, v0, s[42:43]
	v_add_u32_e32 v4, 0x38000000, v4
	v_cndmask_b32_e64 v5, v35, v5, s[40:41]
	v_cndmask_b32_e32 v4, v4, v5, vcc
	v_cmp_ne_u32_e32 vcc, s96, v2
	v_bfrev_b32_e32 v2, 1
	v_cndmask_b32_e32 v2, v2, v4, vcc
	v_cmp_lt_u32_e32 vcc, s57, v10
	v_cndmask_b32_e32 v2, 0, v2, vcc
	v_add_f32_e32 v2, v2, v3
	v_and_b32_e32 v3, 0x7f800000, v2
	v_mov_b32_e32 v4, v29
	v_cmp_ne_u64_e32 vcc, s[76:77], v[3:4]
	v_and_b32_e32 v28, 0x7fffff, v2
                                        ; implicit-def: $vgpr59
	s_and_saveexec_b64 s[40:41], vcc
	s_xor_b64 s[42:43], exec, s[40:41]
	s_cbranch_execz .LBB2_6740
; %bb.6727:                             ;   in Loop: Header=BB2_5898 Depth=3
	v_and_b32_e32 v3, 0x7fffffff, v2
	v_mov_b32_e32 v4, v29
	v_cmp_gt_u64_e32 vcc, s[78:79], v[3:4]
	v_and_b32_sdwa v5, v2, s96 dst_sel:DWORD dst_unused:UNUSED_PAD src0_sel:BYTE_3 src1_sel:DWORD
                                        ; implicit-def: $vgpr59
	s_and_saveexec_b64 s[40:41], vcc
	s_xor_b64 s[38:39], exec, s[40:41]
	s_cbranch_execz .LBB2_6737
; %bb.6728:                             ;   in Loop: Header=BB2_5898 Depth=3
	v_mov_b32_e32 v59, 0
	v_cmp_ne_u32_e32 vcc, 0, v2
	s_and_saveexec_b64 s[48:49], vcc
	s_cbranch_execz .LBB2_6736
; %bb.6729:                             ;   in Loop: Header=BB2_5898 Depth=3
	v_bfe_u32 v8, v2, 23, 8
	v_cmp_gt_u32_e64 s[40:41], s46, v8
	v_sub_u32_e32 v2, 0x71, v8
	v_cmp_eq_u32_e32 vcc, 0, v8
	v_cndmask_b32_e64 v2, 0, v2, s[40:41]
	v_mov_b32_e32 v4, 0x70
	v_cndmask_b32_e32 v9, v2, v4, vcc
	v_add_u32_e32 v4, 21, v9
	v_or_b32_e32 v3, 0x800000, v28
	v_lshlrev_b64 v[38:39], v4, -1
	v_cndmask_b32_e32 v2, v3, v28, vcc
	v_mov_b32_e32 v3, v29
	v_add_u32_e32 v4, 20, v9
	v_bfi_b32 v38, v38, 0, v2
	v_lshlrev_b64 v[40:41], v4, 1
	v_lshrrev_b64 v[2:3], v9, v[2:3]
	v_bfi_b32 v39, v39, 0, 0
	v_cmp_eq_u64_e64 s[40:41], v[38:39], v[40:41]
	v_mov_b32_e32 v4, v3
	v_mov_b32_e32 v3, v2
	s_and_saveexec_b64 s[50:51], s[40:41]
; %bb.6730:                             ;   in Loop: Header=BB2_5898 Depth=3
	v_bfe_u32 v3, v2, 21, 1
	v_add_co_u32_e64 v3, s[40:41], v2, v3
	v_add_co_u32_e64 v3, s[40:41], -1, v3
; %bb.6731:                             ;   in Loop: Header=BB2_5898 Depth=3
	s_or_b64 exec, exec, s[50:51]
	v_add_u32_e32 v4, 0xffffff81, v8
	v_cndmask_b32_e32 v4, v4, v1, vcc
	v_lshrrev_b32_e32 v8, 23, v2
	v_add3_u32 v9, v9, v4, v8
	v_add_u32_e32 v8, 14, v9
	v_and_b32_e32 v3, 0x1fffff, v3
	v_add_u32_e32 v28, v3, v2
	v_cmp_ne_u32_e32 vcc, 0, v8
                                        ; implicit-def: $vgpr2_vgpr3
                                        ; implicit-def: $vgpr4
	s_and_saveexec_b64 s[40:41], vcc
	s_xor_b64 s[40:41], exec, s[40:41]
; %bb.6732:                             ;   in Loop: Header=BB2_5898 Depth=3
	v_cmp_lt_u64_e32 vcc, s[88:89], v[28:29]
	v_add_u32_e32 v2, 15, v9
	v_cndmask_b32_e32 v4, v8, v2, vcc
	v_cndmask_b32_e64 v2, 0, 1, vcc
	v_lshrrev_b64 v[2:3], v2, v[28:29]
; %bb.6733:                             ;   in Loop: Header=BB2_5898 Depth=3
	s_andn2_saveexec_b64 s[40:41], s[40:41]
; %bb.6734:                             ;   in Loop: Header=BB2_5898 Depth=3
	v_mov_b32_e32 v2, v28
	v_mov_b32_e32 v3, v29
	v_bfe_u32 v4, v28, 23, 1
; %bb.6735:                             ;   in Loop: Header=BB2_5898 Depth=3
	s_or_b64 exec, exec, s[40:41]
	v_lshrrev_b64 v[2:3], 21, v[2:3]
	v_cmp_gt_i32_e32 vcc, 32, v4
	v_cndmask_b32_e32 v3, 0, v3, vcc
	v_cndmask_b32_e32 v2, 3, v2, vcc
	v_cmp_eq_u64_e64 s[40:41], 0, v[2:3]
	v_min_i32_e32 v3, 31, v4
	v_lshlrev_b32_e32 v3, 2, v3
	v_cmp_eq_u32_e32 vcc, 0, v4
	v_and_b32_e32 v3, 0xfc, v3
	v_and_or_b32 v2, v2, 3, v3
	s_and_b64 s[40:41], vcc, s[40:41]
	v_cndmask_b32_e64 v2, v2, 0, s[40:41]
	v_or_b32_e32 v59, v2, v5
.LBB2_6736:                             ;   in Loop: Header=BB2_5898 Depth=3
	s_or_b64 exec, exec, s[48:49]
                                        ; implicit-def: $vgpr5
.LBB2_6737:                             ;   in Loop: Header=BB2_5898 Depth=3
	s_andn2_saveexec_b64 s[40:41], s[38:39]
; %bb.6738:                             ;   in Loop: Header=BB2_5898 Depth=3
	v_or_b32_e32 v59, 0x7b, v5
; %bb.6739:                             ;   in Loop: Header=BB2_5898 Depth=3
	s_or_b64 exec, exec, s[40:41]
                                        ; implicit-def: $vgpr2
.LBB2_6740:                             ;   in Loop: Header=BB2_5898 Depth=3
	s_andn2_saveexec_b64 s[40:41], s[42:43]
	s_cbranch_execz .LBB2_6746
; %bb.6741:                             ;   in Loop: Header=BB2_5898 Depth=3
	v_cmp_ne_u64_e32 vcc, 0, v[28:29]
                                        ; implicit-def: $vgpr59
	s_and_saveexec_b64 s[42:43], vcc
	s_xor_b64 s[42:43], exec, s[42:43]
; %bb.6742:                             ;   in Loop: Header=BB2_5898 Depth=3
	v_or_b32_sdwa v59, v2, s47 dst_sel:DWORD dst_unused:UNUSED_PAD src0_sel:BYTE_3 src1_sel:DWORD
                                        ; implicit-def: $vgpr2
; %bb.6743:                             ;   in Loop: Header=BB2_5898 Depth=3
	s_andn2_saveexec_b64 s[42:43], s[42:43]
; %bb.6744:                             ;   in Loop: Header=BB2_5898 Depth=3
	v_cmp_lt_i32_e32 vcc, -1, v2
	v_cndmask_b32_e32 v59, v6, v22, vcc
; %bb.6745:                             ;   in Loop: Header=BB2_5898 Depth=3
	s_or_b64 exec, exec, s[42:43]
.LBB2_6746:                             ;   in Loop: Header=BB2_5898 Depth=3
	s_or_b64 exec, exec, s[40:41]
	v_lshlrev_b32_e32 v2, 24, v60
	v_lshlrev_b32_e32 v3, 16, v58
	v_lshl_or_b32 v49, v53, 8, v37
	v_or3_b32 v28, v3, v2, v49
	v_cmp_ne_u32_e32 vcc, 0, v37
	v_mov_b32_e32 v2, 0
	s_and_saveexec_b64 s[42:43], vcc
	s_cbranch_execz .LBB2_6754
; %bb.6747:                             ;   in Loop: Header=BB2_5898 Depth=3
	v_cmp_ne_u32_e32 vcc, s96, v37
	v_bfrev_b32_e32 v2, 1
	s_and_saveexec_b64 s[38:39], vcc
	s_cbranch_execz .LBB2_6753
; %bb.6748:                             ;   in Loop: Header=BB2_5898 Depth=3
	v_and_b32_e32 v2, 0x7c, v37
	v_and_b32_e32 v3, 3, v37
	v_cmp_ne_u32_e32 vcc, s85, v2
                                        ; implicit-def: $vgpr2
	s_and_saveexec_b64 s[40:41], vcc
	s_xor_b64 s[40:41], exec, s[40:41]
	s_cbranch_execz .LBB2_6750
; %bb.6749:                             ;   in Loop: Header=BB2_5898 Depth=3
	v_ffbh_u32_e32 v4, v3
	v_min_u32_e32 v8, 32, v4
	v_subrev_u32_e32 v4, 29, v8
	v_lshlrev_b64 v[4:5], v4, v[28:29]
	v_bfe_u32 v2, v37, 2, 5
	v_and_b32_e32 v4, 3, v4
	v_cmp_eq_u32_e32 vcc, 0, v2
	v_sub_u32_e32 v5, 30, v8
	v_cndmask_b32_e32 v3, v3, v4, vcc
	v_lshlrev_b32_e32 v4, 24, v37
	v_cndmask_b32_e32 v2, v2, v5, vcc
	v_and_b32_e32 v4, 0x80000000, v4
	v_lshl_add_u32 v2, v2, 23, v4
	v_lshl_or_b32 v2, v3, 21, v2
	v_add_u32_e32 v2, 0x38000000, v2
                                        ; implicit-def: $vgpr3
                                        ; implicit-def: $vgpr37
.LBB2_6750:                             ;   in Loop: Header=BB2_5898 Depth=3
	s_andn2_saveexec_b64 s[48:49], s[40:41]
; %bb.6751:                             ;   in Loop: Header=BB2_5898 Depth=3
	v_and_b32_e32 v2, 0x80, v37
	v_cmp_eq_u32_e64 s[40:41], 0, v2
	v_cmp_eq_u32_e32 vcc, 0, v3
	v_cndmask_b32_e64 v2, v7, v0, s[40:41]
	v_cndmask_b32_e32 v2, v35, v2, vcc
; %bb.6752:                             ;   in Loop: Header=BB2_5898 Depth=3
	s_or_b64 exec, exec, s[48:49]
.LBB2_6753:                             ;   in Loop: Header=BB2_5898 Depth=3
	s_or_b64 exec, exec, s[38:39]
.LBB2_6754:                             ;   in Loop: Header=BB2_5898 Depth=3
	s_or_b64 exec, exec, s[42:43]
	v_cmp_gt_i16_sdwa s[42:43], v11, s47 src0_sel:BYTE_0 src1_sel:DWORD
	s_mov_b64 s[40:41], 0
	s_and_saveexec_b64 vcc, s[42:43]
	s_xor_b64 s[42:43], exec, vcc
	s_cbranch_execz .LBB2_6758
; %bb.6755:                             ;   in Loop: Header=BB2_5898 Depth=3
	v_cmp_eq_u16_sdwa s[38:39], v11, s96 src0_sel:BYTE_0 src1_sel:DWORD
	s_mov_b64 s[40:41], -1
	s_and_saveexec_b64 vcc, s[38:39]
; %bb.6756:                             ;   in Loop: Header=BB2_5898 Depth=3
	s_xor_b64 s[40:41], exec, -1
; %bb.6757:                             ;   in Loop: Header=BB2_5898 Depth=3
	s_or_b64 exec, exec, vcc
	s_and_b64 s[40:41], s[40:41], exec
.LBB2_6758:                             ;   in Loop: Header=BB2_5898 Depth=3
	s_or_saveexec_b64 s[42:43], s[42:43]
	v_bfrev_b32_e32 v3, 1
	s_xor_b64 exec, exec, s[42:43]
; %bb.6759:                             ;   in Loop: Header=BB2_5898 Depth=3
	v_cmp_ne_u16_sdwa vcc, v11, v29 src0_sel:BYTE_0 src1_sel:DWORD
	s_andn2_b64 s[40:41], s[40:41], exec
	s_and_b64 vcc, vcc, exec
	v_mov_b32_e32 v3, 0
	s_or_b64 s[40:41], s[40:41], vcc
; %bb.6760:                             ;   in Loop: Header=BB2_5898 Depth=3
	s_or_b64 exec, exec, s[42:43]
	v_mov_b32_e32 v4, v11
	v_mov_b32_e32 v5, v29
	s_and_saveexec_b64 s[38:39], s[40:41]
	s_cbranch_execz .LBB2_6762
; %bb.6761:                             ;   in Loop: Header=BB2_5898 Depth=3
	v_and_b32_e32 v3, 3, v11
	v_and_b32_e32 v8, 0x7c, v11
	v_cmp_eq_u32_e32 vcc, s85, v8
	v_ffbh_u32_e32 v8, v3
	v_min_u32_e32 v38, 32, v8
	v_subrev_u32_e32 v8, 29, v38
	v_bfe_u32 v37, v11, 2, 5
	v_lshlrev_b64 v[8:9], v8, v[4:5]
	v_cmp_eq_u32_e64 s[40:41], 0, v37
	v_sub_u32_e32 v5, 30, v38
	v_lshlrev_b32_e32 v9, 24, v11
	v_and_b32_e32 v8, 3, v8
	v_cndmask_b32_e64 v5, v37, v5, s[40:41]
	v_and_b32_e32 v9, 0x80000000, v9
	v_cndmask_b32_e64 v8, v3, v8, s[40:41]
	v_lshl_add_u32 v5, v5, 23, v9
	v_cmp_gt_i16_sdwa s[42:43], sext(v11), v48 src0_sel:BYTE_0 src1_sel:DWORD
	v_lshl_or_b32 v5, v8, 21, v5
	v_cmp_eq_u32_e64 s[40:41], 0, v3
	v_cndmask_b32_e64 v3, v7, v0, s[42:43]
	v_add_u32_e32 v5, 0x38000000, v5
	v_cndmask_b32_e64 v3, v35, v3, s[40:41]
	v_cndmask_b32_e32 v3, v5, v3, vcc
.LBB2_6762:                             ;   in Loop: Header=BB2_5898 Depth=3
	s_or_b64 exec, exec, s[38:39]
	v_add_f32_e32 v8, v2, v3
	v_and_b32_e32 v37, 0x7f800000, v8
	v_mov_b32_e32 v38, v29
	v_cmp_ne_u64_e32 vcc, s[76:77], v[37:38]
	v_and_b32_e32 v2, 0x7fffff, v8
	v_mov_b32_e32 v3, v29
                                        ; implicit-def: $vgpr5
	s_and_saveexec_b64 s[40:41], vcc
	s_xor_b64 s[42:43], exec, s[40:41]
	s_cbranch_execz .LBB2_6776
; %bb.6763:                             ;   in Loop: Header=BB2_5898 Depth=3
	v_and_b32_e32 v37, 0x7fffffff, v8
	v_mov_b32_e32 v38, v29
	v_cmp_gt_u64_e32 vcc, s[78:79], v[37:38]
	v_and_b32_sdwa v37, v8, s96 dst_sel:DWORD dst_unused:UNUSED_PAD src0_sel:BYTE_3 src1_sel:DWORD
                                        ; implicit-def: $vgpr5
	s_and_saveexec_b64 s[40:41], vcc
	s_xor_b64 s[38:39], exec, s[40:41]
	s_cbranch_execz .LBB2_6773
; %bb.6764:                             ;   in Loop: Header=BB2_5898 Depth=3
	v_mov_b32_e32 v5, 0
	v_cmp_ne_u32_e32 vcc, 0, v8
	s_and_saveexec_b64 s[48:49], vcc
	s_cbranch_execz .LBB2_6772
; %bb.6765:                             ;   in Loop: Header=BB2_5898 Depth=3
	v_bfe_u32 v5, v8, 23, 8
	v_cmp_gt_u32_e64 s[40:41], s46, v5
	v_sub_u32_e32 v8, 0x71, v5
	v_cmp_eq_u32_e32 vcc, 0, v5
	v_cndmask_b32_e64 v8, 0, v8, s[40:41]
	v_mov_b32_e32 v38, 0x70
	v_cndmask_b32_e32 v53, v8, v38, vcc
	v_or_b32_e32 v9, 0x800000, v2
	v_add_u32_e32 v8, 21, v53
	v_cndmask_b32_e32 v2, v9, v2, vcc
	v_lshlrev_b64 v[8:9], v8, -1
	v_add_u32_e32 v38, 20, v53
	v_bfi_b32 v8, v8, 0, v2
	v_lshlrev_b64 v[38:39], v38, 1
	v_lshrrev_b64 v[2:3], v53, v[2:3]
	v_bfi_b32 v9, v9, 0, 0
	v_cmp_eq_u64_e64 s[40:41], v[8:9], v[38:39]
	v_mov_b32_e32 v9, v3
	v_mov_b32_e32 v8, v2
	s_and_saveexec_b64 s[50:51], s[40:41]
; %bb.6766:                             ;   in Loop: Header=BB2_5898 Depth=3
	v_bfe_u32 v3, v2, 21, 1
	v_add_co_u32_e64 v3, s[40:41], v2, v3
	v_add_co_u32_e64 v8, s[40:41], -1, v3
; %bb.6767:                             ;   in Loop: Header=BB2_5898 Depth=3
	s_or_b64 exec, exec, s[50:51]
	v_add_u32_e32 v3, 0xffffff81, v5
	v_cndmask_b32_e32 v3, v3, v1, vcc
	v_lshrrev_b32_e32 v5, 23, v2
	v_add3_u32 v53, v53, v3, v5
	v_add_u32_e32 v9, 14, v53
	v_and_b32_e32 v3, 0x1fffff, v8
	v_add_u32_e32 v2, v3, v2
	v_mov_b32_e32 v3, v29
	v_cmp_ne_u32_e32 vcc, 0, v9
                                        ; implicit-def: $vgpr5
	s_and_saveexec_b64 s[40:41], vcc
	s_xor_b64 s[40:41], exec, s[40:41]
; %bb.6768:                             ;   in Loop: Header=BB2_5898 Depth=3
	v_cmp_lt_u64_e32 vcc, s[88:89], v[2:3]
	v_add_u32_e32 v5, 15, v53
	v_cndmask_b32_e64 v8, 0, 1, vcc
	v_cndmask_b32_e32 v5, v9, v5, vcc
	v_lshrrev_b64 v[2:3], v8, v[2:3]
; %bb.6769:                             ;   in Loop: Header=BB2_5898 Depth=3
	s_andn2_saveexec_b64 s[40:41], s[40:41]
; %bb.6770:                             ;   in Loop: Header=BB2_5898 Depth=3
	v_bfe_u32 v5, v2, 23, 1
; %bb.6771:                             ;   in Loop: Header=BB2_5898 Depth=3
	s_or_b64 exec, exec, s[40:41]
	v_lshrrev_b64 v[2:3], 21, v[2:3]
	v_cmp_gt_i32_e32 vcc, 32, v5
	v_cndmask_b32_e32 v3, 0, v3, vcc
	v_cndmask_b32_e32 v2, 3, v2, vcc
	v_cmp_eq_u64_e64 s[40:41], 0, v[2:3]
	v_min_i32_e32 v3, 31, v5
	v_lshlrev_b32_e32 v3, 2, v3
	v_cmp_eq_u32_e32 vcc, 0, v5
	v_and_b32_e32 v3, 0xfc, v3
	v_and_or_b32 v2, v2, 3, v3
	s_and_b64 s[40:41], vcc, s[40:41]
	v_cndmask_b32_e64 v2, v2, 0, s[40:41]
	v_or_b32_e32 v5, v2, v37
.LBB2_6772:                             ;   in Loop: Header=BB2_5898 Depth=3
	s_or_b64 exec, exec, s[48:49]
                                        ; implicit-def: $vgpr37
.LBB2_6773:                             ;   in Loop: Header=BB2_5898 Depth=3
	s_andn2_saveexec_b64 s[40:41], s[38:39]
; %bb.6774:                             ;   in Loop: Header=BB2_5898 Depth=3
	v_or_b32_e32 v5, 0x7b, v37
; %bb.6775:                             ;   in Loop: Header=BB2_5898 Depth=3
	s_or_b64 exec, exec, s[40:41]
                                        ; implicit-def: $vgpr8
                                        ; implicit-def: $vgpr2_vgpr3
.LBB2_6776:                             ;   in Loop: Header=BB2_5898 Depth=3
	s_andn2_saveexec_b64 s[40:41], s[42:43]
	s_cbranch_execz .LBB2_6782
; %bb.6777:                             ;   in Loop: Header=BB2_5898 Depth=3
	v_cmp_ne_u64_e32 vcc, 0, v[2:3]
                                        ; implicit-def: $vgpr5
	s_and_saveexec_b64 s[42:43], vcc
	s_xor_b64 s[42:43], exec, s[42:43]
; %bb.6778:                             ;   in Loop: Header=BB2_5898 Depth=3
	v_or_b32_sdwa v5, v8, s47 dst_sel:DWORD dst_unused:UNUSED_PAD src0_sel:BYTE_3 src1_sel:DWORD
                                        ; implicit-def: $vgpr8
; %bb.6779:                             ;   in Loop: Header=BB2_5898 Depth=3
	s_andn2_saveexec_b64 s[42:43], s[42:43]
; %bb.6780:                             ;   in Loop: Header=BB2_5898 Depth=3
	v_cmp_lt_i32_e32 vcc, -1, v8
	v_cndmask_b32_e32 v5, v6, v22, vcc
; %bb.6781:                             ;   in Loop: Header=BB2_5898 Depth=3
	s_or_b64 exec, exec, s[42:43]
.LBB2_6782:                             ;   in Loop: Header=BB2_5898 Depth=3
	s_or_b64 exec, exec, s[40:41]
	v_lshrrev_b16_e32 v2, 8, v49
	v_cmp_ne_u16_e32 vcc, 0, v2
	v_mov_b32_e32 v8, 0
	s_and_saveexec_b64 s[40:41], vcc
	s_cbranch_execz .LBB2_6790
; %bb.6783:                             ;   in Loop: Header=BB2_5898 Depth=3
	v_cmp_ne_u16_e32 vcc, s96, v2
	v_bfrev_b32_e32 v8, 1
	s_and_saveexec_b64 s[42:43], vcc
	s_cbranch_execz .LBB2_6789
; %bb.6784:                             ;   in Loop: Header=BB2_5898 Depth=3
	v_and_b32_e32 v3, 0x7c, v2
	v_and_b32_e32 v9, 3, v2
	v_cmp_ne_u32_e32 vcc, s85, v3
                                        ; implicit-def: $vgpr8
	s_and_saveexec_b64 s[38:39], vcc
	s_xor_b64 s[38:39], exec, s[38:39]
	s_cbranch_execz .LBB2_6786
; %bb.6785:                             ;   in Loop: Header=BB2_5898 Depth=3
	v_ffbh_u32_e32 v37, v9
	v_min_u32_e32 v37, 32, v37
	v_mov_b32_e32 v3, v29
	v_subrev_u32_e32 v38, 29, v37
	v_bfe_u32 v8, v2, 2, 5
	v_lshlrev_b64 v[2:3], v38, v[2:3]
	v_sub_u32_e32 v3, 30, v37
	v_cmp_eq_u32_e32 vcc, 0, v8
	v_cndmask_b32_e32 v3, v8, v3, vcc
	v_lshlrev_b32_e32 v8, 16, v49
	v_and_b32_e32 v2, 3, v2
	v_and_b32_e32 v8, 0x80000000, v8
	v_cndmask_b32_e32 v2, v9, v2, vcc
	v_lshl_add_u32 v3, v3, 23, v8
	v_lshl_or_b32 v2, v2, 21, v3
	v_add_u32_e32 v8, 0x38000000, v2
                                        ; implicit-def: $vgpr9
                                        ; implicit-def: $vgpr49
.LBB2_6786:                             ;   in Loop: Header=BB2_5898 Depth=3
	s_andn2_saveexec_b64 s[38:39], s[38:39]
; %bb.6787:                             ;   in Loop: Header=BB2_5898 Depth=3
	v_cmp_lt_i16_e32 vcc, -1, v49
	v_cndmask_b32_e32 v2, v7, v0, vcc
	v_cmp_eq_u32_e32 vcc, 0, v9
	v_cndmask_b32_e32 v8, v35, v2, vcc
; %bb.6788:                             ;   in Loop: Header=BB2_5898 Depth=3
	s_or_b64 exec, exec, s[38:39]
.LBB2_6789:                             ;   in Loop: Header=BB2_5898 Depth=3
	s_or_b64 exec, exec, s[42:43]
.LBB2_6790:                             ;   in Loop: Header=BB2_5898 Depth=3
	s_or_b64 exec, exec, s[40:41]
	v_lshrrev_b16_e32 v2, 8, v4
	v_cmp_lt_i16_e32 vcc, s47, v2
	s_mov_b64 s[40:41], 0
	s_and_saveexec_b64 s[42:43], vcc
	s_xor_b64 s[42:43], exec, s[42:43]
	s_cbranch_execz .LBB2_6897
; %bb.6791:                             ;   in Loop: Header=BB2_5898 Depth=3
	v_cmp_eq_u16_e32 vcc, s96, v2
	s_mov_b64 s[40:41], -1
	s_and_saveexec_b64 s[38:39], vcc
; %bb.6792:                             ;   in Loop: Header=BB2_5898 Depth=3
	s_xor_b64 s[40:41], exec, -1
; %bb.6793:                             ;   in Loop: Header=BB2_5898 Depth=3
	s_or_b64 exec, exec, s[38:39]
	s_and_b64 s[40:41], s[40:41], exec
	s_or_saveexec_b64 s[42:43], s[42:43]
	v_bfrev_b32_e32 v3, 1
	s_xor_b64 exec, exec, s[42:43]
	s_cbranch_execnz .LBB2_6898
.LBB2_6794:                             ;   in Loop: Header=BB2_5898 Depth=3
	s_or_b64 exec, exec, s[42:43]
	s_and_saveexec_b64 s[38:39], s[40:41]
	s_cbranch_execz .LBB2_6796
.LBB2_6795:                             ;   in Loop: Header=BB2_5898 Depth=3
	v_and_b32_e32 v9, 3, v2
	v_and_b32_e32 v37, 0x7c, v2
	v_cmp_eq_u32_e32 vcc, s85, v37
	v_ffbh_u32_e32 v37, v9
	v_min_u32_e32 v49, 32, v37
	v_mov_b32_e32 v3, v29
	v_subrev_u32_e32 v37, 29, v49
	v_bfe_u32 v39, v2, 2, 5
	v_lshlrev_b64 v[37:38], v37, v[2:3]
	v_cmp_eq_u32_e64 s[40:41], 0, v39
	v_sub_u32_e32 v3, 30, v49
	v_lshlrev_b32_e32 v2, 24, v2
	v_and_b32_e32 v37, 3, v37
	v_cndmask_b32_e64 v3, v39, v3, s[40:41]
	v_and_b32_e32 v2, 0x80000000, v2
	v_cndmask_b32_e64 v37, v9, v37, s[40:41]
	v_lshl_add_u32 v2, v3, 23, v2
	v_cmp_lt_i16_e64 s[42:43], -1, v4
	v_lshl_or_b32 v2, v37, 21, v2
	v_cmp_eq_u32_e64 s[40:41], 0, v9
	v_cndmask_b32_e64 v3, v7, v0, s[42:43]
	v_add_u32_e32 v2, 0x38000000, v2
	v_cndmask_b32_e64 v3, v35, v3, s[40:41]
	v_cndmask_b32_e32 v3, v2, v3, vcc
.LBB2_6796:                             ;   in Loop: Header=BB2_5898 Depth=3
	s_or_b64 exec, exec, s[38:39]
	v_add_f32_e32 v4, v8, v3
	v_and_b32_e32 v8, 0x7f800000, v4
	v_mov_b32_e32 v9, v29
	v_cmp_ne_u64_e32 vcc, s[76:77], v[8:9]
	v_and_b32_e32 v2, 0x7fffff, v4
	v_mov_b32_e32 v3, v29
                                        ; implicit-def: $vgpr37
	s_and_saveexec_b64 s[40:41], vcc
	s_xor_b64 s[42:43], exec, s[40:41]
	s_cbranch_execz .LBB2_6810
; %bb.6797:                             ;   in Loop: Header=BB2_5898 Depth=3
	v_and_b32_e32 v8, 0x7fffffff, v4
	v_mov_b32_e32 v9, v29
	v_cmp_gt_u64_e32 vcc, s[78:79], v[8:9]
	v_and_b32_sdwa v8, v4, s96 dst_sel:DWORD dst_unused:UNUSED_PAD src0_sel:BYTE_3 src1_sel:DWORD
                                        ; implicit-def: $vgpr37
	s_and_saveexec_b64 s[40:41], vcc
	s_xor_b64 s[38:39], exec, s[40:41]
	s_cbranch_execz .LBB2_6807
; %bb.6798:                             ;   in Loop: Header=BB2_5898 Depth=3
	v_mov_b32_e32 v37, 0
	v_cmp_ne_u32_e32 vcc, 0, v4
	s_and_saveexec_b64 s[48:49], vcc
	s_cbranch_execz .LBB2_6806
; %bb.6799:                             ;   in Loop: Header=BB2_5898 Depth=3
	v_bfe_u32 v9, v4, 23, 8
	v_cmp_gt_u32_e64 s[40:41], s46, v9
	v_sub_u32_e32 v4, 0x71, v9
	v_cmp_eq_u32_e32 vcc, 0, v9
	v_cndmask_b32_e64 v4, 0, v4, s[40:41]
	v_mov_b32_e32 v37, 0x70
	v_cndmask_b32_e32 v37, v4, v37, vcc
	v_or_b32_e32 v38, 0x800000, v2
	v_add_u32_e32 v4, 21, v37
	v_cndmask_b32_e32 v2, v38, v2, vcc
	v_lshlrev_b64 v[38:39], v4, -1
	v_add_u32_e32 v4, 20, v37
	v_bfi_b32 v38, v38, 0, v2
	v_lshlrev_b64 v[40:41], v4, 1
	v_lshrrev_b64 v[2:3], v37, v[2:3]
	v_bfi_b32 v39, v39, 0, 0
	v_cmp_eq_u64_e64 s[40:41], v[38:39], v[40:41]
	v_mov_b32_e32 v4, v3
	v_mov_b32_e32 v3, v2
	s_and_saveexec_b64 s[50:51], s[40:41]
; %bb.6800:                             ;   in Loop: Header=BB2_5898 Depth=3
	v_bfe_u32 v3, v2, 21, 1
	v_add_co_u32_e64 v3, s[40:41], v2, v3
	v_add_co_u32_e64 v3, s[40:41], -1, v3
; %bb.6801:                             ;   in Loop: Header=BB2_5898 Depth=3
	s_or_b64 exec, exec, s[50:51]
	v_add_u32_e32 v4, 0xffffff81, v9
	v_cndmask_b32_e32 v4, v4, v1, vcc
	v_lshrrev_b32_e32 v9, 23, v2
	v_add3_u32 v37, v37, v4, v9
	v_add_u32_e32 v9, 14, v37
	v_and_b32_e32 v3, 0x1fffff, v3
	v_add_u32_e32 v2, v3, v2
	v_mov_b32_e32 v3, v29
	v_cmp_ne_u32_e32 vcc, 0, v9
                                        ; implicit-def: $vgpr4
	s_and_saveexec_b64 s[40:41], vcc
	s_xor_b64 s[40:41], exec, s[40:41]
; %bb.6802:                             ;   in Loop: Header=BB2_5898 Depth=3
	v_cmp_lt_u64_e32 vcc, s[88:89], v[2:3]
	v_add_u32_e32 v4, 15, v37
	v_cndmask_b32_e32 v4, v9, v4, vcc
	v_cndmask_b32_e64 v9, 0, 1, vcc
	v_lshrrev_b64 v[2:3], v9, v[2:3]
; %bb.6803:                             ;   in Loop: Header=BB2_5898 Depth=3
	s_andn2_saveexec_b64 s[40:41], s[40:41]
; %bb.6804:                             ;   in Loop: Header=BB2_5898 Depth=3
	v_bfe_u32 v4, v2, 23, 1
; %bb.6805:                             ;   in Loop: Header=BB2_5898 Depth=3
	s_or_b64 exec, exec, s[40:41]
	v_lshrrev_b64 v[2:3], 21, v[2:3]
	v_cmp_gt_i32_e32 vcc, 32, v4
	v_cndmask_b32_e32 v3, 0, v3, vcc
	v_cndmask_b32_e32 v2, 3, v2, vcc
	v_cmp_eq_u64_e64 s[40:41], 0, v[2:3]
	v_min_i32_e32 v3, 31, v4
	v_lshlrev_b32_e32 v3, 2, v3
	v_cmp_eq_u32_e32 vcc, 0, v4
	v_and_b32_e32 v3, 0xfc, v3
	v_and_or_b32 v2, v2, 3, v3
	s_and_b64 s[40:41], vcc, s[40:41]
	v_cndmask_b32_e64 v2, v2, 0, s[40:41]
	v_or_b32_e32 v37, v2, v8
.LBB2_6806:                             ;   in Loop: Header=BB2_5898 Depth=3
	s_or_b64 exec, exec, s[48:49]
                                        ; implicit-def: $vgpr8
.LBB2_6807:                             ;   in Loop: Header=BB2_5898 Depth=3
	s_andn2_saveexec_b64 s[40:41], s[38:39]
; %bb.6808:                             ;   in Loop: Header=BB2_5898 Depth=3
	v_or_b32_e32 v37, 0x7b, v8
; %bb.6809:                             ;   in Loop: Header=BB2_5898 Depth=3
	s_or_b64 exec, exec, s[40:41]
                                        ; implicit-def: $vgpr4
                                        ; implicit-def: $vgpr2_vgpr3
.LBB2_6810:                             ;   in Loop: Header=BB2_5898 Depth=3
	s_andn2_saveexec_b64 s[40:41], s[42:43]
	s_cbranch_execz .LBB2_6816
; %bb.6811:                             ;   in Loop: Header=BB2_5898 Depth=3
	v_cmp_ne_u64_e32 vcc, 0, v[2:3]
                                        ; implicit-def: $vgpr37
	s_and_saveexec_b64 s[42:43], vcc
	s_xor_b64 s[42:43], exec, s[42:43]
; %bb.6812:                             ;   in Loop: Header=BB2_5898 Depth=3
	v_or_b32_sdwa v37, v4, s47 dst_sel:DWORD dst_unused:UNUSED_PAD src0_sel:BYTE_3 src1_sel:DWORD
                                        ; implicit-def: $vgpr4
; %bb.6813:                             ;   in Loop: Header=BB2_5898 Depth=3
	s_andn2_saveexec_b64 s[42:43], s[42:43]
; %bb.6814:                             ;   in Loop: Header=BB2_5898 Depth=3
	v_cmp_lt_i32_e32 vcc, -1, v4
	v_cndmask_b32_e32 v37, v6, v22, vcc
; %bb.6815:                             ;   in Loop: Header=BB2_5898 Depth=3
	s_or_b64 exec, exec, s[42:43]
.LBB2_6816:                             ;   in Loop: Header=BB2_5898 Depth=3
	s_or_b64 exec, exec, s[40:41]
	v_and_b32_sdwa v4, v28, s87 dst_sel:DWORD dst_unused:UNUSED_PAD src0_sel:WORD_1 src1_sel:DWORD
	v_lshrrev_b32_e32 v2, 16, v28
	v_cmp_ne_u16_e32 vcc, 0, v4
	v_mov_b32_e32 v3, 0
	s_and_saveexec_b64 s[40:41], vcc
	s_cbranch_execz .LBB2_6824
; %bb.6817:                             ;   in Loop: Header=BB2_5898 Depth=3
	v_cmp_ne_u16_e32 vcc, s96, v4
	v_bfrev_b32_e32 v3, 1
	s_and_saveexec_b64 s[42:43], vcc
	s_cbranch_execz .LBB2_6823
; %bb.6818:                             ;   in Loop: Header=BB2_5898 Depth=3
	v_and_b32_e32 v3, 0x7c0000, v28
	v_bfe_u32 v4, v28, 16, 2
	v_cmp_ne_u32_e32 vcc, s44, v3
                                        ; implicit-def: $vgpr3
	s_and_saveexec_b64 s[38:39], vcc
	s_xor_b64 s[38:39], exec, s[38:39]
	s_cbranch_execz .LBB2_6820
; %bb.6819:                             ;   in Loop: Header=BB2_5898 Depth=3
	v_ffbh_u32_e32 v3, v4
	v_min_u32_e32 v9, 32, v3
	v_subrev_u32_e32 v3, 29, v9
	v_lshlrev_b64 v[2:3], v3, v[2:3]
	v_bfe_u32 v8, v28, 18, 5
	v_and_b32_e32 v2, 3, v2
	v_cmp_eq_u32_e32 vcc, 0, v8
	v_sub_u32_e32 v3, 30, v9
	v_cndmask_b32_e32 v2, v4, v2, vcc
	v_lshlrev_b32_e32 v4, 8, v28
	v_cndmask_b32_e32 v3, v8, v3, vcc
	v_and_b32_e32 v4, 0x80000000, v4
	v_lshl_add_u32 v3, v3, 23, v4
	v_lshl_or_b32 v2, v2, 21, v3
	v_add_u32_e32 v3, 0x38000000, v2
                                        ; implicit-def: $vgpr4
                                        ; implicit-def: $vgpr2
.LBB2_6820:                             ;   in Loop: Header=BB2_5898 Depth=3
	s_andn2_saveexec_b64 s[38:39], s[38:39]
; %bb.6821:                             ;   in Loop: Header=BB2_5898 Depth=3
	v_cmp_gt_i16_sdwa vcc, sext(v2), v48 src0_sel:BYTE_0 src1_sel:DWORD
	v_cndmask_b32_e32 v2, v7, v0, vcc
	v_cmp_eq_u32_e32 vcc, 0, v4
	v_cndmask_b32_e32 v3, v35, v2, vcc
; %bb.6822:                             ;   in Loop: Header=BB2_5898 Depth=3
	s_or_b64 exec, exec, s[38:39]
.LBB2_6823:                             ;   in Loop: Header=BB2_5898 Depth=3
	s_or_b64 exec, exec, s[42:43]
.LBB2_6824:                             ;   in Loop: Header=BB2_5898 Depth=3
	s_or_b64 exec, exec, s[40:41]
	v_lshrrev_b32_e32 v2, 16, v11
	v_cmp_gt_i16_sdwa s[42:43], v2, s47 src0_sel:BYTE_0 src1_sel:DWORD
	s_mov_b64 s[40:41], 0
	s_and_saveexec_b64 vcc, s[42:43]
	s_xor_b64 s[42:43], exec, vcc
	s_cbranch_execz .LBB2_6899
; %bb.6825:                             ;   in Loop: Header=BB2_5898 Depth=3
	v_cmp_eq_u16_sdwa s[38:39], v2, s96 src0_sel:BYTE_0 src1_sel:DWORD
	s_mov_b64 s[40:41], -1
	s_and_saveexec_b64 vcc, s[38:39]
; %bb.6826:                             ;   in Loop: Header=BB2_5898 Depth=3
	s_xor_b64 s[40:41], exec, -1
; %bb.6827:                             ;   in Loop: Header=BB2_5898 Depth=3
	s_or_b64 exec, exec, vcc
	s_and_b64 s[40:41], s[40:41], exec
	s_or_saveexec_b64 s[42:43], s[42:43]
	v_bfrev_b32_e32 v4, 1
	s_xor_b64 exec, exec, s[42:43]
	s_cbranch_execnz .LBB2_6900
.LBB2_6828:                             ;   in Loop: Header=BB2_5898 Depth=3
	s_or_b64 exec, exec, s[42:43]
	s_and_saveexec_b64 s[38:39], s[40:41]
	s_cbranch_execz .LBB2_6830
.LBB2_6829:                             ;   in Loop: Header=BB2_5898 Depth=3
	v_and_b32_e32 v4, 3, v2
	v_and_b32_e32 v8, 0x7c0000, v11
	v_cmp_eq_u32_e32 vcc, s44, v8
	v_ffbh_u32_e32 v8, v4
	v_min_u32_e32 v39, 32, v8
	v_subrev_u32_e32 v8, 29, v39
	v_bfe_u32 v38, v11, 18, 5
	v_lshlrev_b64 v[8:9], v8, v[2:3]
	v_cmp_eq_u32_e64 s[40:41], 0, v38
	v_sub_u32_e32 v9, 30, v39
	v_cndmask_b32_e64 v9, v38, v9, s[40:41]
	v_lshlrev_b32_e32 v38, 24, v2
	v_and_b32_e32 v8, 3, v8
	v_and_b32_e32 v38, 0x80000000, v38
	v_cndmask_b32_e64 v8, v4, v8, s[40:41]
	v_lshl_add_u32 v9, v9, 23, v38
	v_cmp_gt_i16_sdwa s[42:43], sext(v2), v48 src0_sel:BYTE_0 src1_sel:DWORD
	v_lshl_or_b32 v8, v8, 21, v9
	v_cmp_eq_u32_e64 s[40:41], 0, v4
	v_cndmask_b32_e64 v2, v7, v0, s[42:43]
	v_add_u32_e32 v8, 0x38000000, v8
	v_cndmask_b32_e64 v2, v35, v2, s[40:41]
	v_cndmask_b32_e32 v4, v8, v2, vcc
.LBB2_6830:                             ;   in Loop: Header=BB2_5898 Depth=3
	s_or_b64 exec, exec, s[38:39]
	v_add_f32_e32 v4, v3, v4
	v_and_b32_e32 v8, 0x7f800000, v4
	v_mov_b32_e32 v9, v29
	v_cmp_ne_u64_e32 vcc, s[76:77], v[8:9]
	v_and_b32_e32 v2, 0x7fffff, v4
	v_mov_b32_e32 v3, v29
                                        ; implicit-def: $vgpr49
	s_and_saveexec_b64 s[40:41], vcc
	s_xor_b64 s[42:43], exec, s[40:41]
	s_cbranch_execz .LBB2_6844
; %bb.6831:                             ;   in Loop: Header=BB2_5898 Depth=3
	v_and_b32_e32 v8, 0x7fffffff, v4
	v_mov_b32_e32 v9, v29
	v_cmp_gt_u64_e32 vcc, s[78:79], v[8:9]
	v_and_b32_sdwa v8, v4, s96 dst_sel:DWORD dst_unused:UNUSED_PAD src0_sel:BYTE_3 src1_sel:DWORD
                                        ; implicit-def: $vgpr49
	s_and_saveexec_b64 s[40:41], vcc
	s_xor_b64 s[38:39], exec, s[40:41]
	s_cbranch_execz .LBB2_6841
; %bb.6832:                             ;   in Loop: Header=BB2_5898 Depth=3
	v_mov_b32_e32 v49, 0
	v_cmp_ne_u32_e32 vcc, 0, v4
	s_and_saveexec_b64 s[48:49], vcc
	s_cbranch_execz .LBB2_6840
; %bb.6833:                             ;   in Loop: Header=BB2_5898 Depth=3
	v_bfe_u32 v9, v4, 23, 8
	v_cmp_gt_u32_e64 s[40:41], s46, v9
	v_sub_u32_e32 v4, 0x71, v9
	v_cmp_eq_u32_e32 vcc, 0, v9
	v_cndmask_b32_e64 v4, 0, v4, s[40:41]
	v_mov_b32_e32 v39, 0x70
	v_cndmask_b32_e32 v49, v4, v39, vcc
	v_or_b32_e32 v38, 0x800000, v2
	v_add_u32_e32 v4, 21, v49
	v_cndmask_b32_e32 v2, v38, v2, vcc
	v_lshlrev_b64 v[38:39], v4, -1
	v_add_u32_e32 v4, 20, v49
	v_bfi_b32 v38, v38, 0, v2
	v_lshlrev_b64 v[40:41], v4, 1
	v_lshrrev_b64 v[2:3], v49, v[2:3]
	v_bfi_b32 v39, v39, 0, 0
	v_cmp_eq_u64_e64 s[40:41], v[38:39], v[40:41]
	v_mov_b32_e32 v4, v3
	v_mov_b32_e32 v3, v2
	s_and_saveexec_b64 s[50:51], s[40:41]
; %bb.6834:                             ;   in Loop: Header=BB2_5898 Depth=3
	v_bfe_u32 v3, v2, 21, 1
	v_add_co_u32_e64 v3, s[40:41], v2, v3
	v_add_co_u32_e64 v3, s[40:41], -1, v3
; %bb.6835:                             ;   in Loop: Header=BB2_5898 Depth=3
	s_or_b64 exec, exec, s[50:51]
	v_add_u32_e32 v4, 0xffffff81, v9
	v_cndmask_b32_e32 v4, v4, v1, vcc
	v_lshrrev_b32_e32 v9, 23, v2
	v_add3_u32 v49, v49, v4, v9
	v_add_u32_e32 v9, 14, v49
	v_and_b32_e32 v3, 0x1fffff, v3
	v_add_u32_e32 v2, v3, v2
	v_mov_b32_e32 v3, v29
	v_cmp_ne_u32_e32 vcc, 0, v9
                                        ; implicit-def: $vgpr4
	s_and_saveexec_b64 s[40:41], vcc
	s_xor_b64 s[40:41], exec, s[40:41]
; %bb.6836:                             ;   in Loop: Header=BB2_5898 Depth=3
	v_cmp_lt_u64_e32 vcc, s[88:89], v[2:3]
	v_add_u32_e32 v4, 15, v49
	v_cndmask_b32_e32 v4, v9, v4, vcc
	v_cndmask_b32_e64 v9, 0, 1, vcc
	v_lshrrev_b64 v[2:3], v9, v[2:3]
; %bb.6837:                             ;   in Loop: Header=BB2_5898 Depth=3
	s_andn2_saveexec_b64 s[40:41], s[40:41]
; %bb.6838:                             ;   in Loop: Header=BB2_5898 Depth=3
	v_bfe_u32 v4, v2, 23, 1
; %bb.6839:                             ;   in Loop: Header=BB2_5898 Depth=3
	s_or_b64 exec, exec, s[40:41]
	v_lshrrev_b64 v[2:3], 21, v[2:3]
	v_cmp_gt_i32_e32 vcc, 32, v4
	v_cndmask_b32_e32 v3, 0, v3, vcc
	v_cndmask_b32_e32 v2, 3, v2, vcc
	v_cmp_eq_u64_e64 s[40:41], 0, v[2:3]
	v_min_i32_e32 v3, 31, v4
	v_lshlrev_b32_e32 v3, 2, v3
	v_cmp_eq_u32_e32 vcc, 0, v4
	v_and_b32_e32 v3, 0xfc, v3
	v_and_or_b32 v2, v2, 3, v3
	s_and_b64 s[40:41], vcc, s[40:41]
	v_cndmask_b32_e64 v2, v2, 0, s[40:41]
	v_or_b32_e32 v49, v2, v8
.LBB2_6840:                             ;   in Loop: Header=BB2_5898 Depth=3
	s_or_b64 exec, exec, s[48:49]
                                        ; implicit-def: $vgpr8
.LBB2_6841:                             ;   in Loop: Header=BB2_5898 Depth=3
	s_andn2_saveexec_b64 s[40:41], s[38:39]
; %bb.6842:                             ;   in Loop: Header=BB2_5898 Depth=3
	v_or_b32_e32 v49, 0x7b, v8
; %bb.6843:                             ;   in Loop: Header=BB2_5898 Depth=3
	s_or_b64 exec, exec, s[40:41]
                                        ; implicit-def: $vgpr4
                                        ; implicit-def: $vgpr2_vgpr3
.LBB2_6844:                             ;   in Loop: Header=BB2_5898 Depth=3
	s_andn2_saveexec_b64 s[40:41], s[42:43]
	s_cbranch_execz .LBB2_6850
; %bb.6845:                             ;   in Loop: Header=BB2_5898 Depth=3
	v_cmp_ne_u64_e32 vcc, 0, v[2:3]
                                        ; implicit-def: $vgpr49
	s_and_saveexec_b64 s[42:43], vcc
	s_xor_b64 s[42:43], exec, s[42:43]
; %bb.6846:                             ;   in Loop: Header=BB2_5898 Depth=3
	v_or_b32_sdwa v49, v4, s47 dst_sel:DWORD dst_unused:UNUSED_PAD src0_sel:BYTE_3 src1_sel:DWORD
                                        ; implicit-def: $vgpr4
; %bb.6847:                             ;   in Loop: Header=BB2_5898 Depth=3
	s_andn2_saveexec_b64 s[42:43], s[42:43]
; %bb.6848:                             ;   in Loop: Header=BB2_5898 Depth=3
	v_cmp_lt_i32_e32 vcc, -1, v4
	v_cndmask_b32_e32 v49, v6, v22, vcc
; %bb.6849:                             ;   in Loop: Header=BB2_5898 Depth=3
	s_or_b64 exec, exec, s[42:43]
.LBB2_6850:                             ;   in Loop: Header=BB2_5898 Depth=3
	s_or_b64 exec, exec, s[40:41]
	v_cmp_lt_u32_e32 vcc, s57, v28
	v_mov_b32_e32 v3, 0
	s_and_saveexec_b64 s[40:41], vcc
	s_cbranch_execz .LBB2_6858
; %bb.6851:                             ;   in Loop: Header=BB2_5898 Depth=3
	v_lshrrev_b32_e32 v2, 24, v28
	v_cmp_ne_u32_e32 vcc, s96, v2
	v_bfrev_b32_e32 v3, 1
	s_and_saveexec_b64 s[42:43], vcc
	s_cbranch_execz .LBB2_6857
; %bb.6852:                             ;   in Loop: Header=BB2_5898 Depth=3
	v_and_b32_e32 v3, 0x7c000000, v28
	v_bfe_u32 v4, v28, 24, 2
	v_cmp_ne_u32_e32 vcc, s45, v3
                                        ; implicit-def: $vgpr3
	s_and_saveexec_b64 s[38:39], vcc
	s_xor_b64 s[38:39], exec, s[38:39]
	s_cbranch_execz .LBB2_6854
; %bb.6853:                             ;   in Loop: Header=BB2_5898 Depth=3
	v_ffbh_u32_e32 v3, v4
	v_min_u32_e32 v9, 32, v3
	v_subrev_u32_e32 v3, 29, v9
	v_lshlrev_b64 v[2:3], v3, v[2:3]
	v_bfe_u32 v8, v28, 26, 5
	v_sub_u32_e32 v3, 30, v9
	v_and_b32_e32 v2, 3, v2
	v_cmp_eq_u32_e32 vcc, 0, v8
	v_cndmask_b32_e32 v3, v8, v3, vcc
	v_cndmask_b32_e32 v2, v4, v2, vcc
	v_and_b32_e32 v4, 0x80000000, v28
	v_lshl_add_u32 v3, v3, 23, v4
	v_lshl_or_b32 v2, v2, 21, v3
	v_add_u32_e32 v3, 0x38000000, v2
                                        ; implicit-def: $vgpr4
.LBB2_6854:                             ;   in Loop: Header=BB2_5898 Depth=3
	s_andn2_saveexec_b64 s[38:39], s[38:39]
; %bb.6855:                             ;   in Loop: Header=BB2_5898 Depth=3
	v_cmp_lt_i32_e32 vcc, -1, v28
	v_cndmask_b32_e32 v2, v7, v0, vcc
	v_cmp_eq_u32_e32 vcc, 0, v4
	v_cndmask_b32_e32 v3, v35, v2, vcc
; %bb.6856:                             ;   in Loop: Header=BB2_5898 Depth=3
	s_or_b64 exec, exec, s[38:39]
.LBB2_6857:                             ;   in Loop: Header=BB2_5898 Depth=3
	s_or_b64 exec, exec, s[42:43]
.LBB2_6858:                             ;   in Loop: Header=BB2_5898 Depth=3
	s_or_b64 exec, exec, s[40:41]
	v_bfe_u32 v4, v11, 24, 2
	v_and_b32_e32 v8, 0x7c000000, v11
	v_cmp_eq_u32_e32 vcc, s45, v8
	v_ffbh_u32_e32 v8, v4
	v_min_u32_e32 v38, 32, v8
	v_lshrrev_b32_e32 v2, 24, v11
	v_subrev_u32_e32 v8, 29, v38
	v_bfe_u32 v28, v11, 26, 5
	v_lshlrev_b64 v[8:9], v8, v[2:3]
	v_cmp_eq_u32_e64 s[40:41], 0, v28
	v_sub_u32_e32 v9, 30, v38
	v_and_b32_e32 v8, 3, v8
	v_cndmask_b32_e64 v9, v28, v9, s[40:41]
	v_and_b32_e32 v28, 0x80000000, v11
	v_cmp_lt_i64_e64 s[42:43], -1, v[10:11]
	v_cndmask_b32_e64 v8, v4, v8, s[40:41]
	v_lshl_add_u32 v9, v9, 23, v28
	v_lshl_or_b32 v8, v8, 21, v9
	v_cmp_eq_u32_e64 s[40:41], 0, v4
	v_cndmask_b32_e64 v4, v7, v0, s[42:43]
	v_add_u32_e32 v8, 0x38000000, v8
	v_cndmask_b32_e64 v4, v35, v4, s[40:41]
	v_cndmask_b32_e32 v4, v8, v4, vcc
	v_cmp_ne_u32_e32 vcc, s96, v2
	v_bfrev_b32_e32 v2, 1
	v_cndmask_b32_e32 v2, v2, v4, vcc
	v_cmp_lt_u64_e32 vcc, s[56:57], v[10:11]
	v_mov_b32_e32 v9, v29
	v_cndmask_b32_e32 v2, 0, v2, vcc
	v_add_f32_e32 v3, v2, v3
	v_and_b32_e32 v8, 0x7f800000, v3
	v_cmp_ne_u64_e32 vcc, s[76:77], v[8:9]
	v_and_b32_e32 v28, 0x7fffff, v3
                                        ; implicit-def: $vgpr2
	s_and_saveexec_b64 s[40:41], vcc
	s_xor_b64 s[42:43], exec, s[40:41]
	s_cbranch_execz .LBB2_6872
; %bb.6859:                             ;   in Loop: Header=BB2_5898 Depth=3
	v_and_b32_e32 v8, 0x7fffffff, v3
	v_mov_b32_e32 v9, v29
	v_cmp_gt_u64_e32 vcc, s[78:79], v[8:9]
	v_and_b32_sdwa v8, v3, s96 dst_sel:DWORD dst_unused:UNUSED_PAD src0_sel:BYTE_3 src1_sel:DWORD
                                        ; implicit-def: $vgpr2
	s_and_saveexec_b64 s[40:41], vcc
	s_xor_b64 s[38:39], exec, s[40:41]
	s_cbranch_execz .LBB2_6869
; %bb.6860:                             ;   in Loop: Header=BB2_5898 Depth=3
	v_mov_b32_e32 v2, 0
	v_cmp_ne_u32_e32 vcc, 0, v3
	s_and_saveexec_b64 s[48:49], vcc
	s_cbranch_execz .LBB2_6868
; %bb.6861:                             ;   in Loop: Header=BB2_5898 Depth=3
	v_bfe_u32 v9, v3, 23, 8
	v_cmp_gt_u32_e64 s[40:41], s46, v9
	v_sub_u32_e32 v2, 0x71, v9
	v_cmp_eq_u32_e32 vcc, 0, v9
	v_cndmask_b32_e64 v2, 0, v2, s[40:41]
	v_mov_b32_e32 v4, 0x70
	v_cndmask_b32_e32 v10, v2, v4, vcc
	v_add_u32_e32 v4, 21, v10
	v_or_b32_e32 v3, 0x800000, v28
	v_lshlrev_b64 v[38:39], v4, -1
	v_cndmask_b32_e32 v2, v3, v28, vcc
	v_mov_b32_e32 v3, v29
	v_add_u32_e32 v4, 20, v10
	v_bfi_b32 v38, v38, 0, v2
	v_lshlrev_b64 v[40:41], v4, 1
	v_lshrrev_b64 v[2:3], v10, v[2:3]
	v_bfi_b32 v39, v39, 0, 0
	v_cmp_eq_u64_e64 s[40:41], v[38:39], v[40:41]
	v_mov_b32_e32 v4, v3
	v_mov_b32_e32 v3, v2
	s_and_saveexec_b64 s[50:51], s[40:41]
; %bb.6862:                             ;   in Loop: Header=BB2_5898 Depth=3
	v_bfe_u32 v3, v2, 21, 1
	v_add_co_u32_e64 v3, s[40:41], v2, v3
	v_add_co_u32_e64 v3, s[40:41], -1, v3
; %bb.6863:                             ;   in Loop: Header=BB2_5898 Depth=3
	s_or_b64 exec, exec, s[50:51]
	v_add_u32_e32 v4, 0xffffff81, v9
	v_cndmask_b32_e32 v4, v4, v1, vcc
	v_lshrrev_b32_e32 v9, 23, v2
	v_add3_u32 v10, v10, v4, v9
	v_add_u32_e32 v9, 14, v10
	v_and_b32_e32 v3, 0x1fffff, v3
	v_add_u32_e32 v28, v3, v2
	v_cmp_ne_u32_e32 vcc, 0, v9
                                        ; implicit-def: $vgpr2_vgpr3
                                        ; implicit-def: $vgpr4
	s_and_saveexec_b64 s[40:41], vcc
	s_xor_b64 s[40:41], exec, s[40:41]
; %bb.6864:                             ;   in Loop: Header=BB2_5898 Depth=3
	v_cmp_lt_u64_e32 vcc, s[88:89], v[28:29]
	v_add_u32_e32 v2, 15, v10
	v_cndmask_b32_e32 v4, v9, v2, vcc
	v_cndmask_b32_e64 v2, 0, 1, vcc
	v_lshrrev_b64 v[2:3], v2, v[28:29]
; %bb.6865:                             ;   in Loop: Header=BB2_5898 Depth=3
	s_andn2_saveexec_b64 s[40:41], s[40:41]
; %bb.6866:                             ;   in Loop: Header=BB2_5898 Depth=3
	v_mov_b32_e32 v2, v28
	v_mov_b32_e32 v3, v29
	v_bfe_u32 v4, v28, 23, 1
; %bb.6867:                             ;   in Loop: Header=BB2_5898 Depth=3
	s_or_b64 exec, exec, s[40:41]
	v_lshrrev_b64 v[2:3], 21, v[2:3]
	v_cmp_gt_i32_e32 vcc, 32, v4
	v_cndmask_b32_e32 v3, 0, v3, vcc
	v_cndmask_b32_e32 v2, 3, v2, vcc
	v_cmp_eq_u64_e64 s[40:41], 0, v[2:3]
	v_min_i32_e32 v3, 31, v4
	v_lshlrev_b32_e32 v3, 2, v3
	v_cmp_eq_u32_e32 vcc, 0, v4
	v_and_b32_e32 v3, 0xfc, v3
	v_and_or_b32 v2, v2, 3, v3
	s_and_b64 s[40:41], vcc, s[40:41]
	v_cndmask_b32_e64 v2, v2, 0, s[40:41]
	v_or_b32_e32 v2, v2, v8
.LBB2_6868:                             ;   in Loop: Header=BB2_5898 Depth=3
	s_or_b64 exec, exec, s[48:49]
                                        ; implicit-def: $vgpr8
.LBB2_6869:                             ;   in Loop: Header=BB2_5898 Depth=3
	s_andn2_saveexec_b64 s[40:41], s[38:39]
; %bb.6870:                             ;   in Loop: Header=BB2_5898 Depth=3
	v_or_b32_e32 v2, 0x7b, v8
; %bb.6871:                             ;   in Loop: Header=BB2_5898 Depth=3
	s_or_b64 exec, exec, s[40:41]
                                        ; implicit-def: $vgpr3
.LBB2_6872:                             ;   in Loop: Header=BB2_5898 Depth=3
	s_andn2_saveexec_b64 s[40:41], s[42:43]
	s_cbranch_execz .LBB2_6878
; %bb.6873:                             ;   in Loop: Header=BB2_5898 Depth=3
	v_cmp_ne_u64_e32 vcc, 0, v[28:29]
                                        ; implicit-def: $vgpr2
	s_and_saveexec_b64 s[42:43], vcc
	s_xor_b64 s[42:43], exec, s[42:43]
; %bb.6874:                             ;   in Loop: Header=BB2_5898 Depth=3
	v_or_b32_sdwa v2, v3, s47 dst_sel:DWORD dst_unused:UNUSED_PAD src0_sel:BYTE_3 src1_sel:DWORD
                                        ; implicit-def: $vgpr3
; %bb.6875:                             ;   in Loop: Header=BB2_5898 Depth=3
	s_andn2_saveexec_b64 s[42:43], s[42:43]
; %bb.6876:                             ;   in Loop: Header=BB2_5898 Depth=3
	v_cmp_lt_i32_e32 vcc, -1, v3
	v_cndmask_b32_e32 v2, v6, v22, vcc
; %bb.6877:                             ;   in Loop: Header=BB2_5898 Depth=3
	s_or_b64 exec, exec, s[42:43]
.LBB2_6878:                             ;   in Loop: Header=BB2_5898 Depth=3
	s_or_b64 exec, exec, s[40:41]
	v_lshl_or_b32 v3, v15, 8, v14
	v_lshlrev_b32_e32 v4, 16, v30
	v_lshlrev_b32_e32 v8, 24, v31
	v_or3_b32 v9, v3, v4, v8
	v_lshl_or_b32 v3, v51, 8, v23
	v_lshlrev_b32_e32 v4, 16, v54
	v_lshlrev_b32_e32 v8, 24, v61
	v_or3_b32 v8, v3, v4, v8
	;; [unrolled: 4-line block ×3, first 2 shown]
	v_lshlrev_b32_e32 v2, 24, v2
	v_lshlrev_b32_e32 v3, 16, v49
	v_lshl_or_b32 v4, v37, 8, v5
	v_or3_b32 v11, v4, v3, v2
	s_mov_b64 s[48:49], 0
	s_mov_b64 s[38:39], -1
.LBB2_6879:                             ;   Parent Loop BB2_47 Depth=1
                                        ;     Parent Loop BB2_4813 Depth=2
                                        ;       Parent Loop BB2_5898 Depth=3
                                        ; =>      This Inner Loop Header: Depth=4
	s_cmp_eq_u32 s48, 1
	s_cselect_b64 s[40:41], -1, 0
	v_cndmask_b32_e64 v3, v46, v56, s[40:41]
	v_cndmask_b32_e64 v2, v55, v47, s[40:41]
	global_store_dwordx4 v[2:3], v[8:11], off glc slc
	v_add_co_u32_e32 v2, vcc, 0x400, v2
	s_cmp_eq_u32 s48, 0
	v_addc_co_u32_e32 v3, vcc, 0, v3, vcc
	s_cselect_b64 vcc, -1, 0
	s_and_b64 s[42:43], exec, s[38:39]
	s_mov_b64 s[48:49], 1
	v_cndmask_b32_e64 v47, v47, v2, s[40:41]
	s_mov_b64 s[38:39], 0
	v_cndmask_b32_e64 v56, v56, v3, s[40:41]
	v_cndmask_b32_e32 v46, v46, v3, vcc
	v_cndmask_b32_e32 v55, v55, v2, vcc
	s_mov_b64 vcc, s[42:43]
	s_cbranch_vccnz .LBB2_6879
; %bb.6880:                             ;   in Loop: Header=BB2_5898 Depth=3
	buffer_load_dword v2, off, s[0:3], s33 offset:76 ; 4-byte Folded Reload
	buffer_load_dword v3, off, s[0:3], s33 offset:80 ; 4-byte Folded Reload
	v_sub_u32_e32 v32, v32, v36
	s_waitcnt vmcnt(1)
	v_add_co_u32_e32 v42, vcc, v42, v2
	s_waitcnt vmcnt(0)
	v_addc_co_u32_e32 v43, vcc, v43, v3, vcc
	v_add_co_u32_e32 v44, vcc, v44, v2
	buffer_load_dword v2, off, s[0:3], s33 offset:68 ; 4-byte Folded Reload
	v_addc_co_u32_e32 v45, vcc, v45, v3, vcc
	buffer_load_dword v3, off, s[0:3], s33 offset:72 ; 4-byte Folded Reload
	s_waitcnt vmcnt(1)
	v_add_co_u32_e32 v55, vcc, v55, v2
	s_waitcnt vmcnt(0)
	v_addc_co_u32_e32 v46, vcc, v46, v3, vcc
	v_add_co_u32_e32 v47, vcc, v47, v2
	buffer_load_dword v2, off, s[0:3], s33 offset:56 ; 4-byte Folded Reload
	v_addc_co_u32_e32 v56, vcc, v56, v3, vcc
	s_waitcnt vmcnt(0)
	v_sub_u32_e32 v33, v33, v2
	v_cmp_gt_i32_e32 vcc, 16, v33
	s_or_b64 s[36:37], vcc, s[36:37]
	s_andn2_b64 exec, exec, s[36:37]
	s_cbranch_execnz .LBB2_5898
	s_branch .LBB2_6901
.LBB2_6881:                             ;   in Loop: Header=BB2_5898 Depth=3
	s_or_saveexec_b64 s[42:43], s[42:43]
	v_bfrev_b32_e32 v3, 1
	s_xor_b64 exec, exec, s[42:43]
	s_cbranch_execz .LBB2_6366
.LBB2_6882:                             ;   in Loop: Header=BB2_5898 Depth=3
	v_cmp_ne_u16_sdwa vcc, v8, v29 src0_sel:BYTE_0 src1_sel:DWORD
	s_andn2_b64 s[40:41], s[40:41], exec
	s_and_b64 vcc, vcc, exec
	v_mov_b32_e32 v3, 0
	s_or_b64 s[40:41], s[40:41], vcc
	s_or_b64 exec, exec, s[42:43]
	s_and_saveexec_b64 s[38:39], s[40:41]
	s_cbranch_execnz .LBB2_6367
	s_branch .LBB2_6368
.LBB2_6883:                             ;   in Loop: Header=BB2_5898 Depth=3
	s_or_saveexec_b64 s[42:43], s[42:43]
	v_bfrev_b32_e32 v3, 1
	s_xor_b64 exec, exec, s[42:43]
	s_cbranch_execz .LBB2_6400
.LBB2_6884:                             ;   in Loop: Header=BB2_5898 Depth=3
	v_cmp_ne_u16_e32 vcc, 0, v2
	s_andn2_b64 s[40:41], s[40:41], exec
	s_and_b64 vcc, vcc, exec
	v_mov_b32_e32 v3, 0
	s_or_b64 s[40:41], s[40:41], vcc
	s_or_b64 exec, exec, s[42:43]
	s_and_saveexec_b64 s[38:39], s[40:41]
	s_cbranch_execnz .LBB2_6401
	s_branch .LBB2_6402
.LBB2_6885:                             ;   in Loop: Header=BB2_5898 Depth=3
	s_or_saveexec_b64 s[42:43], s[42:43]
	v_bfrev_b32_e32 v4, 1
	s_xor_b64 exec, exec, s[42:43]
	s_cbranch_execz .LBB2_6434
.LBB2_6886:                             ;   in Loop: Header=BB2_5898 Depth=3
	v_cmp_ne_u16_sdwa vcc, v2, v29 src0_sel:BYTE_0 src1_sel:DWORD
	s_andn2_b64 s[40:41], s[40:41], exec
	s_and_b64 vcc, vcc, exec
	v_mov_b32_e32 v4, 0
	s_or_b64 s[40:41], s[40:41], vcc
	s_or_b64 exec, exec, s[42:43]
	s_and_saveexec_b64 s[38:39], s[40:41]
	s_cbranch_execnz .LBB2_6435
	s_branch .LBB2_6436
.LBB2_6887:                             ;   in Loop: Header=BB2_5898 Depth=3
	s_or_saveexec_b64 s[42:43], s[42:43]
	v_bfrev_b32_e32 v3, 1
	s_xor_b64 exec, exec, s[42:43]
	s_cbranch_execz .LBB2_6532
.LBB2_6888:                             ;   in Loop: Header=BB2_5898 Depth=3
	v_cmp_ne_u16_e32 vcc, 0, v2
	s_andn2_b64 s[40:41], s[40:41], exec
	s_and_b64 vcc, vcc, exec
	v_mov_b32_e32 v3, 0
	s_or_b64 s[40:41], s[40:41], vcc
	s_or_b64 exec, exec, s[42:43]
	s_and_saveexec_b64 s[38:39], s[40:41]
	s_cbranch_execnz .LBB2_6533
	s_branch .LBB2_6534
.LBB2_6889:                             ;   in Loop: Header=BB2_5898 Depth=3
	s_or_saveexec_b64 s[42:43], s[42:43]
	v_bfrev_b32_e32 v4, 1
	s_xor_b64 exec, exec, s[42:43]
	s_cbranch_execz .LBB2_6566
.LBB2_6890:                             ;   in Loop: Header=BB2_5898 Depth=3
	v_cmp_ne_u16_sdwa vcc, v2, v29 src0_sel:BYTE_0 src1_sel:DWORD
	s_andn2_b64 s[40:41], s[40:41], exec
	s_and_b64 vcc, vcc, exec
	v_mov_b32_e32 v4, 0
	s_or_b64 s[40:41], s[40:41], vcc
	s_or_b64 exec, exec, s[42:43]
	s_and_saveexec_b64 s[38:39], s[40:41]
	s_cbranch_execnz .LBB2_6567
	s_branch .LBB2_6568
.LBB2_6891:                             ;   in Loop: Header=BB2_5898 Depth=3
	s_or_saveexec_b64 s[42:43], s[42:43]
	v_bfrev_b32_e32 v3, 1
	s_xor_b64 exec, exec, s[42:43]
	s_cbranch_execz .LBB2_6628
.LBB2_6892:                             ;   in Loop: Header=BB2_5898 Depth=3
	v_cmp_ne_u16_sdwa vcc, v10, v29 src0_sel:BYTE_0 src1_sel:DWORD
	s_andn2_b64 s[40:41], s[40:41], exec
	s_and_b64 vcc, vcc, exec
	v_mov_b32_e32 v3, 0
	s_or_b64 s[40:41], s[40:41], vcc
	s_or_b64 exec, exec, s[42:43]
	s_and_saveexec_b64 s[38:39], s[40:41]
	s_cbranch_execnz .LBB2_6629
	s_branch .LBB2_6630
.LBB2_6893:                             ;   in Loop: Header=BB2_5898 Depth=3
	s_or_saveexec_b64 s[42:43], s[42:43]
	v_bfrev_b32_e32 v3, 1
	s_xor_b64 exec, exec, s[42:43]
	s_cbranch_execz .LBB2_6662
.LBB2_6894:                             ;   in Loop: Header=BB2_5898 Depth=3
	v_cmp_ne_u16_e32 vcc, 0, v2
	s_andn2_b64 s[40:41], s[40:41], exec
	s_and_b64 vcc, vcc, exec
	v_mov_b32_e32 v3, 0
	s_or_b64 s[40:41], s[40:41], vcc
	s_or_b64 exec, exec, s[42:43]
	s_and_saveexec_b64 s[38:39], s[40:41]
	s_cbranch_execnz .LBB2_6663
	s_branch .LBB2_6664
.LBB2_6895:                             ;   in Loop: Header=BB2_5898 Depth=3
	s_or_saveexec_b64 s[42:43], s[42:43]
	v_bfrev_b32_e32 v4, 1
	s_xor_b64 exec, exec, s[42:43]
	s_cbranch_execz .LBB2_6696
.LBB2_6896:                             ;   in Loop: Header=BB2_5898 Depth=3
	v_cmp_ne_u16_sdwa vcc, v2, v29 src0_sel:BYTE_0 src1_sel:DWORD
	s_andn2_b64 s[40:41], s[40:41], exec
	s_and_b64 vcc, vcc, exec
	v_mov_b32_e32 v4, 0
	s_or_b64 s[40:41], s[40:41], vcc
	s_or_b64 exec, exec, s[42:43]
	s_and_saveexec_b64 s[38:39], s[40:41]
	s_cbranch_execnz .LBB2_6697
	s_branch .LBB2_6698
.LBB2_6897:                             ;   in Loop: Header=BB2_5898 Depth=3
	s_or_saveexec_b64 s[42:43], s[42:43]
	v_bfrev_b32_e32 v3, 1
	s_xor_b64 exec, exec, s[42:43]
	s_cbranch_execz .LBB2_6794
.LBB2_6898:                             ;   in Loop: Header=BB2_5898 Depth=3
	v_cmp_ne_u16_e32 vcc, 0, v2
	s_andn2_b64 s[40:41], s[40:41], exec
	s_and_b64 vcc, vcc, exec
	v_mov_b32_e32 v3, 0
	s_or_b64 s[40:41], s[40:41], vcc
	s_or_b64 exec, exec, s[42:43]
	s_and_saveexec_b64 s[38:39], s[40:41]
	s_cbranch_execnz .LBB2_6795
	s_branch .LBB2_6796
.LBB2_6899:                             ;   in Loop: Header=BB2_5898 Depth=3
	s_or_saveexec_b64 s[42:43], s[42:43]
	v_bfrev_b32_e32 v4, 1
	s_xor_b64 exec, exec, s[42:43]
	s_cbranch_execz .LBB2_6828
.LBB2_6900:                             ;   in Loop: Header=BB2_5898 Depth=3
	v_cmp_ne_u16_sdwa vcc, v2, v29 src0_sel:BYTE_0 src1_sel:DWORD
	s_andn2_b64 s[40:41], s[40:41], exec
	s_and_b64 vcc, vcc, exec
	v_mov_b32_e32 v4, 0
	s_or_b64 s[40:41], s[40:41], vcc
	s_or_b64 exec, exec, s[42:43]
	s_and_saveexec_b64 s[38:39], s[40:41]
	s_cbranch_execnz .LBB2_6829
	s_branch .LBB2_6830
.LBB2_6901:                             ;   in Loop: Header=BB2_4813 Depth=2
	s_or_b64 exec, exec, s[36:37]
	buffer_load_dword v41, off, s[0:3], s33 offset:188 ; 4-byte Folded Reload
	buffer_load_dword v42, off, s[0:3], s33 offset:192 ; 4-byte Folded Reload
	;; [unrolled: 1-line block ×10, first 2 shown]
.LBB2_6902:                             ;   in Loop: Header=BB2_4813 Depth=2
	s_or_b64 exec, exec, s[34:35]
	v_and_b32_e32 v2, 15, v16
	v_cmp_lt_i32_e32 vcc, 0, v32
	s_waitcnt vmcnt(0)
	v_sub_u32_e32 v3, v15, v2
	v_cndmask_b32_e64 v51, v15, v2, s[28:29]
	v_cndmask_b32_e32 v2, 0, v36, vcc
	v_cndmask_b32_e64 v3, 0, v3, s[28:29]
	v_sub_u32_e32 v2, v2, v32
	v_cmp_ne_u32_e32 vcc, 0, v51
	v_add3_u32 v37, v14, v8, v3
	v_lshl_add_u32 v52, v2, 6, v9
	s_and_b64 s[40:41], vcc, exec
.LBB2_6903:                             ;   in Loop: Header=BB2_4813 Depth=2
	s_or_b64 exec, exec, s[30:31]
	s_and_saveexec_b64 s[42:43], s[40:41]
	s_cbranch_execz .LBB2_7574
.LBB2_6904:                             ;   in Loop: Header=BB2_4813 Depth=2
	s_waitcnt vmcnt(0)
	v_ashrrev_i32_e32 v2, 31, v52
	v_ashrrev_i32_e32 v3, 31, v51
	v_lshrrev_b32_e32 v2, 26, v2
	v_lshrrev_b32_e32 v3, 23, v3
	v_add_u32_e32 v2, v52, v2
	v_add_u32_e32 v3, v51, v3
	v_ashrrev_i32_e32 v23, 6, v2
	v_ashrrev_i32_e32 v54, 9, v3
	v_sub_u32_e32 v53, v54, v23
	v_cmp_lt_i32_e32 vcc, 0, v53
	s_and_saveexec_b64 s[40:41], vcc
	s_cbranch_execz .LBB2_7490
; %bb.6905:                             ;   in Loop: Header=BB2_4813 Depth=2
	v_and_b32_e32 v2, 0xffffffc0, v2
	v_sub_u32_e32 v2, v52, v2
	v_lshlrev_b32_e32 v3, 9, v23
	v_add3_u32 v4, v37, v2, v3
	v_add_co_u32_e32 v8, vcc, v4, v41
	buffer_store_dword v41, off, s[0:3], s33 offset:188 ; 4-byte Folded Spill
	s_nop 0
	buffer_store_dword v42, off, s[0:3], s33 offset:192 ; 4-byte Folded Spill
	v_ashrrev_i32_e32 v5, 31, v4
	s_trap 2
	ds_read_b64 v[2:3], v0
	s_mov_b64 s[30:31], 0
	v_addc_co_u32_e32 v9, vcc, v5, v42, vcc
	v_add_co_u32_e32 v10, vcc, v4, v10
	v_addc_co_u32_e32 v11, vcc, v5, v11, vcc
	v_add_co_u32_e32 v40, vcc, v4, v43
	buffer_store_dword v43, off, s[0:3], s33 offset:196 ; 4-byte Folded Spill
	s_nop 0
	buffer_store_dword v44, off, s[0:3], s33 offset:200 ; 4-byte Folded Spill
	v_addc_co_u32_e32 v41, vcc, v5, v44, vcc
	s_waitcnt lgkmcnt(0)
	v_add_co_u32_e32 v42, vcc, v2, v4
	v_addc_co_u32_e32 v43, vcc, v3, v5, vcc
	s_branch .LBB2_6908
.LBB2_6906:                             ;   in Loop: Header=BB2_6908 Depth=3
	s_or_b64 exec, exec, s[34:35]
.LBB2_6907:                             ;   in Loop: Header=BB2_6908 Depth=3
	s_or_b64 exec, exec, s[28:29]
	flat_store_byte v[8:9], v18 glc slc
	flat_store_byte v[8:9], v5 offset:64 glc slc
	flat_store_byte v[8:9], v33 offset:128 glc slc
	flat_store_byte v[8:9], v32 offset:192 glc slc
	flat_store_byte v[8:9], v14 offset:256 glc slc
	flat_store_byte v[8:9], v15 offset:320 glc slc
	flat_store_byte v[8:9], v16 offset:384 glc slc
	flat_store_byte v[8:9], v3 offset:448 glc slc
	flat_store_byte v[10:11], v18 glc slc
	flat_store_byte v[10:11], v5 offset:64 glc slc
	flat_store_byte v[10:11], v33 offset:128 glc slc
	;; [unrolled: 1-line block ×7, first 2 shown]
	buffer_load_dword v2, off, s[0:3], s33 offset:60 ; 4-byte Folded Reload
	v_sub_u32_e32 v53, v53, v36
	s_waitcnt vmcnt(0)
	v_add_co_u32_e32 v40, vcc, v40, v2
	v_addc_co_u32_e32 v41, vcc, 0, v41, vcc
	v_add_co_u32_e32 v42, vcc, v42, v2
	v_addc_co_u32_e32 v43, vcc, 0, v43, vcc
	;; [unrolled: 2-line block ×3, first 2 shown]
	v_cmp_gt_i32_e32 vcc, 1, v53
	s_or_b64 s[30:31], vcc, s[30:31]
	v_add_co_u32_e32 v10, vcc, v10, v2
	v_addc_co_u32_e32 v11, vcc, 0, v11, vcc
	s_andn2_b64 exec, exec, s[30:31]
	s_cbranch_execz .LBB2_7489
.LBB2_6908:                             ;   Parent Loop BB2_47 Depth=1
                                        ;     Parent Loop BB2_4813 Depth=2
                                        ; =>    This Inner Loop Header: Depth=3
	s_trap 2
	ds_read_b64 v[2:3], v0
	v_mov_b32_e32 v5, 0
	s_waitcnt lgkmcnt(0)
	v_cmp_eq_u32_sdwa vcc, v2, v29 src0_sel:BYTE_0 src1_sel:DWORD
	v_readfirstlane_b32 s28, v2
	v_readfirstlane_b32 s29, v3
	v_mov_b32_e32 v3, 0
	s_and_b64 vcc, exec, vcc
	s_cbranch_vccnz .LBB2_6914
; %bb.6909:                             ;   in Loop: Header=BB2_6908 Depth=3
	s_bfe_i32 s34, s28, 0x80000
	s_and_b32 vcc_lo, 0xffff, s34
	s_cmpk_eq_u32 vcc_lo, 0xff80
	v_bfrev_b32_e32 v5, 1
	s_cbranch_scc1 .LBB2_6914
; %bb.6910:                             ;   in Loop: Header=BB2_6908 Depth=3
	s_and_b32 s35, s28, 3
	s_and_b32 vcc_lo, s28, 0x7c
	s_cmpk_lg_i32 vcc_lo, 0x7c
	s_mov_b64 vcc, -1
                                        ; implicit-def: $sgpr36
	s_cbranch_scc0 .LBB2_6912
; %bb.6911:                             ;   in Loop: Header=BB2_6908 Depth=3
	s_flbit_i32_b32 vcc_hi, s35
	s_min_u32 vcc_hi, vcc_hi, 32
	s_sub_i32 s36, vcc_hi, 29
	s_bfe_u32 vcc_lo, s28, 0x50002
	s_lshl_b64 s[28:29], s[28:29], s36
	s_sub_i32 s29, 30, vcc_hi
	s_and_b32 s28, s28, 3
	s_cmp_eq_u32 vcc_lo, 0
	s_cselect_b32 s29, s29, vcc_lo
	s_sext_i32_i16 vcc_lo, s34
	s_cselect_b32 s28, s28, s35
	s_and_b32 vcc_lo, vcc_lo, 0x80000000
	s_lshl_b32 s29, s29, 23
	s_add_i32 s29, s29, vcc_lo
	s_lshl_b32 s28, s28, 21
	s_or_b32 s28, s29, s28
	s_add_i32 s36, s28, 0x38000000
	s_mov_b64 vcc, 0
.LBB2_6912:                             ;   in Loop: Header=BB2_6908 Depth=3
	s_andn2_b64 vcc, exec, vcc
	v_mov_b32_e32 v5, s36
	s_cbranch_vccnz .LBB2_6914
; %bb.6913:                             ;   in Loop: Header=BB2_6908 Depth=3
	s_cmp_eq_u32 s35, 0
	s_sext_i32_i16 s28, s34
	s_cselect_b64 vcc, -1, 0
	s_cmp_gt_i32 s28, -1
	s_cselect_b64 s[28:29], -1, 0
	v_cndmask_b32_e64 v2, v7, v0, s[28:29]
	v_cndmask_b32_e32 v5, v35, v2, vcc
.LBB2_6914:                             ;   in Loop: Header=BB2_6908 Depth=3
	flat_load_sbyte v2, v[40:41] glc slc
	s_waitcnt vmcnt(0) lgkmcnt(0)
	v_cmp_ne_u16_e32 vcc, 0, v2
	s_and_saveexec_b64 s[28:29], vcc
	s_cbranch_execz .LBB2_6922
; %bb.6915:                             ;   in Loop: Header=BB2_6908 Depth=3
	v_cmp_ne_u16_e32 vcc, s97, v2
	v_bfrev_b32_e32 v3, 1
	s_and_saveexec_b64 s[34:35], vcc
	s_cbranch_execz .LBB2_6921
; %bb.6916:                             ;   in Loop: Header=BB2_6908 Depth=3
	v_and_b32_e32 v3, 0x7c, v2
	v_and_b32_e32 v4, 3, v2
	v_cmp_ne_u32_e32 vcc, s85, v3
                                        ; implicit-def: $vgpr3
	s_and_saveexec_b64 s[36:37], vcc
	s_xor_b64 s[36:37], exec, s[36:37]
	s_cbranch_execz .LBB2_6918
; %bb.6917:                             ;   in Loop: Header=BB2_6908 Depth=3
	v_and_b32_e32 v14, 0xff, v2
	v_bfe_u32 v16, v14, 2, 5
	v_ffbh_u32_e32 v14, v4
	v_min_u32_e32 v17, 32, v14
	v_mov_b32_e32 v3, v29
	v_subrev_u32_e32 v14, 29, v17
	v_lshlrev_b64 v[14:15], v14, v[2:3]
	v_sub_u32_e32 v3, 30, v17
	v_cmp_eq_u32_e32 vcc, 0, v16
	v_and_b32_e32 v14, 3, v14
	v_cndmask_b32_e32 v3, v16, v3, vcc
	v_and_b32_sdwa v2, sext(v2), s86 dst_sel:DWORD dst_unused:UNUSED_PAD src0_sel:WORD_0 src1_sel:DWORD
	v_cndmask_b32_e32 v4, v4, v14, vcc
	v_lshl_add_u32 v2, v3, 23, v2
	v_lshl_or_b32 v2, v4, 21, v2
	v_add_u32_e32 v3, 0x38000000, v2
                                        ; implicit-def: $vgpr4
                                        ; implicit-def: $vgpr2
.LBB2_6918:                             ;   in Loop: Header=BB2_6908 Depth=3
	s_andn2_saveexec_b64 s[36:37], s[36:37]
; %bb.6919:                             ;   in Loop: Header=BB2_6908 Depth=3
	v_cmp_lt_i16_e32 vcc, -1, v2
	v_cndmask_b32_e32 v2, v7, v0, vcc
	v_cmp_eq_u32_e32 vcc, 0, v4
	v_cndmask_b32_e32 v3, v35, v2, vcc
; %bb.6920:                             ;   in Loop: Header=BB2_6908 Depth=3
	s_or_b64 exec, exec, s[36:37]
.LBB2_6921:                             ;   in Loop: Header=BB2_6908 Depth=3
	s_or_b64 exec, exec, s[34:35]
.LBB2_6922:                             ;   in Loop: Header=BB2_6908 Depth=3
	s_or_b64 exec, exec, s[28:29]
	v_mul_f32_e32 v2, v5, v3
	v_and_b32_e32 v3, 0x7f800000, v2
	v_mov_b32_e32 v4, v29
	v_cmp_ne_u64_e32 vcc, s[76:77], v[3:4]
	v_and_b32_e32 v28, 0x7fffff, v2
                                        ; implicit-def: $vgpr17
	s_and_saveexec_b64 s[28:29], vcc
	s_xor_b64 s[34:35], exec, s[28:29]
	s_cbranch_execz .LBB2_6940
; %bb.6923:                             ;   in Loop: Header=BB2_6908 Depth=3
	v_and_b32_e32 v3, 0x7fffffff, v2
	v_mov_b32_e32 v4, v29
	v_cmp_gt_u64_e32 vcc, s[78:79], v[3:4]
	v_and_b32_sdwa v14, v2, s96 dst_sel:DWORD dst_unused:UNUSED_PAD src0_sel:BYTE_3 src1_sel:DWORD
                                        ; implicit-def: $vgpr17
	s_and_saveexec_b64 s[28:29], vcc
	s_xor_b64 s[36:37], exec, s[28:29]
	s_cbranch_execz .LBB2_6937
; %bb.6924:                             ;   in Loop: Header=BB2_6908 Depth=3
	v_cmp_ne_u32_e32 vcc, 0, v2
	v_mov_b32_e32 v17, 0
	s_and_saveexec_b64 s[38:39], vcc
	s_cbranch_execz .LBB2_6936
; %bb.6925:                             ;   in Loop: Header=BB2_6908 Depth=3
	v_bfe_u32 v15, v2, 23, 8
	v_cmp_gt_u32_e64 s[28:29], s46, v15
	v_sub_u32_e32 v2, 0x71, v15
	v_cmp_eq_u32_e32 vcc, 0, v15
	v_cndmask_b32_e64 v2, 0, v2, s[28:29]
	v_mov_b32_e32 v4, 0x70
	v_cndmask_b32_e32 v16, v2, v4, vcc
	v_add_u32_e32 v4, 21, v16
	v_or_b32_e32 v3, 0x800000, v28
	v_lshlrev_b64 v[17:18], v4, -1
	v_cndmask_b32_e32 v2, v3, v28, vcc
	v_mov_b32_e32 v3, v29
	v_add_u32_e32 v4, 20, v16
	v_bfi_b32 v17, v17, 0, v2
	v_lshlrev_b64 v[30:31], v4, 1
	v_lshrrev_b64 v[2:3], v16, v[2:3]
	v_bfi_b32 v18, v18, 0, 0
	v_cmp_eq_u64_e64 s[28:29], v[17:18], v[30:31]
	v_mov_b32_e32 v4, v3
	v_mov_b32_e32 v3, v2
	s_and_saveexec_b64 s[48:49], s[28:29]
; %bb.6926:                             ;   in Loop: Header=BB2_6908 Depth=3
	v_bfe_u32 v3, v2, 21, 1
	v_add_co_u32_e64 v3, s[28:29], v2, v3
	v_add_co_u32_e64 v3, s[28:29], -1, v3
; %bb.6927:                             ;   in Loop: Header=BB2_6908 Depth=3
	s_or_b64 exec, exec, s[48:49]
	v_add_u32_e32 v4, 0xffffff81, v15
	v_cndmask_b32_e32 v4, v4, v1, vcc
	v_lshrrev_b32_e32 v15, 23, v2
	v_add3_u32 v16, v16, v4, v15
	v_add_u32_e32 v15, 14, v16
	v_and_b32_e32 v3, 0x1fffff, v3
	v_add_u32_e32 v28, v3, v2
	v_cmp_ne_u32_e32 vcc, 0, v15
                                        ; implicit-def: $vgpr2_vgpr3
                                        ; implicit-def: $vgpr4
	s_and_saveexec_b64 s[28:29], vcc
	s_xor_b64 s[28:29], exec, s[28:29]
; %bb.6928:                             ;   in Loop: Header=BB2_6908 Depth=3
	v_cmp_lt_u64_e32 vcc, s[88:89], v[28:29]
	v_add_u32_e32 v2, 15, v16
	v_cndmask_b32_e32 v4, v15, v2, vcc
	v_cndmask_b32_e64 v2, 0, 1, vcc
	v_lshrrev_b64 v[2:3], v2, v[28:29]
; %bb.6929:                             ;   in Loop: Header=BB2_6908 Depth=3
	s_andn2_saveexec_b64 s[28:29], s[28:29]
; %bb.6930:                             ;   in Loop: Header=BB2_6908 Depth=3
	v_mov_b32_e32 v2, v28
	v_mov_b32_e32 v3, v29
	v_bfe_u32 v4, v28, 23, 1
; %bb.6931:                             ;   in Loop: Header=BB2_6908 Depth=3
	s_or_b64 exec, exec, s[28:29]
	v_lshrrev_b64 v[2:3], 21, v[2:3]
	v_cmp_gt_i32_e32 vcc, 32, v4
	v_cndmask_b32_e32 v3, 0, v3, vcc
	v_cndmask_b32_e32 v2, 3, v2, vcc
	v_cmp_ne_u64_e32 vcc, 0, v[2:3]
	v_cmp_ne_u32_e64 s[28:29], 0, v4
	s_or_b64 s[28:29], s[28:29], vcc
                                        ; implicit-def: $vgpr17
	s_and_saveexec_b64 vcc, s[28:29]
	s_xor_b64 s[28:29], exec, vcc
; %bb.6932:                             ;   in Loop: Header=BB2_6908 Depth=3
	v_min_i32_e32 v3, 31, v4
	v_lshl_or_b32 v3, v3, 2, v14
	v_and_or_b32 v17, v2, 3, v3
                                        ; implicit-def: $vgpr14
; %bb.6933:                             ;   in Loop: Header=BB2_6908 Depth=3
	s_andn2_saveexec_b64 s[28:29], s[28:29]
; %bb.6934:                             ;   in Loop: Header=BB2_6908 Depth=3
	v_mov_b32_e32 v17, v14
; %bb.6935:                             ;   in Loop: Header=BB2_6908 Depth=3
	s_or_b64 exec, exec, s[28:29]
.LBB2_6936:                             ;   in Loop: Header=BB2_6908 Depth=3
	s_or_b64 exec, exec, s[38:39]
                                        ; implicit-def: $vgpr14
.LBB2_6937:                             ;   in Loop: Header=BB2_6908 Depth=3
	s_andn2_saveexec_b64 s[28:29], s[36:37]
; %bb.6938:                             ;   in Loop: Header=BB2_6908 Depth=3
	v_or_b32_e32 v17, 0x7b, v14
; %bb.6939:                             ;   in Loop: Header=BB2_6908 Depth=3
	s_or_b64 exec, exec, s[28:29]
                                        ; implicit-def: $vgpr2
.LBB2_6940:                             ;   in Loop: Header=BB2_6908 Depth=3
	s_andn2_saveexec_b64 s[28:29], s[34:35]
	s_cbranch_execz .LBB2_6946
; %bb.6941:                             ;   in Loop: Header=BB2_6908 Depth=3
	v_cmp_ne_u64_e32 vcc, 0, v[28:29]
                                        ; implicit-def: $vgpr17
	s_and_saveexec_b64 s[34:35], vcc
	s_xor_b64 vcc, exec, s[34:35]
; %bb.6942:                             ;   in Loop: Header=BB2_6908 Depth=3
	v_or_b32_sdwa v17, v2, s47 dst_sel:DWORD dst_unused:UNUSED_PAD src0_sel:BYTE_3 src1_sel:DWORD
                                        ; implicit-def: $vgpr2
; %bb.6943:                             ;   in Loop: Header=BB2_6908 Depth=3
	s_andn2_saveexec_b64 s[34:35], vcc
; %bb.6944:                             ;   in Loop: Header=BB2_6908 Depth=3
	v_cmp_lt_i32_e32 vcc, -1, v2
	v_cndmask_b32_e32 v17, -4, v22, vcc
; %bb.6945:                             ;   in Loop: Header=BB2_6908 Depth=3
	s_or_b64 exec, exec, s[34:35]
.LBB2_6946:                             ;   in Loop: Header=BB2_6908 Depth=3
	s_or_b64 exec, exec, s[28:29]
	flat_load_sbyte v2, v[40:41] offset:64 glc slc
	v_mov_b32_e32 v3, 0
	s_waitcnt vmcnt(0) lgkmcnt(0)
	v_cmp_ne_u16_e32 vcc, 0, v2
	s_and_saveexec_b64 s[28:29], vcc
	s_cbranch_execz .LBB2_6954
; %bb.6947:                             ;   in Loop: Header=BB2_6908 Depth=3
	v_cmp_ne_u16_e32 vcc, s97, v2
	v_bfrev_b32_e32 v3, 1
	s_and_saveexec_b64 s[34:35], vcc
	s_cbranch_execz .LBB2_6953
; %bb.6948:                             ;   in Loop: Header=BB2_6908 Depth=3
	v_and_b32_e32 v3, 0x7c, v2
	v_and_b32_e32 v4, 3, v2
	v_cmp_ne_u32_e32 vcc, s85, v3
                                        ; implicit-def: $vgpr3
	s_and_saveexec_b64 s[36:37], vcc
	s_xor_b64 s[36:37], exec, s[36:37]
	s_cbranch_execz .LBB2_6950
; %bb.6949:                             ;   in Loop: Header=BB2_6908 Depth=3
	v_and_b32_e32 v14, 0xff, v2
	v_bfe_u32 v16, v14, 2, 5
	v_ffbh_u32_e32 v14, v4
	v_min_u32_e32 v18, 32, v14
	v_mov_b32_e32 v3, v29
	v_subrev_u32_e32 v14, 29, v18
	v_lshlrev_b64 v[14:15], v14, v[2:3]
	v_sub_u32_e32 v3, 30, v18
	v_cmp_eq_u32_e32 vcc, 0, v16
	v_and_b32_e32 v14, 3, v14
	v_cndmask_b32_e32 v3, v16, v3, vcc
	v_and_b32_sdwa v2, sext(v2), s86 dst_sel:DWORD dst_unused:UNUSED_PAD src0_sel:WORD_0 src1_sel:DWORD
	v_cndmask_b32_e32 v4, v4, v14, vcc
	v_lshl_add_u32 v2, v3, 23, v2
	v_lshl_or_b32 v2, v4, 21, v2
	v_add_u32_e32 v3, 0x38000000, v2
                                        ; implicit-def: $vgpr4
                                        ; implicit-def: $vgpr2
.LBB2_6950:                             ;   in Loop: Header=BB2_6908 Depth=3
	s_andn2_saveexec_b64 s[36:37], s[36:37]
; %bb.6951:                             ;   in Loop: Header=BB2_6908 Depth=3
	v_cmp_lt_i16_e32 vcc, -1, v2
	v_cndmask_b32_e32 v2, v7, v0, vcc
	v_cmp_eq_u32_e32 vcc, 0, v4
	v_cndmask_b32_e32 v3, v35, v2, vcc
; %bb.6952:                             ;   in Loop: Header=BB2_6908 Depth=3
	s_or_b64 exec, exec, s[36:37]
.LBB2_6953:                             ;   in Loop: Header=BB2_6908 Depth=3
	s_or_b64 exec, exec, s[34:35]
.LBB2_6954:                             ;   in Loop: Header=BB2_6908 Depth=3
	s_or_b64 exec, exec, s[28:29]
	v_mul_f32_e32 v2, v5, v3
	v_and_b32_e32 v3, 0x7f800000, v2
	v_mov_b32_e32 v4, v29
	v_cmp_ne_u64_e32 vcc, s[76:77], v[3:4]
	v_and_b32_e32 v28, 0x7fffff, v2
                                        ; implicit-def: $vgpr60
	s_and_saveexec_b64 s[28:29], vcc
	s_xor_b64 s[34:35], exec, s[28:29]
	s_cbranch_execz .LBB2_6972
; %bb.6955:                             ;   in Loop: Header=BB2_6908 Depth=3
	v_and_b32_e32 v3, 0x7fffffff, v2
	v_mov_b32_e32 v4, v29
	v_cmp_gt_u64_e32 vcc, s[78:79], v[3:4]
	v_and_b32_sdwa v14, v2, s96 dst_sel:DWORD dst_unused:UNUSED_PAD src0_sel:BYTE_3 src1_sel:DWORD
                                        ; implicit-def: $vgpr60
	s_and_saveexec_b64 s[28:29], vcc
	s_xor_b64 s[36:37], exec, s[28:29]
	s_cbranch_execz .LBB2_6969
; %bb.6956:                             ;   in Loop: Header=BB2_6908 Depth=3
	v_cmp_ne_u32_e32 vcc, 0, v2
	v_mov_b32_e32 v60, 0
	s_and_saveexec_b64 s[38:39], vcc
	s_cbranch_execz .LBB2_6968
; %bb.6957:                             ;   in Loop: Header=BB2_6908 Depth=3
	v_bfe_u32 v15, v2, 23, 8
	v_cmp_gt_u32_e64 s[28:29], s46, v15
	v_sub_u32_e32 v2, 0x71, v15
	v_cmp_eq_u32_e32 vcc, 0, v15
	v_cndmask_b32_e64 v2, 0, v2, s[28:29]
	v_mov_b32_e32 v4, 0x70
	v_cndmask_b32_e32 v16, v2, v4, vcc
	v_add_u32_e32 v4, 21, v16
	v_or_b32_e32 v3, 0x800000, v28
	v_lshlrev_b64 v[30:31], v4, -1
	v_cndmask_b32_e32 v2, v3, v28, vcc
	v_mov_b32_e32 v3, v29
	v_add_u32_e32 v4, 20, v16
	v_bfi_b32 v30, v30, 0, v2
	v_lshlrev_b64 v[32:33], v4, 1
	v_lshrrev_b64 v[2:3], v16, v[2:3]
	v_bfi_b32 v31, v31, 0, 0
	v_cmp_eq_u64_e64 s[28:29], v[30:31], v[32:33]
	v_mov_b32_e32 v4, v3
	v_mov_b32_e32 v3, v2
	s_and_saveexec_b64 s[48:49], s[28:29]
; %bb.6958:                             ;   in Loop: Header=BB2_6908 Depth=3
	v_bfe_u32 v3, v2, 21, 1
	v_add_co_u32_e64 v3, s[28:29], v2, v3
	v_add_co_u32_e64 v3, s[28:29], -1, v3
; %bb.6959:                             ;   in Loop: Header=BB2_6908 Depth=3
	s_or_b64 exec, exec, s[48:49]
	v_add_u32_e32 v4, 0xffffff81, v15
	v_cndmask_b32_e32 v4, v4, v1, vcc
	v_lshrrev_b32_e32 v15, 23, v2
	v_add3_u32 v16, v16, v4, v15
	v_add_u32_e32 v15, 14, v16
	v_and_b32_e32 v3, 0x1fffff, v3
	v_add_u32_e32 v28, v3, v2
	v_cmp_ne_u32_e32 vcc, 0, v15
                                        ; implicit-def: $vgpr2_vgpr3
                                        ; implicit-def: $vgpr4
	s_and_saveexec_b64 s[28:29], vcc
	s_xor_b64 s[28:29], exec, s[28:29]
; %bb.6960:                             ;   in Loop: Header=BB2_6908 Depth=3
	v_cmp_lt_u64_e32 vcc, s[88:89], v[28:29]
	v_add_u32_e32 v2, 15, v16
	v_cndmask_b32_e32 v4, v15, v2, vcc
	v_cndmask_b32_e64 v2, 0, 1, vcc
	v_lshrrev_b64 v[2:3], v2, v[28:29]
; %bb.6961:                             ;   in Loop: Header=BB2_6908 Depth=3
	s_andn2_saveexec_b64 s[28:29], s[28:29]
; %bb.6962:                             ;   in Loop: Header=BB2_6908 Depth=3
	v_mov_b32_e32 v2, v28
	v_mov_b32_e32 v3, v29
	v_bfe_u32 v4, v28, 23, 1
; %bb.6963:                             ;   in Loop: Header=BB2_6908 Depth=3
	s_or_b64 exec, exec, s[28:29]
	v_lshrrev_b64 v[2:3], 21, v[2:3]
	v_cmp_gt_i32_e32 vcc, 32, v4
	v_cndmask_b32_e32 v3, 0, v3, vcc
	v_cndmask_b32_e32 v2, 3, v2, vcc
	v_cmp_ne_u64_e32 vcc, 0, v[2:3]
	v_cmp_ne_u32_e64 s[28:29], 0, v4
	s_or_b64 s[28:29], s[28:29], vcc
                                        ; implicit-def: $vgpr60
	s_and_saveexec_b64 vcc, s[28:29]
	s_xor_b64 s[28:29], exec, vcc
; %bb.6964:                             ;   in Loop: Header=BB2_6908 Depth=3
	v_min_i32_e32 v3, 31, v4
	v_lshl_or_b32 v3, v3, 2, v14
	v_and_or_b32 v60, v2, 3, v3
                                        ; implicit-def: $vgpr14
; %bb.6965:                             ;   in Loop: Header=BB2_6908 Depth=3
	s_andn2_saveexec_b64 s[28:29], s[28:29]
; %bb.6966:                             ;   in Loop: Header=BB2_6908 Depth=3
	v_mov_b32_e32 v60, v14
; %bb.6967:                             ;   in Loop: Header=BB2_6908 Depth=3
	s_or_b64 exec, exec, s[28:29]
.LBB2_6968:                             ;   in Loop: Header=BB2_6908 Depth=3
	s_or_b64 exec, exec, s[38:39]
                                        ; implicit-def: $vgpr14
.LBB2_6969:                             ;   in Loop: Header=BB2_6908 Depth=3
	s_andn2_saveexec_b64 s[28:29], s[36:37]
; %bb.6970:                             ;   in Loop: Header=BB2_6908 Depth=3
	v_or_b32_e32 v60, 0x7b, v14
; %bb.6971:                             ;   in Loop: Header=BB2_6908 Depth=3
	s_or_b64 exec, exec, s[28:29]
                                        ; implicit-def: $vgpr2
.LBB2_6972:                             ;   in Loop: Header=BB2_6908 Depth=3
	s_andn2_saveexec_b64 s[28:29], s[34:35]
	s_cbranch_execz .LBB2_6978
; %bb.6973:                             ;   in Loop: Header=BB2_6908 Depth=3
	v_cmp_ne_u64_e32 vcc, 0, v[28:29]
                                        ; implicit-def: $vgpr60
	s_and_saveexec_b64 s[34:35], vcc
	s_xor_b64 vcc, exec, s[34:35]
; %bb.6974:                             ;   in Loop: Header=BB2_6908 Depth=3
	v_or_b32_sdwa v60, v2, s47 dst_sel:DWORD dst_unused:UNUSED_PAD src0_sel:BYTE_3 src1_sel:DWORD
                                        ; implicit-def: $vgpr2
; %bb.6975:                             ;   in Loop: Header=BB2_6908 Depth=3
	s_andn2_saveexec_b64 s[34:35], vcc
; %bb.6976:                             ;   in Loop: Header=BB2_6908 Depth=3
	v_cmp_lt_i32_e32 vcc, -1, v2
	v_cndmask_b32_e32 v60, -4, v22, vcc
; %bb.6977:                             ;   in Loop: Header=BB2_6908 Depth=3
	s_or_b64 exec, exec, s[34:35]
.LBB2_6978:                             ;   in Loop: Header=BB2_6908 Depth=3
	s_or_b64 exec, exec, s[28:29]
	flat_load_sbyte v2, v[40:41] offset:128 glc slc
	v_mov_b32_e32 v3, 0
	s_waitcnt vmcnt(0) lgkmcnt(0)
	v_cmp_ne_u16_e32 vcc, 0, v2
	s_and_saveexec_b64 s[28:29], vcc
	s_cbranch_execz .LBB2_6986
; %bb.6979:                             ;   in Loop: Header=BB2_6908 Depth=3
	v_cmp_ne_u16_e32 vcc, s97, v2
	v_bfrev_b32_e32 v3, 1
	s_and_saveexec_b64 s[34:35], vcc
	s_cbranch_execz .LBB2_6985
; %bb.6980:                             ;   in Loop: Header=BB2_6908 Depth=3
	v_and_b32_e32 v3, 0x7c, v2
	v_and_b32_e32 v4, 3, v2
	v_cmp_ne_u32_e32 vcc, s85, v3
                                        ; implicit-def: $vgpr3
	s_and_saveexec_b64 s[36:37], vcc
	s_xor_b64 s[36:37], exec, s[36:37]
	s_cbranch_execz .LBB2_6982
; %bb.6981:                             ;   in Loop: Header=BB2_6908 Depth=3
	v_and_b32_e32 v14, 0xff, v2
	v_bfe_u32 v16, v14, 2, 5
	v_ffbh_u32_e32 v14, v4
	v_min_u32_e32 v18, 32, v14
	v_mov_b32_e32 v3, v29
	v_subrev_u32_e32 v14, 29, v18
	v_lshlrev_b64 v[14:15], v14, v[2:3]
	v_sub_u32_e32 v3, 30, v18
	v_cmp_eq_u32_e32 vcc, 0, v16
	v_and_b32_e32 v14, 3, v14
	v_cndmask_b32_e32 v3, v16, v3, vcc
	v_and_b32_sdwa v2, sext(v2), s86 dst_sel:DWORD dst_unused:UNUSED_PAD src0_sel:WORD_0 src1_sel:DWORD
	v_cndmask_b32_e32 v4, v4, v14, vcc
	v_lshl_add_u32 v2, v3, 23, v2
	v_lshl_or_b32 v2, v4, 21, v2
	v_add_u32_e32 v3, 0x38000000, v2
                                        ; implicit-def: $vgpr4
                                        ; implicit-def: $vgpr2
.LBB2_6982:                             ;   in Loop: Header=BB2_6908 Depth=3
	s_andn2_saveexec_b64 s[36:37], s[36:37]
; %bb.6983:                             ;   in Loop: Header=BB2_6908 Depth=3
	v_cmp_lt_i16_e32 vcc, -1, v2
	v_cndmask_b32_e32 v2, v7, v0, vcc
	v_cmp_eq_u32_e32 vcc, 0, v4
	v_cndmask_b32_e32 v3, v35, v2, vcc
; %bb.6984:                             ;   in Loop: Header=BB2_6908 Depth=3
	s_or_b64 exec, exec, s[36:37]
.LBB2_6985:                             ;   in Loop: Header=BB2_6908 Depth=3
	s_or_b64 exec, exec, s[34:35]
.LBB2_6986:                             ;   in Loop: Header=BB2_6908 Depth=3
	s_or_b64 exec, exec, s[28:29]
	v_mul_f32_e32 v2, v5, v3
	v_and_b32_e32 v3, 0x7f800000, v2
	v_mov_b32_e32 v4, v29
	v_cmp_ne_u64_e32 vcc, s[76:77], v[3:4]
	v_and_b32_e32 v28, 0x7fffff, v2
                                        ; implicit-def: $vgpr59
	s_and_saveexec_b64 s[28:29], vcc
	s_xor_b64 s[34:35], exec, s[28:29]
	s_cbranch_execz .LBB2_7004
; %bb.6987:                             ;   in Loop: Header=BB2_6908 Depth=3
	v_and_b32_e32 v3, 0x7fffffff, v2
	v_mov_b32_e32 v4, v29
	v_cmp_gt_u64_e32 vcc, s[78:79], v[3:4]
	v_and_b32_sdwa v14, v2, s96 dst_sel:DWORD dst_unused:UNUSED_PAD src0_sel:BYTE_3 src1_sel:DWORD
                                        ; implicit-def: $vgpr59
	s_and_saveexec_b64 s[28:29], vcc
	s_xor_b64 s[36:37], exec, s[28:29]
	s_cbranch_execz .LBB2_7001
; %bb.6988:                             ;   in Loop: Header=BB2_6908 Depth=3
	v_cmp_ne_u32_e32 vcc, 0, v2
	v_mov_b32_e32 v59, 0
	s_and_saveexec_b64 s[38:39], vcc
	s_cbranch_execz .LBB2_7000
; %bb.6989:                             ;   in Loop: Header=BB2_6908 Depth=3
	v_bfe_u32 v15, v2, 23, 8
	v_cmp_gt_u32_e64 s[28:29], s46, v15
	v_sub_u32_e32 v2, 0x71, v15
	v_cmp_eq_u32_e32 vcc, 0, v15
	v_cndmask_b32_e64 v2, 0, v2, s[28:29]
	v_mov_b32_e32 v4, 0x70
	v_cndmask_b32_e32 v16, v2, v4, vcc
	v_add_u32_e32 v4, 21, v16
	v_or_b32_e32 v3, 0x800000, v28
	v_lshlrev_b64 v[30:31], v4, -1
	v_cndmask_b32_e32 v2, v3, v28, vcc
	v_mov_b32_e32 v3, v29
	v_add_u32_e32 v4, 20, v16
	v_bfi_b32 v30, v30, 0, v2
	v_lshlrev_b64 v[32:33], v4, 1
	v_lshrrev_b64 v[2:3], v16, v[2:3]
	v_bfi_b32 v31, v31, 0, 0
	v_cmp_eq_u64_e64 s[28:29], v[30:31], v[32:33]
	v_mov_b32_e32 v4, v3
	v_mov_b32_e32 v3, v2
	s_and_saveexec_b64 s[48:49], s[28:29]
; %bb.6990:                             ;   in Loop: Header=BB2_6908 Depth=3
	v_bfe_u32 v3, v2, 21, 1
	v_add_co_u32_e64 v3, s[28:29], v2, v3
	v_add_co_u32_e64 v3, s[28:29], -1, v3
; %bb.6991:                             ;   in Loop: Header=BB2_6908 Depth=3
	s_or_b64 exec, exec, s[48:49]
	v_add_u32_e32 v4, 0xffffff81, v15
	v_cndmask_b32_e32 v4, v4, v1, vcc
	v_lshrrev_b32_e32 v15, 23, v2
	v_add3_u32 v16, v16, v4, v15
	v_add_u32_e32 v15, 14, v16
	v_and_b32_e32 v3, 0x1fffff, v3
	v_add_u32_e32 v28, v3, v2
	v_cmp_ne_u32_e32 vcc, 0, v15
                                        ; implicit-def: $vgpr2_vgpr3
                                        ; implicit-def: $vgpr4
	s_and_saveexec_b64 s[28:29], vcc
	s_xor_b64 s[28:29], exec, s[28:29]
; %bb.6992:                             ;   in Loop: Header=BB2_6908 Depth=3
	v_cmp_lt_u64_e32 vcc, s[88:89], v[28:29]
	v_add_u32_e32 v2, 15, v16
	v_cndmask_b32_e32 v4, v15, v2, vcc
	v_cndmask_b32_e64 v2, 0, 1, vcc
	v_lshrrev_b64 v[2:3], v2, v[28:29]
; %bb.6993:                             ;   in Loop: Header=BB2_6908 Depth=3
	s_andn2_saveexec_b64 s[28:29], s[28:29]
; %bb.6994:                             ;   in Loop: Header=BB2_6908 Depth=3
	v_mov_b32_e32 v2, v28
	v_mov_b32_e32 v3, v29
	v_bfe_u32 v4, v28, 23, 1
; %bb.6995:                             ;   in Loop: Header=BB2_6908 Depth=3
	s_or_b64 exec, exec, s[28:29]
	v_lshrrev_b64 v[2:3], 21, v[2:3]
	v_cmp_gt_i32_e32 vcc, 32, v4
	v_cndmask_b32_e32 v3, 0, v3, vcc
	v_cndmask_b32_e32 v2, 3, v2, vcc
	v_cmp_ne_u64_e32 vcc, 0, v[2:3]
	v_cmp_ne_u32_e64 s[28:29], 0, v4
	s_or_b64 s[28:29], s[28:29], vcc
                                        ; implicit-def: $vgpr59
	s_and_saveexec_b64 vcc, s[28:29]
	s_xor_b64 s[28:29], exec, vcc
; %bb.6996:                             ;   in Loop: Header=BB2_6908 Depth=3
	v_min_i32_e32 v3, 31, v4
	v_lshl_or_b32 v3, v3, 2, v14
	v_and_or_b32 v59, v2, 3, v3
                                        ; implicit-def: $vgpr14
; %bb.6997:                             ;   in Loop: Header=BB2_6908 Depth=3
	s_andn2_saveexec_b64 s[28:29], s[28:29]
; %bb.6998:                             ;   in Loop: Header=BB2_6908 Depth=3
	v_mov_b32_e32 v59, v14
; %bb.6999:                             ;   in Loop: Header=BB2_6908 Depth=3
	s_or_b64 exec, exec, s[28:29]
.LBB2_7000:                             ;   in Loop: Header=BB2_6908 Depth=3
	s_or_b64 exec, exec, s[38:39]
                                        ; implicit-def: $vgpr14
.LBB2_7001:                             ;   in Loop: Header=BB2_6908 Depth=3
	s_andn2_saveexec_b64 s[28:29], s[36:37]
; %bb.7002:                             ;   in Loop: Header=BB2_6908 Depth=3
	v_or_b32_e32 v59, 0x7b, v14
; %bb.7003:                             ;   in Loop: Header=BB2_6908 Depth=3
	s_or_b64 exec, exec, s[28:29]
                                        ; implicit-def: $vgpr2
.LBB2_7004:                             ;   in Loop: Header=BB2_6908 Depth=3
	s_andn2_saveexec_b64 s[28:29], s[34:35]
	s_cbranch_execz .LBB2_7010
; %bb.7005:                             ;   in Loop: Header=BB2_6908 Depth=3
	v_cmp_ne_u64_e32 vcc, 0, v[28:29]
                                        ; implicit-def: $vgpr59
	s_and_saveexec_b64 s[34:35], vcc
	s_xor_b64 vcc, exec, s[34:35]
; %bb.7006:                             ;   in Loop: Header=BB2_6908 Depth=3
	v_or_b32_sdwa v59, v2, s47 dst_sel:DWORD dst_unused:UNUSED_PAD src0_sel:BYTE_3 src1_sel:DWORD
                                        ; implicit-def: $vgpr2
; %bb.7007:                             ;   in Loop: Header=BB2_6908 Depth=3
	s_andn2_saveexec_b64 s[34:35], vcc
; %bb.7008:                             ;   in Loop: Header=BB2_6908 Depth=3
	v_cmp_lt_i32_e32 vcc, -1, v2
	v_cndmask_b32_e32 v59, -4, v22, vcc
; %bb.7009:                             ;   in Loop: Header=BB2_6908 Depth=3
	s_or_b64 exec, exec, s[34:35]
.LBB2_7010:                             ;   in Loop: Header=BB2_6908 Depth=3
	s_or_b64 exec, exec, s[28:29]
	flat_load_sbyte v2, v[40:41] offset:192 glc slc
	v_mov_b32_e32 v3, 0
	s_waitcnt vmcnt(0) lgkmcnt(0)
	v_cmp_ne_u16_e32 vcc, 0, v2
	s_and_saveexec_b64 s[28:29], vcc
	s_cbranch_execz .LBB2_7018
; %bb.7011:                             ;   in Loop: Header=BB2_6908 Depth=3
	v_cmp_ne_u16_e32 vcc, s97, v2
	v_bfrev_b32_e32 v3, 1
	s_and_saveexec_b64 s[34:35], vcc
	s_cbranch_execz .LBB2_7017
; %bb.7012:                             ;   in Loop: Header=BB2_6908 Depth=3
	v_and_b32_e32 v3, 0x7c, v2
	v_and_b32_e32 v4, 3, v2
	v_cmp_ne_u32_e32 vcc, s85, v3
                                        ; implicit-def: $vgpr3
	s_and_saveexec_b64 s[36:37], vcc
	s_xor_b64 s[36:37], exec, s[36:37]
	s_cbranch_execz .LBB2_7014
; %bb.7013:                             ;   in Loop: Header=BB2_6908 Depth=3
	v_and_b32_e32 v14, 0xff, v2
	v_bfe_u32 v16, v14, 2, 5
	v_ffbh_u32_e32 v14, v4
	v_min_u32_e32 v18, 32, v14
	v_mov_b32_e32 v3, v29
	v_subrev_u32_e32 v14, 29, v18
	v_lshlrev_b64 v[14:15], v14, v[2:3]
	v_sub_u32_e32 v3, 30, v18
	v_cmp_eq_u32_e32 vcc, 0, v16
	v_and_b32_e32 v14, 3, v14
	v_cndmask_b32_e32 v3, v16, v3, vcc
	v_and_b32_sdwa v2, sext(v2), s86 dst_sel:DWORD dst_unused:UNUSED_PAD src0_sel:WORD_0 src1_sel:DWORD
	v_cndmask_b32_e32 v4, v4, v14, vcc
	v_lshl_add_u32 v2, v3, 23, v2
	v_lshl_or_b32 v2, v4, 21, v2
	v_add_u32_e32 v3, 0x38000000, v2
                                        ; implicit-def: $vgpr4
                                        ; implicit-def: $vgpr2
.LBB2_7014:                             ;   in Loop: Header=BB2_6908 Depth=3
	s_andn2_saveexec_b64 s[36:37], s[36:37]
; %bb.7015:                             ;   in Loop: Header=BB2_6908 Depth=3
	v_cmp_lt_i16_e32 vcc, -1, v2
	v_cndmask_b32_e32 v2, v7, v0, vcc
	v_cmp_eq_u32_e32 vcc, 0, v4
	v_cndmask_b32_e32 v3, v35, v2, vcc
; %bb.7016:                             ;   in Loop: Header=BB2_6908 Depth=3
	s_or_b64 exec, exec, s[36:37]
.LBB2_7017:                             ;   in Loop: Header=BB2_6908 Depth=3
	s_or_b64 exec, exec, s[34:35]
.LBB2_7018:                             ;   in Loop: Header=BB2_6908 Depth=3
	s_or_b64 exec, exec, s[28:29]
	v_mul_f32_e32 v2, v5, v3
	v_and_b32_e32 v3, 0x7f800000, v2
	v_mov_b32_e32 v4, v29
	v_cmp_ne_u64_e32 vcc, s[76:77], v[3:4]
	v_and_b32_e32 v28, 0x7fffff, v2
                                        ; implicit-def: $vgpr58
	s_and_saveexec_b64 s[28:29], vcc
	s_xor_b64 s[34:35], exec, s[28:29]
	s_cbranch_execz .LBB2_7036
; %bb.7019:                             ;   in Loop: Header=BB2_6908 Depth=3
	v_and_b32_e32 v3, 0x7fffffff, v2
	v_mov_b32_e32 v4, v29
	v_cmp_gt_u64_e32 vcc, s[78:79], v[3:4]
	v_and_b32_sdwa v14, v2, s96 dst_sel:DWORD dst_unused:UNUSED_PAD src0_sel:BYTE_3 src1_sel:DWORD
                                        ; implicit-def: $vgpr58
	s_and_saveexec_b64 s[28:29], vcc
	s_xor_b64 s[36:37], exec, s[28:29]
	s_cbranch_execz .LBB2_7033
; %bb.7020:                             ;   in Loop: Header=BB2_6908 Depth=3
	v_cmp_ne_u32_e32 vcc, 0, v2
	v_mov_b32_e32 v58, 0
	s_and_saveexec_b64 s[38:39], vcc
	s_cbranch_execz .LBB2_7032
; %bb.7021:                             ;   in Loop: Header=BB2_6908 Depth=3
	v_bfe_u32 v15, v2, 23, 8
	v_cmp_gt_u32_e64 s[28:29], s46, v15
	v_sub_u32_e32 v2, 0x71, v15
	v_cmp_eq_u32_e32 vcc, 0, v15
	v_cndmask_b32_e64 v2, 0, v2, s[28:29]
	v_mov_b32_e32 v4, 0x70
	v_cndmask_b32_e32 v16, v2, v4, vcc
	v_add_u32_e32 v4, 21, v16
	v_or_b32_e32 v3, 0x800000, v28
	v_lshlrev_b64 v[30:31], v4, -1
	v_cndmask_b32_e32 v2, v3, v28, vcc
	v_mov_b32_e32 v3, v29
	v_add_u32_e32 v4, 20, v16
	v_bfi_b32 v30, v30, 0, v2
	v_lshlrev_b64 v[32:33], v4, 1
	v_lshrrev_b64 v[2:3], v16, v[2:3]
	v_bfi_b32 v31, v31, 0, 0
	v_cmp_eq_u64_e64 s[28:29], v[30:31], v[32:33]
	v_mov_b32_e32 v4, v3
	v_mov_b32_e32 v3, v2
	s_and_saveexec_b64 s[48:49], s[28:29]
; %bb.7022:                             ;   in Loop: Header=BB2_6908 Depth=3
	v_bfe_u32 v3, v2, 21, 1
	v_add_co_u32_e64 v3, s[28:29], v2, v3
	v_add_co_u32_e64 v3, s[28:29], -1, v3
; %bb.7023:                             ;   in Loop: Header=BB2_6908 Depth=3
	s_or_b64 exec, exec, s[48:49]
	v_add_u32_e32 v4, 0xffffff81, v15
	v_cndmask_b32_e32 v4, v4, v1, vcc
	v_lshrrev_b32_e32 v15, 23, v2
	v_add3_u32 v16, v16, v4, v15
	v_add_u32_e32 v15, 14, v16
	v_and_b32_e32 v3, 0x1fffff, v3
	v_add_u32_e32 v28, v3, v2
	v_cmp_ne_u32_e32 vcc, 0, v15
                                        ; implicit-def: $vgpr2_vgpr3
                                        ; implicit-def: $vgpr4
	s_and_saveexec_b64 s[28:29], vcc
	s_xor_b64 s[28:29], exec, s[28:29]
; %bb.7024:                             ;   in Loop: Header=BB2_6908 Depth=3
	v_cmp_lt_u64_e32 vcc, s[88:89], v[28:29]
	v_add_u32_e32 v2, 15, v16
	v_cndmask_b32_e32 v4, v15, v2, vcc
	v_cndmask_b32_e64 v2, 0, 1, vcc
	v_lshrrev_b64 v[2:3], v2, v[28:29]
; %bb.7025:                             ;   in Loop: Header=BB2_6908 Depth=3
	s_andn2_saveexec_b64 s[28:29], s[28:29]
; %bb.7026:                             ;   in Loop: Header=BB2_6908 Depth=3
	v_mov_b32_e32 v2, v28
	v_mov_b32_e32 v3, v29
	v_bfe_u32 v4, v28, 23, 1
; %bb.7027:                             ;   in Loop: Header=BB2_6908 Depth=3
	s_or_b64 exec, exec, s[28:29]
	v_lshrrev_b64 v[2:3], 21, v[2:3]
	v_cmp_gt_i32_e32 vcc, 32, v4
	v_cndmask_b32_e32 v3, 0, v3, vcc
	v_cndmask_b32_e32 v2, 3, v2, vcc
	v_cmp_ne_u64_e32 vcc, 0, v[2:3]
	v_cmp_ne_u32_e64 s[28:29], 0, v4
	s_or_b64 s[28:29], s[28:29], vcc
                                        ; implicit-def: $vgpr58
	s_and_saveexec_b64 vcc, s[28:29]
	s_xor_b64 s[28:29], exec, vcc
; %bb.7028:                             ;   in Loop: Header=BB2_6908 Depth=3
	v_min_i32_e32 v3, 31, v4
	v_lshl_or_b32 v3, v3, 2, v14
	v_and_or_b32 v58, v2, 3, v3
                                        ; implicit-def: $vgpr14
; %bb.7029:                             ;   in Loop: Header=BB2_6908 Depth=3
	s_andn2_saveexec_b64 s[28:29], s[28:29]
; %bb.7030:                             ;   in Loop: Header=BB2_6908 Depth=3
	v_mov_b32_e32 v58, v14
; %bb.7031:                             ;   in Loop: Header=BB2_6908 Depth=3
	s_or_b64 exec, exec, s[28:29]
.LBB2_7032:                             ;   in Loop: Header=BB2_6908 Depth=3
	s_or_b64 exec, exec, s[38:39]
                                        ; implicit-def: $vgpr14
.LBB2_7033:                             ;   in Loop: Header=BB2_6908 Depth=3
	s_andn2_saveexec_b64 s[28:29], s[36:37]
; %bb.7034:                             ;   in Loop: Header=BB2_6908 Depth=3
	v_or_b32_e32 v58, 0x7b, v14
; %bb.7035:                             ;   in Loop: Header=BB2_6908 Depth=3
	s_or_b64 exec, exec, s[28:29]
                                        ; implicit-def: $vgpr2
.LBB2_7036:                             ;   in Loop: Header=BB2_6908 Depth=3
	s_andn2_saveexec_b64 s[28:29], s[34:35]
	s_cbranch_execz .LBB2_7042
; %bb.7037:                             ;   in Loop: Header=BB2_6908 Depth=3
	v_cmp_ne_u64_e32 vcc, 0, v[28:29]
                                        ; implicit-def: $vgpr58
	s_and_saveexec_b64 s[34:35], vcc
	s_xor_b64 vcc, exec, s[34:35]
; %bb.7038:                             ;   in Loop: Header=BB2_6908 Depth=3
	v_or_b32_sdwa v58, v2, s47 dst_sel:DWORD dst_unused:UNUSED_PAD src0_sel:BYTE_3 src1_sel:DWORD
                                        ; implicit-def: $vgpr2
; %bb.7039:                             ;   in Loop: Header=BB2_6908 Depth=3
	s_andn2_saveexec_b64 s[34:35], vcc
; %bb.7040:                             ;   in Loop: Header=BB2_6908 Depth=3
	v_cmp_lt_i32_e32 vcc, -1, v2
	v_cndmask_b32_e32 v58, -4, v22, vcc
; %bb.7041:                             ;   in Loop: Header=BB2_6908 Depth=3
	s_or_b64 exec, exec, s[34:35]
.LBB2_7042:                             ;   in Loop: Header=BB2_6908 Depth=3
	s_or_b64 exec, exec, s[28:29]
	flat_load_sbyte v2, v[40:41] offset:256 glc slc
	v_mov_b32_e32 v3, 0
	s_waitcnt vmcnt(0) lgkmcnt(0)
	v_cmp_ne_u16_e32 vcc, 0, v2
	s_and_saveexec_b64 s[28:29], vcc
	s_cbranch_execz .LBB2_7050
; %bb.7043:                             ;   in Loop: Header=BB2_6908 Depth=3
	v_cmp_ne_u16_e32 vcc, s97, v2
	v_bfrev_b32_e32 v3, 1
	s_and_saveexec_b64 s[34:35], vcc
	s_cbranch_execz .LBB2_7049
; %bb.7044:                             ;   in Loop: Header=BB2_6908 Depth=3
	v_and_b32_e32 v3, 0x7c, v2
	v_and_b32_e32 v4, 3, v2
	v_cmp_ne_u32_e32 vcc, s85, v3
                                        ; implicit-def: $vgpr3
	s_and_saveexec_b64 s[36:37], vcc
	s_xor_b64 s[36:37], exec, s[36:37]
	s_cbranch_execz .LBB2_7046
; %bb.7045:                             ;   in Loop: Header=BB2_6908 Depth=3
	v_and_b32_e32 v14, 0xff, v2
	v_bfe_u32 v16, v14, 2, 5
	v_ffbh_u32_e32 v14, v4
	v_min_u32_e32 v18, 32, v14
	v_mov_b32_e32 v3, v29
	v_subrev_u32_e32 v14, 29, v18
	v_lshlrev_b64 v[14:15], v14, v[2:3]
	v_sub_u32_e32 v3, 30, v18
	v_cmp_eq_u32_e32 vcc, 0, v16
	v_and_b32_e32 v14, 3, v14
	v_cndmask_b32_e32 v3, v16, v3, vcc
	v_and_b32_sdwa v2, sext(v2), s86 dst_sel:DWORD dst_unused:UNUSED_PAD src0_sel:WORD_0 src1_sel:DWORD
	v_cndmask_b32_e32 v4, v4, v14, vcc
	v_lshl_add_u32 v2, v3, 23, v2
	v_lshl_or_b32 v2, v4, 21, v2
	v_add_u32_e32 v3, 0x38000000, v2
                                        ; implicit-def: $vgpr4
                                        ; implicit-def: $vgpr2
.LBB2_7046:                             ;   in Loop: Header=BB2_6908 Depth=3
	s_andn2_saveexec_b64 s[36:37], s[36:37]
; %bb.7047:                             ;   in Loop: Header=BB2_6908 Depth=3
	v_cmp_lt_i16_e32 vcc, -1, v2
	v_cndmask_b32_e32 v2, v7, v0, vcc
	v_cmp_eq_u32_e32 vcc, 0, v4
	v_cndmask_b32_e32 v3, v35, v2, vcc
; %bb.7048:                             ;   in Loop: Header=BB2_6908 Depth=3
	s_or_b64 exec, exec, s[36:37]
.LBB2_7049:                             ;   in Loop: Header=BB2_6908 Depth=3
	s_or_b64 exec, exec, s[34:35]
.LBB2_7050:                             ;   in Loop: Header=BB2_6908 Depth=3
	s_or_b64 exec, exec, s[28:29]
	v_mul_f32_e32 v2, v5, v3
	v_and_b32_e32 v3, 0x7f800000, v2
	v_mov_b32_e32 v4, v29
	v_cmp_ne_u64_e32 vcc, s[76:77], v[3:4]
	v_and_b32_e32 v28, 0x7fffff, v2
                                        ; implicit-def: $vgpr57
	s_and_saveexec_b64 s[28:29], vcc
	s_xor_b64 s[34:35], exec, s[28:29]
	s_cbranch_execz .LBB2_7068
; %bb.7051:                             ;   in Loop: Header=BB2_6908 Depth=3
	v_and_b32_e32 v3, 0x7fffffff, v2
	v_mov_b32_e32 v4, v29
	v_cmp_gt_u64_e32 vcc, s[78:79], v[3:4]
	v_and_b32_sdwa v14, v2, s96 dst_sel:DWORD dst_unused:UNUSED_PAD src0_sel:BYTE_3 src1_sel:DWORD
                                        ; implicit-def: $vgpr57
	s_and_saveexec_b64 s[28:29], vcc
	s_xor_b64 s[36:37], exec, s[28:29]
	s_cbranch_execz .LBB2_7065
; %bb.7052:                             ;   in Loop: Header=BB2_6908 Depth=3
	v_cmp_ne_u32_e32 vcc, 0, v2
	v_mov_b32_e32 v57, 0
	s_and_saveexec_b64 s[38:39], vcc
	s_cbranch_execz .LBB2_7064
; %bb.7053:                             ;   in Loop: Header=BB2_6908 Depth=3
	v_bfe_u32 v15, v2, 23, 8
	v_cmp_gt_u32_e64 s[28:29], s46, v15
	v_sub_u32_e32 v2, 0x71, v15
	v_cmp_eq_u32_e32 vcc, 0, v15
	v_cndmask_b32_e64 v2, 0, v2, s[28:29]
	v_mov_b32_e32 v4, 0x70
	v_cndmask_b32_e32 v16, v2, v4, vcc
	v_add_u32_e32 v4, 21, v16
	v_or_b32_e32 v3, 0x800000, v28
	v_lshlrev_b64 v[30:31], v4, -1
	v_cndmask_b32_e32 v2, v3, v28, vcc
	v_mov_b32_e32 v3, v29
	v_add_u32_e32 v4, 20, v16
	v_bfi_b32 v30, v30, 0, v2
	v_lshlrev_b64 v[32:33], v4, 1
	v_lshrrev_b64 v[2:3], v16, v[2:3]
	v_bfi_b32 v31, v31, 0, 0
	v_cmp_eq_u64_e64 s[28:29], v[30:31], v[32:33]
	v_mov_b32_e32 v4, v3
	v_mov_b32_e32 v3, v2
	s_and_saveexec_b64 s[48:49], s[28:29]
; %bb.7054:                             ;   in Loop: Header=BB2_6908 Depth=3
	v_bfe_u32 v3, v2, 21, 1
	v_add_co_u32_e64 v3, s[28:29], v2, v3
	v_add_co_u32_e64 v3, s[28:29], -1, v3
; %bb.7055:                             ;   in Loop: Header=BB2_6908 Depth=3
	s_or_b64 exec, exec, s[48:49]
	v_add_u32_e32 v4, 0xffffff81, v15
	v_cndmask_b32_e32 v4, v4, v1, vcc
	v_lshrrev_b32_e32 v15, 23, v2
	v_add3_u32 v16, v16, v4, v15
	v_add_u32_e32 v15, 14, v16
	v_and_b32_e32 v3, 0x1fffff, v3
	v_add_u32_e32 v28, v3, v2
	v_cmp_ne_u32_e32 vcc, 0, v15
                                        ; implicit-def: $vgpr2_vgpr3
                                        ; implicit-def: $vgpr4
	s_and_saveexec_b64 s[28:29], vcc
	s_xor_b64 s[28:29], exec, s[28:29]
; %bb.7056:                             ;   in Loop: Header=BB2_6908 Depth=3
	v_cmp_lt_u64_e32 vcc, s[88:89], v[28:29]
	v_add_u32_e32 v2, 15, v16
	v_cndmask_b32_e32 v4, v15, v2, vcc
	v_cndmask_b32_e64 v2, 0, 1, vcc
	v_lshrrev_b64 v[2:3], v2, v[28:29]
; %bb.7057:                             ;   in Loop: Header=BB2_6908 Depth=3
	s_andn2_saveexec_b64 s[28:29], s[28:29]
; %bb.7058:                             ;   in Loop: Header=BB2_6908 Depth=3
	v_mov_b32_e32 v2, v28
	v_mov_b32_e32 v3, v29
	v_bfe_u32 v4, v28, 23, 1
; %bb.7059:                             ;   in Loop: Header=BB2_6908 Depth=3
	s_or_b64 exec, exec, s[28:29]
	v_lshrrev_b64 v[2:3], 21, v[2:3]
	v_cmp_gt_i32_e32 vcc, 32, v4
	v_cndmask_b32_e32 v3, 0, v3, vcc
	v_cndmask_b32_e32 v2, 3, v2, vcc
	v_cmp_ne_u64_e32 vcc, 0, v[2:3]
	v_cmp_ne_u32_e64 s[28:29], 0, v4
	s_or_b64 s[28:29], s[28:29], vcc
                                        ; implicit-def: $vgpr57
	s_and_saveexec_b64 vcc, s[28:29]
	s_xor_b64 s[28:29], exec, vcc
; %bb.7060:                             ;   in Loop: Header=BB2_6908 Depth=3
	v_min_i32_e32 v3, 31, v4
	v_lshl_or_b32 v3, v3, 2, v14
	v_and_or_b32 v57, v2, 3, v3
                                        ; implicit-def: $vgpr14
; %bb.7061:                             ;   in Loop: Header=BB2_6908 Depth=3
	s_andn2_saveexec_b64 s[28:29], s[28:29]
; %bb.7062:                             ;   in Loop: Header=BB2_6908 Depth=3
	v_mov_b32_e32 v57, v14
; %bb.7063:                             ;   in Loop: Header=BB2_6908 Depth=3
	s_or_b64 exec, exec, s[28:29]
.LBB2_7064:                             ;   in Loop: Header=BB2_6908 Depth=3
	s_or_b64 exec, exec, s[38:39]
                                        ; implicit-def: $vgpr14
.LBB2_7065:                             ;   in Loop: Header=BB2_6908 Depth=3
	s_andn2_saveexec_b64 s[28:29], s[36:37]
; %bb.7066:                             ;   in Loop: Header=BB2_6908 Depth=3
	v_or_b32_e32 v57, 0x7b, v14
; %bb.7067:                             ;   in Loop: Header=BB2_6908 Depth=3
	s_or_b64 exec, exec, s[28:29]
                                        ; implicit-def: $vgpr2
.LBB2_7068:                             ;   in Loop: Header=BB2_6908 Depth=3
	s_andn2_saveexec_b64 s[28:29], s[34:35]
	s_cbranch_execz .LBB2_7074
; %bb.7069:                             ;   in Loop: Header=BB2_6908 Depth=3
	v_cmp_ne_u64_e32 vcc, 0, v[28:29]
                                        ; implicit-def: $vgpr57
	s_and_saveexec_b64 s[34:35], vcc
	s_xor_b64 vcc, exec, s[34:35]
; %bb.7070:                             ;   in Loop: Header=BB2_6908 Depth=3
	v_or_b32_sdwa v57, v2, s47 dst_sel:DWORD dst_unused:UNUSED_PAD src0_sel:BYTE_3 src1_sel:DWORD
                                        ; implicit-def: $vgpr2
; %bb.7071:                             ;   in Loop: Header=BB2_6908 Depth=3
	s_andn2_saveexec_b64 s[34:35], vcc
; %bb.7072:                             ;   in Loop: Header=BB2_6908 Depth=3
	v_cmp_lt_i32_e32 vcc, -1, v2
	v_cndmask_b32_e32 v57, -4, v22, vcc
; %bb.7073:                             ;   in Loop: Header=BB2_6908 Depth=3
	s_or_b64 exec, exec, s[34:35]
.LBB2_7074:                             ;   in Loop: Header=BB2_6908 Depth=3
	s_or_b64 exec, exec, s[28:29]
	flat_load_sbyte v2, v[40:41] offset:320 glc slc
	v_mov_b32_e32 v3, 0
	s_waitcnt vmcnt(0) lgkmcnt(0)
	v_cmp_ne_u16_e32 vcc, 0, v2
	s_and_saveexec_b64 s[28:29], vcc
	s_cbranch_execz .LBB2_7082
; %bb.7075:                             ;   in Loop: Header=BB2_6908 Depth=3
	v_cmp_ne_u16_e32 vcc, s97, v2
	v_bfrev_b32_e32 v3, 1
	s_and_saveexec_b64 s[34:35], vcc
	s_cbranch_execz .LBB2_7081
; %bb.7076:                             ;   in Loop: Header=BB2_6908 Depth=3
	v_and_b32_e32 v3, 0x7c, v2
	v_and_b32_e32 v4, 3, v2
	v_cmp_ne_u32_e32 vcc, s85, v3
                                        ; implicit-def: $vgpr3
	s_and_saveexec_b64 s[36:37], vcc
	s_xor_b64 s[36:37], exec, s[36:37]
	s_cbranch_execz .LBB2_7078
; %bb.7077:                             ;   in Loop: Header=BB2_6908 Depth=3
	v_and_b32_e32 v14, 0xff, v2
	v_bfe_u32 v16, v14, 2, 5
	v_ffbh_u32_e32 v14, v4
	v_min_u32_e32 v18, 32, v14
	v_mov_b32_e32 v3, v29
	v_subrev_u32_e32 v14, 29, v18
	v_lshlrev_b64 v[14:15], v14, v[2:3]
	v_sub_u32_e32 v3, 30, v18
	v_cmp_eq_u32_e32 vcc, 0, v16
	v_and_b32_e32 v14, 3, v14
	v_cndmask_b32_e32 v3, v16, v3, vcc
	v_and_b32_sdwa v2, sext(v2), s86 dst_sel:DWORD dst_unused:UNUSED_PAD src0_sel:WORD_0 src1_sel:DWORD
	v_cndmask_b32_e32 v4, v4, v14, vcc
	v_lshl_add_u32 v2, v3, 23, v2
	v_lshl_or_b32 v2, v4, 21, v2
	v_add_u32_e32 v3, 0x38000000, v2
                                        ; implicit-def: $vgpr4
                                        ; implicit-def: $vgpr2
.LBB2_7078:                             ;   in Loop: Header=BB2_6908 Depth=3
	s_andn2_saveexec_b64 s[36:37], s[36:37]
; %bb.7079:                             ;   in Loop: Header=BB2_6908 Depth=3
	v_cmp_lt_i16_e32 vcc, -1, v2
	v_cndmask_b32_e32 v2, v7, v0, vcc
	v_cmp_eq_u32_e32 vcc, 0, v4
	v_cndmask_b32_e32 v3, v35, v2, vcc
; %bb.7080:                             ;   in Loop: Header=BB2_6908 Depth=3
	s_or_b64 exec, exec, s[36:37]
.LBB2_7081:                             ;   in Loop: Header=BB2_6908 Depth=3
	s_or_b64 exec, exec, s[34:35]
.LBB2_7082:                             ;   in Loop: Header=BB2_6908 Depth=3
	s_or_b64 exec, exec, s[28:29]
	v_mul_f32_e32 v2, v5, v3
	v_and_b32_e32 v3, 0x7f800000, v2
	v_mov_b32_e32 v4, v29
	v_cmp_ne_u64_e32 vcc, s[76:77], v[3:4]
	v_and_b32_e32 v28, 0x7fffff, v2
                                        ; implicit-def: $vgpr56
	s_and_saveexec_b64 s[28:29], vcc
	s_xor_b64 s[34:35], exec, s[28:29]
	s_cbranch_execz .LBB2_7100
; %bb.7083:                             ;   in Loop: Header=BB2_6908 Depth=3
	v_and_b32_e32 v3, 0x7fffffff, v2
	v_mov_b32_e32 v4, v29
	v_cmp_gt_u64_e32 vcc, s[78:79], v[3:4]
	v_and_b32_sdwa v14, v2, s96 dst_sel:DWORD dst_unused:UNUSED_PAD src0_sel:BYTE_3 src1_sel:DWORD
                                        ; implicit-def: $vgpr56
	s_and_saveexec_b64 s[28:29], vcc
	s_xor_b64 s[36:37], exec, s[28:29]
	s_cbranch_execz .LBB2_7097
; %bb.7084:                             ;   in Loop: Header=BB2_6908 Depth=3
	v_cmp_ne_u32_e32 vcc, 0, v2
	v_mov_b32_e32 v56, 0
	s_and_saveexec_b64 s[38:39], vcc
	s_cbranch_execz .LBB2_7096
; %bb.7085:                             ;   in Loop: Header=BB2_6908 Depth=3
	v_bfe_u32 v15, v2, 23, 8
	v_cmp_gt_u32_e64 s[28:29], s46, v15
	v_sub_u32_e32 v2, 0x71, v15
	v_cmp_eq_u32_e32 vcc, 0, v15
	v_cndmask_b32_e64 v2, 0, v2, s[28:29]
	v_mov_b32_e32 v4, 0x70
	v_cndmask_b32_e32 v16, v2, v4, vcc
	v_add_u32_e32 v4, 21, v16
	v_or_b32_e32 v3, 0x800000, v28
	v_lshlrev_b64 v[30:31], v4, -1
	v_cndmask_b32_e32 v2, v3, v28, vcc
	v_mov_b32_e32 v3, v29
	v_add_u32_e32 v4, 20, v16
	v_bfi_b32 v30, v30, 0, v2
	v_lshlrev_b64 v[32:33], v4, 1
	v_lshrrev_b64 v[2:3], v16, v[2:3]
	v_bfi_b32 v31, v31, 0, 0
	v_cmp_eq_u64_e64 s[28:29], v[30:31], v[32:33]
	v_mov_b32_e32 v4, v3
	v_mov_b32_e32 v3, v2
	s_and_saveexec_b64 s[48:49], s[28:29]
; %bb.7086:                             ;   in Loop: Header=BB2_6908 Depth=3
	v_bfe_u32 v3, v2, 21, 1
	v_add_co_u32_e64 v3, s[28:29], v2, v3
	v_add_co_u32_e64 v3, s[28:29], -1, v3
; %bb.7087:                             ;   in Loop: Header=BB2_6908 Depth=3
	s_or_b64 exec, exec, s[48:49]
	v_add_u32_e32 v4, 0xffffff81, v15
	v_cndmask_b32_e32 v4, v4, v1, vcc
	v_lshrrev_b32_e32 v15, 23, v2
	v_add3_u32 v16, v16, v4, v15
	v_add_u32_e32 v15, 14, v16
	v_and_b32_e32 v3, 0x1fffff, v3
	v_add_u32_e32 v28, v3, v2
	v_cmp_ne_u32_e32 vcc, 0, v15
                                        ; implicit-def: $vgpr2_vgpr3
                                        ; implicit-def: $vgpr4
	s_and_saveexec_b64 s[28:29], vcc
	s_xor_b64 s[28:29], exec, s[28:29]
; %bb.7088:                             ;   in Loop: Header=BB2_6908 Depth=3
	v_cmp_lt_u64_e32 vcc, s[88:89], v[28:29]
	v_add_u32_e32 v2, 15, v16
	v_cndmask_b32_e32 v4, v15, v2, vcc
	v_cndmask_b32_e64 v2, 0, 1, vcc
	v_lshrrev_b64 v[2:3], v2, v[28:29]
; %bb.7089:                             ;   in Loop: Header=BB2_6908 Depth=3
	s_andn2_saveexec_b64 s[28:29], s[28:29]
; %bb.7090:                             ;   in Loop: Header=BB2_6908 Depth=3
	v_mov_b32_e32 v2, v28
	v_mov_b32_e32 v3, v29
	v_bfe_u32 v4, v28, 23, 1
; %bb.7091:                             ;   in Loop: Header=BB2_6908 Depth=3
	s_or_b64 exec, exec, s[28:29]
	v_lshrrev_b64 v[2:3], 21, v[2:3]
	v_cmp_gt_i32_e32 vcc, 32, v4
	v_cndmask_b32_e32 v3, 0, v3, vcc
	v_cndmask_b32_e32 v2, 3, v2, vcc
	v_cmp_ne_u64_e32 vcc, 0, v[2:3]
	v_cmp_ne_u32_e64 s[28:29], 0, v4
	s_or_b64 s[28:29], s[28:29], vcc
                                        ; implicit-def: $vgpr56
	s_and_saveexec_b64 vcc, s[28:29]
	s_xor_b64 s[28:29], exec, vcc
; %bb.7092:                             ;   in Loop: Header=BB2_6908 Depth=3
	v_min_i32_e32 v3, 31, v4
	v_lshl_or_b32 v3, v3, 2, v14
	v_and_or_b32 v56, v2, 3, v3
                                        ; implicit-def: $vgpr14
; %bb.7093:                             ;   in Loop: Header=BB2_6908 Depth=3
	s_andn2_saveexec_b64 s[28:29], s[28:29]
; %bb.7094:                             ;   in Loop: Header=BB2_6908 Depth=3
	v_mov_b32_e32 v56, v14
; %bb.7095:                             ;   in Loop: Header=BB2_6908 Depth=3
	s_or_b64 exec, exec, s[28:29]
.LBB2_7096:                             ;   in Loop: Header=BB2_6908 Depth=3
	s_or_b64 exec, exec, s[38:39]
                                        ; implicit-def: $vgpr14
.LBB2_7097:                             ;   in Loop: Header=BB2_6908 Depth=3
	s_andn2_saveexec_b64 s[28:29], s[36:37]
; %bb.7098:                             ;   in Loop: Header=BB2_6908 Depth=3
	v_or_b32_e32 v56, 0x7b, v14
; %bb.7099:                             ;   in Loop: Header=BB2_6908 Depth=3
	s_or_b64 exec, exec, s[28:29]
                                        ; implicit-def: $vgpr2
.LBB2_7100:                             ;   in Loop: Header=BB2_6908 Depth=3
	s_andn2_saveexec_b64 s[28:29], s[34:35]
	s_cbranch_execz .LBB2_7106
; %bb.7101:                             ;   in Loop: Header=BB2_6908 Depth=3
	v_cmp_ne_u64_e32 vcc, 0, v[28:29]
                                        ; implicit-def: $vgpr56
	s_and_saveexec_b64 s[34:35], vcc
	s_xor_b64 vcc, exec, s[34:35]
; %bb.7102:                             ;   in Loop: Header=BB2_6908 Depth=3
	v_or_b32_sdwa v56, v2, s47 dst_sel:DWORD dst_unused:UNUSED_PAD src0_sel:BYTE_3 src1_sel:DWORD
                                        ; implicit-def: $vgpr2
; %bb.7103:                             ;   in Loop: Header=BB2_6908 Depth=3
	s_andn2_saveexec_b64 s[34:35], vcc
; %bb.7104:                             ;   in Loop: Header=BB2_6908 Depth=3
	v_cmp_lt_i32_e32 vcc, -1, v2
	v_cndmask_b32_e32 v56, -4, v22, vcc
; %bb.7105:                             ;   in Loop: Header=BB2_6908 Depth=3
	s_or_b64 exec, exec, s[34:35]
.LBB2_7106:                             ;   in Loop: Header=BB2_6908 Depth=3
	s_or_b64 exec, exec, s[28:29]
	flat_load_sbyte v2, v[40:41] offset:384 glc slc
	v_mov_b32_e32 v3, 0
	s_waitcnt vmcnt(0) lgkmcnt(0)
	v_cmp_ne_u16_e32 vcc, 0, v2
	s_and_saveexec_b64 s[28:29], vcc
	s_cbranch_execz .LBB2_7114
; %bb.7107:                             ;   in Loop: Header=BB2_6908 Depth=3
	v_cmp_ne_u16_e32 vcc, s97, v2
	v_bfrev_b32_e32 v3, 1
	s_and_saveexec_b64 s[34:35], vcc
	s_cbranch_execz .LBB2_7113
; %bb.7108:                             ;   in Loop: Header=BB2_6908 Depth=3
	v_and_b32_e32 v3, 0x7c, v2
	v_and_b32_e32 v4, 3, v2
	v_cmp_ne_u32_e32 vcc, s85, v3
                                        ; implicit-def: $vgpr3
	s_and_saveexec_b64 s[36:37], vcc
	s_xor_b64 s[36:37], exec, s[36:37]
	s_cbranch_execz .LBB2_7110
; %bb.7109:                             ;   in Loop: Header=BB2_6908 Depth=3
	v_and_b32_e32 v14, 0xff, v2
	v_bfe_u32 v16, v14, 2, 5
	v_ffbh_u32_e32 v14, v4
	v_min_u32_e32 v18, 32, v14
	v_mov_b32_e32 v3, v29
	v_subrev_u32_e32 v14, 29, v18
	v_lshlrev_b64 v[14:15], v14, v[2:3]
	v_sub_u32_e32 v3, 30, v18
	v_cmp_eq_u32_e32 vcc, 0, v16
	v_and_b32_e32 v14, 3, v14
	v_cndmask_b32_e32 v3, v16, v3, vcc
	v_and_b32_sdwa v2, sext(v2), s86 dst_sel:DWORD dst_unused:UNUSED_PAD src0_sel:WORD_0 src1_sel:DWORD
	v_cndmask_b32_e32 v4, v4, v14, vcc
	v_lshl_add_u32 v2, v3, 23, v2
	v_lshl_or_b32 v2, v4, 21, v2
	v_add_u32_e32 v3, 0x38000000, v2
                                        ; implicit-def: $vgpr4
                                        ; implicit-def: $vgpr2
.LBB2_7110:                             ;   in Loop: Header=BB2_6908 Depth=3
	s_andn2_saveexec_b64 s[36:37], s[36:37]
; %bb.7111:                             ;   in Loop: Header=BB2_6908 Depth=3
	v_cmp_lt_i16_e32 vcc, -1, v2
	v_cndmask_b32_e32 v2, v7, v0, vcc
	v_cmp_eq_u32_e32 vcc, 0, v4
	v_cndmask_b32_e32 v3, v35, v2, vcc
; %bb.7112:                             ;   in Loop: Header=BB2_6908 Depth=3
	s_or_b64 exec, exec, s[36:37]
.LBB2_7113:                             ;   in Loop: Header=BB2_6908 Depth=3
	s_or_b64 exec, exec, s[34:35]
.LBB2_7114:                             ;   in Loop: Header=BB2_6908 Depth=3
	s_or_b64 exec, exec, s[28:29]
	v_mul_f32_e32 v2, v5, v3
	v_and_b32_e32 v3, 0x7f800000, v2
	v_mov_b32_e32 v4, v29
	v_cmp_ne_u64_e32 vcc, s[76:77], v[3:4]
	v_and_b32_e32 v28, 0x7fffff, v2
                                        ; implicit-def: $vgpr55
	s_and_saveexec_b64 s[28:29], vcc
	s_xor_b64 s[34:35], exec, s[28:29]
	s_cbranch_execz .LBB2_7132
; %bb.7115:                             ;   in Loop: Header=BB2_6908 Depth=3
	v_and_b32_e32 v3, 0x7fffffff, v2
	v_mov_b32_e32 v4, v29
	v_cmp_gt_u64_e32 vcc, s[78:79], v[3:4]
	v_and_b32_sdwa v14, v2, s96 dst_sel:DWORD dst_unused:UNUSED_PAD src0_sel:BYTE_3 src1_sel:DWORD
                                        ; implicit-def: $vgpr55
	s_and_saveexec_b64 s[28:29], vcc
	s_xor_b64 s[36:37], exec, s[28:29]
	s_cbranch_execz .LBB2_7129
; %bb.7116:                             ;   in Loop: Header=BB2_6908 Depth=3
	v_cmp_ne_u32_e32 vcc, 0, v2
	v_mov_b32_e32 v55, 0
	s_and_saveexec_b64 s[38:39], vcc
	s_cbranch_execz .LBB2_7128
; %bb.7117:                             ;   in Loop: Header=BB2_6908 Depth=3
	v_bfe_u32 v15, v2, 23, 8
	v_cmp_gt_u32_e64 s[28:29], s46, v15
	v_sub_u32_e32 v2, 0x71, v15
	v_cmp_eq_u32_e32 vcc, 0, v15
	v_cndmask_b32_e64 v2, 0, v2, s[28:29]
	v_mov_b32_e32 v4, 0x70
	v_cndmask_b32_e32 v16, v2, v4, vcc
	v_add_u32_e32 v4, 21, v16
	v_or_b32_e32 v3, 0x800000, v28
	v_lshlrev_b64 v[30:31], v4, -1
	v_cndmask_b32_e32 v2, v3, v28, vcc
	v_mov_b32_e32 v3, v29
	v_add_u32_e32 v4, 20, v16
	v_bfi_b32 v30, v30, 0, v2
	v_lshlrev_b64 v[32:33], v4, 1
	v_lshrrev_b64 v[2:3], v16, v[2:3]
	v_bfi_b32 v31, v31, 0, 0
	v_cmp_eq_u64_e64 s[28:29], v[30:31], v[32:33]
	v_mov_b32_e32 v4, v3
	v_mov_b32_e32 v3, v2
	s_and_saveexec_b64 s[48:49], s[28:29]
; %bb.7118:                             ;   in Loop: Header=BB2_6908 Depth=3
	v_bfe_u32 v3, v2, 21, 1
	v_add_co_u32_e64 v3, s[28:29], v2, v3
	v_add_co_u32_e64 v3, s[28:29], -1, v3
; %bb.7119:                             ;   in Loop: Header=BB2_6908 Depth=3
	s_or_b64 exec, exec, s[48:49]
	v_add_u32_e32 v4, 0xffffff81, v15
	v_cndmask_b32_e32 v4, v4, v1, vcc
	v_lshrrev_b32_e32 v15, 23, v2
	v_add3_u32 v16, v16, v4, v15
	v_add_u32_e32 v15, 14, v16
	v_and_b32_e32 v3, 0x1fffff, v3
	v_add_u32_e32 v28, v3, v2
	v_cmp_ne_u32_e32 vcc, 0, v15
                                        ; implicit-def: $vgpr2_vgpr3
                                        ; implicit-def: $vgpr4
	s_and_saveexec_b64 s[28:29], vcc
	s_xor_b64 s[28:29], exec, s[28:29]
; %bb.7120:                             ;   in Loop: Header=BB2_6908 Depth=3
	v_cmp_lt_u64_e32 vcc, s[88:89], v[28:29]
	v_add_u32_e32 v2, 15, v16
	v_cndmask_b32_e32 v4, v15, v2, vcc
	v_cndmask_b32_e64 v2, 0, 1, vcc
	v_lshrrev_b64 v[2:3], v2, v[28:29]
; %bb.7121:                             ;   in Loop: Header=BB2_6908 Depth=3
	s_andn2_saveexec_b64 s[28:29], s[28:29]
; %bb.7122:                             ;   in Loop: Header=BB2_6908 Depth=3
	v_mov_b32_e32 v2, v28
	v_mov_b32_e32 v3, v29
	v_bfe_u32 v4, v28, 23, 1
; %bb.7123:                             ;   in Loop: Header=BB2_6908 Depth=3
	s_or_b64 exec, exec, s[28:29]
	v_lshrrev_b64 v[2:3], 21, v[2:3]
	v_cmp_gt_i32_e32 vcc, 32, v4
	v_cndmask_b32_e32 v3, 0, v3, vcc
	v_cndmask_b32_e32 v2, 3, v2, vcc
	v_cmp_ne_u64_e32 vcc, 0, v[2:3]
	v_cmp_ne_u32_e64 s[28:29], 0, v4
	s_or_b64 s[28:29], s[28:29], vcc
                                        ; implicit-def: $vgpr55
	s_and_saveexec_b64 vcc, s[28:29]
	s_xor_b64 s[28:29], exec, vcc
; %bb.7124:                             ;   in Loop: Header=BB2_6908 Depth=3
	v_min_i32_e32 v3, 31, v4
	v_lshl_or_b32 v3, v3, 2, v14
	v_and_or_b32 v55, v2, 3, v3
                                        ; implicit-def: $vgpr14
; %bb.7125:                             ;   in Loop: Header=BB2_6908 Depth=3
	s_andn2_saveexec_b64 s[28:29], s[28:29]
; %bb.7126:                             ;   in Loop: Header=BB2_6908 Depth=3
	v_mov_b32_e32 v55, v14
; %bb.7127:                             ;   in Loop: Header=BB2_6908 Depth=3
	s_or_b64 exec, exec, s[28:29]
.LBB2_7128:                             ;   in Loop: Header=BB2_6908 Depth=3
	s_or_b64 exec, exec, s[38:39]
                                        ; implicit-def: $vgpr14
.LBB2_7129:                             ;   in Loop: Header=BB2_6908 Depth=3
	s_andn2_saveexec_b64 s[28:29], s[36:37]
; %bb.7130:                             ;   in Loop: Header=BB2_6908 Depth=3
	v_or_b32_e32 v55, 0x7b, v14
; %bb.7131:                             ;   in Loop: Header=BB2_6908 Depth=3
	s_or_b64 exec, exec, s[28:29]
                                        ; implicit-def: $vgpr2
.LBB2_7132:                             ;   in Loop: Header=BB2_6908 Depth=3
	s_andn2_saveexec_b64 s[28:29], s[34:35]
	s_cbranch_execz .LBB2_7138
; %bb.7133:                             ;   in Loop: Header=BB2_6908 Depth=3
	v_cmp_ne_u64_e32 vcc, 0, v[28:29]
                                        ; implicit-def: $vgpr55
	s_and_saveexec_b64 s[34:35], vcc
	s_xor_b64 vcc, exec, s[34:35]
; %bb.7134:                             ;   in Loop: Header=BB2_6908 Depth=3
	v_or_b32_sdwa v55, v2, s47 dst_sel:DWORD dst_unused:UNUSED_PAD src0_sel:BYTE_3 src1_sel:DWORD
                                        ; implicit-def: $vgpr2
; %bb.7135:                             ;   in Loop: Header=BB2_6908 Depth=3
	s_andn2_saveexec_b64 s[34:35], vcc
; %bb.7136:                             ;   in Loop: Header=BB2_6908 Depth=3
	v_cmp_lt_i32_e32 vcc, -1, v2
	v_cndmask_b32_e32 v55, -4, v22, vcc
; %bb.7137:                             ;   in Loop: Header=BB2_6908 Depth=3
	s_or_b64 exec, exec, s[34:35]
.LBB2_7138:                             ;   in Loop: Header=BB2_6908 Depth=3
	s_or_b64 exec, exec, s[28:29]
	flat_load_sbyte v2, v[40:41] offset:448 glc slc
	v_mov_b32_e32 v3, 0
	s_waitcnt vmcnt(0) lgkmcnt(0)
	v_cmp_ne_u16_e32 vcc, 0, v2
	s_and_saveexec_b64 s[28:29], vcc
	s_cbranch_execz .LBB2_7146
; %bb.7139:                             ;   in Loop: Header=BB2_6908 Depth=3
	v_cmp_ne_u16_e32 vcc, s97, v2
	v_bfrev_b32_e32 v3, 1
	s_and_saveexec_b64 s[34:35], vcc
	s_cbranch_execz .LBB2_7145
; %bb.7140:                             ;   in Loop: Header=BB2_6908 Depth=3
	v_and_b32_e32 v3, 0x7c, v2
	v_and_b32_e32 v4, 3, v2
	v_cmp_ne_u32_e32 vcc, s85, v3
                                        ; implicit-def: $vgpr3
	s_and_saveexec_b64 s[36:37], vcc
	s_xor_b64 s[36:37], exec, s[36:37]
	s_cbranch_execz .LBB2_7142
; %bb.7141:                             ;   in Loop: Header=BB2_6908 Depth=3
	v_and_b32_e32 v14, 0xff, v2
	v_bfe_u32 v16, v14, 2, 5
	v_ffbh_u32_e32 v14, v4
	v_min_u32_e32 v18, 32, v14
	v_mov_b32_e32 v3, v29
	v_subrev_u32_e32 v14, 29, v18
	v_lshlrev_b64 v[14:15], v14, v[2:3]
	v_sub_u32_e32 v3, 30, v18
	v_cmp_eq_u32_e32 vcc, 0, v16
	v_and_b32_e32 v14, 3, v14
	v_cndmask_b32_e32 v3, v16, v3, vcc
	v_and_b32_sdwa v2, sext(v2), s86 dst_sel:DWORD dst_unused:UNUSED_PAD src0_sel:WORD_0 src1_sel:DWORD
	v_cndmask_b32_e32 v4, v4, v14, vcc
	v_lshl_add_u32 v2, v3, 23, v2
	v_lshl_or_b32 v2, v4, 21, v2
	v_add_u32_e32 v3, 0x38000000, v2
                                        ; implicit-def: $vgpr4
                                        ; implicit-def: $vgpr2
.LBB2_7142:                             ;   in Loop: Header=BB2_6908 Depth=3
	s_andn2_saveexec_b64 s[36:37], s[36:37]
; %bb.7143:                             ;   in Loop: Header=BB2_6908 Depth=3
	v_cmp_lt_i16_e32 vcc, -1, v2
	v_cndmask_b32_e32 v2, v7, v0, vcc
	v_cmp_eq_u32_e32 vcc, 0, v4
	v_cndmask_b32_e32 v3, v35, v2, vcc
; %bb.7144:                             ;   in Loop: Header=BB2_6908 Depth=3
	s_or_b64 exec, exec, s[36:37]
.LBB2_7145:                             ;   in Loop: Header=BB2_6908 Depth=3
	s_or_b64 exec, exec, s[34:35]
.LBB2_7146:                             ;   in Loop: Header=BB2_6908 Depth=3
	s_or_b64 exec, exec, s[28:29]
	v_mul_f32_e32 v2, v5, v3
	v_and_b32_e32 v3, 0x7f800000, v2
	v_mov_b32_e32 v4, v29
	v_cmp_ne_u64_e32 vcc, s[76:77], v[3:4]
	v_and_b32_e32 v28, 0x7fffff, v2
                                        ; implicit-def: $vgpr44
	s_and_saveexec_b64 s[28:29], vcc
	s_xor_b64 s[34:35], exec, s[28:29]
	s_cbranch_execz .LBB2_7164
; %bb.7147:                             ;   in Loop: Header=BB2_6908 Depth=3
	v_and_b32_e32 v3, 0x7fffffff, v2
	v_mov_b32_e32 v4, v29
	v_cmp_gt_u64_e32 vcc, s[78:79], v[3:4]
	v_and_b32_sdwa v5, v2, s96 dst_sel:DWORD dst_unused:UNUSED_PAD src0_sel:BYTE_3 src1_sel:DWORD
                                        ; implicit-def: $vgpr44
	s_and_saveexec_b64 s[28:29], vcc
	s_xor_b64 s[36:37], exec, s[28:29]
	s_cbranch_execz .LBB2_7161
; %bb.7148:                             ;   in Loop: Header=BB2_6908 Depth=3
	v_cmp_ne_u32_e32 vcc, 0, v2
	v_mov_b32_e32 v44, 0
	s_and_saveexec_b64 s[38:39], vcc
	s_cbranch_execz .LBB2_7160
; %bb.7149:                             ;   in Loop: Header=BB2_6908 Depth=3
	v_bfe_u32 v14, v2, 23, 8
	v_cmp_gt_u32_e64 s[28:29], s46, v14
	v_sub_u32_e32 v2, 0x71, v14
	v_cmp_eq_u32_e32 vcc, 0, v14
	v_cndmask_b32_e64 v2, 0, v2, s[28:29]
	v_mov_b32_e32 v4, 0x70
	v_cndmask_b32_e32 v15, v2, v4, vcc
	v_add_u32_e32 v4, 21, v15
	v_or_b32_e32 v3, 0x800000, v28
	v_lshlrev_b64 v[30:31], v4, -1
	v_cndmask_b32_e32 v2, v3, v28, vcc
	v_mov_b32_e32 v3, v29
	v_add_u32_e32 v4, 20, v15
	v_bfi_b32 v30, v30, 0, v2
	v_lshlrev_b64 v[32:33], v4, 1
	v_lshrrev_b64 v[2:3], v15, v[2:3]
	v_bfi_b32 v31, v31, 0, 0
	v_cmp_eq_u64_e64 s[28:29], v[30:31], v[32:33]
	v_mov_b32_e32 v4, v3
	v_mov_b32_e32 v3, v2
	s_and_saveexec_b64 s[48:49], s[28:29]
; %bb.7150:                             ;   in Loop: Header=BB2_6908 Depth=3
	v_bfe_u32 v3, v2, 21, 1
	v_add_co_u32_e64 v3, s[28:29], v2, v3
	v_add_co_u32_e64 v3, s[28:29], -1, v3
; %bb.7151:                             ;   in Loop: Header=BB2_6908 Depth=3
	s_or_b64 exec, exec, s[48:49]
	v_add_u32_e32 v4, 0xffffff81, v14
	v_cndmask_b32_e32 v4, v4, v1, vcc
	v_lshrrev_b32_e32 v14, 23, v2
	v_add3_u32 v15, v15, v4, v14
	v_add_u32_e32 v14, 14, v15
	v_and_b32_e32 v3, 0x1fffff, v3
	v_add_u32_e32 v28, v3, v2
	v_cmp_ne_u32_e32 vcc, 0, v14
                                        ; implicit-def: $vgpr2_vgpr3
                                        ; implicit-def: $vgpr4
	s_and_saveexec_b64 s[28:29], vcc
	s_xor_b64 s[28:29], exec, s[28:29]
; %bb.7152:                             ;   in Loop: Header=BB2_6908 Depth=3
	v_cmp_lt_u64_e32 vcc, s[88:89], v[28:29]
	v_add_u32_e32 v2, 15, v15
	v_cndmask_b32_e32 v4, v14, v2, vcc
	v_cndmask_b32_e64 v2, 0, 1, vcc
	v_lshrrev_b64 v[2:3], v2, v[28:29]
; %bb.7153:                             ;   in Loop: Header=BB2_6908 Depth=3
	s_andn2_saveexec_b64 s[28:29], s[28:29]
; %bb.7154:                             ;   in Loop: Header=BB2_6908 Depth=3
	v_mov_b32_e32 v2, v28
	v_mov_b32_e32 v3, v29
	v_bfe_u32 v4, v28, 23, 1
; %bb.7155:                             ;   in Loop: Header=BB2_6908 Depth=3
	s_or_b64 exec, exec, s[28:29]
	v_lshrrev_b64 v[2:3], 21, v[2:3]
	v_cmp_gt_i32_e32 vcc, 32, v4
	v_cndmask_b32_e32 v3, 0, v3, vcc
	v_cndmask_b32_e32 v2, 3, v2, vcc
	v_cmp_ne_u64_e32 vcc, 0, v[2:3]
	v_cmp_ne_u32_e64 s[28:29], 0, v4
	s_or_b64 s[28:29], s[28:29], vcc
                                        ; implicit-def: $vgpr44
	s_and_saveexec_b64 vcc, s[28:29]
	s_xor_b64 s[28:29], exec, vcc
; %bb.7156:                             ;   in Loop: Header=BB2_6908 Depth=3
	v_min_i32_e32 v3, 31, v4
	v_lshl_or_b32 v3, v3, 2, v5
	v_and_or_b32 v44, v2, 3, v3
                                        ; implicit-def: $vgpr5
; %bb.7157:                             ;   in Loop: Header=BB2_6908 Depth=3
	s_andn2_saveexec_b64 s[28:29], s[28:29]
; %bb.7158:                             ;   in Loop: Header=BB2_6908 Depth=3
	v_mov_b32_e32 v44, v5
; %bb.7159:                             ;   in Loop: Header=BB2_6908 Depth=3
	s_or_b64 exec, exec, s[28:29]
.LBB2_7160:                             ;   in Loop: Header=BB2_6908 Depth=3
	s_or_b64 exec, exec, s[38:39]
                                        ; implicit-def: $vgpr5
.LBB2_7161:                             ;   in Loop: Header=BB2_6908 Depth=3
	s_andn2_saveexec_b64 s[28:29], s[36:37]
; %bb.7162:                             ;   in Loop: Header=BB2_6908 Depth=3
	v_or_b32_e32 v44, 0x7b, v5
; %bb.7163:                             ;   in Loop: Header=BB2_6908 Depth=3
	s_or_b64 exec, exec, s[28:29]
                                        ; implicit-def: $vgpr2
.LBB2_7164:                             ;   in Loop: Header=BB2_6908 Depth=3
	s_andn2_saveexec_b64 s[28:29], s[34:35]
	s_cbranch_execz .LBB2_7170
; %bb.7165:                             ;   in Loop: Header=BB2_6908 Depth=3
	v_cmp_ne_u64_e32 vcc, 0, v[28:29]
                                        ; implicit-def: $vgpr44
	s_and_saveexec_b64 s[34:35], vcc
	s_xor_b64 vcc, exec, s[34:35]
; %bb.7166:                             ;   in Loop: Header=BB2_6908 Depth=3
	v_or_b32_sdwa v44, v2, s47 dst_sel:DWORD dst_unused:UNUSED_PAD src0_sel:BYTE_3 src1_sel:DWORD
                                        ; implicit-def: $vgpr2
; %bb.7167:                             ;   in Loop: Header=BB2_6908 Depth=3
	s_andn2_saveexec_b64 s[34:35], vcc
; %bb.7168:                             ;   in Loop: Header=BB2_6908 Depth=3
	v_cmp_lt_i32_e32 vcc, -1, v2
	v_cndmask_b32_e32 v44, -4, v22, vcc
; %bb.7169:                             ;   in Loop: Header=BB2_6908 Depth=3
	s_or_b64 exec, exec, s[34:35]
.LBB2_7170:                             ;   in Loop: Header=BB2_6908 Depth=3
	s_or_b64 exec, exec, s[28:29]
	flat_load_sbyte v2, v[42:43] glc slc
	flat_load_sbyte v4, v[42:43] offset:64 glc slc
	flat_load_sbyte v32, v[42:43] offset:128 glc slc
	;; [unrolled: 1-line block ×7, first 2 shown]
	v_and_b32_e32 v28, 0xff, v17
	v_cmp_ne_u16_e32 vcc, 0, v28
	v_mov_b32_e32 v3, 0
	v_mov_b32_e32 v5, 0
	s_and_saveexec_b64 s[28:29], vcc
	s_cbranch_execz .LBB2_7178
; %bb.7171:                             ;   in Loop: Header=BB2_6908 Depth=3
	v_cmp_ne_u16_e32 vcc, s96, v28
	v_bfrev_b32_e32 v5, 1
	s_and_saveexec_b64 s[34:35], vcc
	s_cbranch_execz .LBB2_7177
; %bb.7172:                             ;   in Loop: Header=BB2_6908 Depth=3
	v_and_b32_e32 v5, 0x7c, v17
	v_and_b32_e32 v15, 3, v17
	v_cmp_ne_u32_e32 vcc, s85, v5
                                        ; implicit-def: $vgpr5
	s_and_saveexec_b64 s[36:37], vcc
	s_xor_b64 s[36:37], exec, s[36:37]
	s_cbranch_execz .LBB2_7174
; %bb.7173:                             ;   in Loop: Header=BB2_6908 Depth=3
	v_bfe_u32 v5, v28, 2, 5
	v_ffbh_u32_e32 v28, v15
	v_min_u32_e32 v28, 32, v28
	v_mov_b32_e32 v18, v29
	v_subrev_u32_e32 v33, 29, v28
	v_lshlrev_b64 v[38:39], v33, v[17:18]
	v_sub_u32_e32 v18, 30, v28
	v_cmp_eq_u32_e32 vcc, 0, v5
	v_lshlrev_b32_e32 v17, 24, v17
	v_and_b32_e32 v28, 3, v38
	v_cndmask_b32_e32 v5, v5, v18, vcc
	v_and_b32_e32 v17, 0x80000000, v17
	v_cndmask_b32_e32 v15, v15, v28, vcc
	v_lshl_add_u32 v5, v5, 23, v17
	v_lshl_or_b32 v5, v15, 21, v5
	v_add_u32_e32 v5, 0x38000000, v5
                                        ; implicit-def: $vgpr15
                                        ; implicit-def: $vgpr17
.LBB2_7174:                             ;   in Loop: Header=BB2_6908 Depth=3
	s_andn2_saveexec_b64 s[36:37], s[36:37]
; %bb.7175:                             ;   in Loop: Header=BB2_6908 Depth=3
	v_cmp_gt_i16_sdwa vcc, sext(v17), v48 src0_sel:BYTE_0 src1_sel:DWORD
	v_cndmask_b32_e32 v5, v7, v0, vcc
	v_cmp_eq_u32_e32 vcc, 0, v15
	v_cndmask_b32_e32 v5, v35, v5, vcc
; %bb.7176:                             ;   in Loop: Header=BB2_6908 Depth=3
	s_or_b64 exec, exec, s[36:37]
.LBB2_7177:                             ;   in Loop: Header=BB2_6908 Depth=3
	s_or_b64 exec, exec, s[34:35]
.LBB2_7178:                             ;   in Loop: Header=BB2_6908 Depth=3
	s_or_b64 exec, exec, s[28:29]
	s_waitcnt vmcnt(0) lgkmcnt(0)
	v_cmp_ne_u16_e32 vcc, 0, v2
	s_and_saveexec_b64 s[28:29], vcc
	s_cbranch_execz .LBB2_7186
; %bb.7179:                             ;   in Loop: Header=BB2_6908 Depth=3
	v_cmp_ne_u16_e32 vcc, s97, v2
	v_bfrev_b32_e32 v3, 1
	s_and_saveexec_b64 s[34:35], vcc
	s_cbranch_execz .LBB2_7185
; %bb.7180:                             ;   in Loop: Header=BB2_6908 Depth=3
	v_and_b32_e32 v3, 0x7c, v2
	v_and_b32_e32 v15, 3, v2
	v_cmp_ne_u32_e32 vcc, s85, v3
                                        ; implicit-def: $vgpr3
	s_and_saveexec_b64 s[36:37], vcc
	s_xor_b64 s[36:37], exec, s[36:37]
	s_cbranch_execz .LBB2_7182
; %bb.7181:                             ;   in Loop: Header=BB2_6908 Depth=3
	v_and_b32_e32 v17, 0xff, v2
	v_bfe_u32 v28, v17, 2, 5
	v_ffbh_u32_e32 v17, v15
	v_min_u32_e32 v33, 32, v17
	v_mov_b32_e32 v3, v29
	v_subrev_u32_e32 v17, 29, v33
	v_lshlrev_b64 v[17:18], v17, v[2:3]
	v_sub_u32_e32 v3, 30, v33
	v_cmp_eq_u32_e32 vcc, 0, v28
	v_and_b32_e32 v17, 3, v17
	v_cndmask_b32_e32 v3, v28, v3, vcc
	v_and_b32_sdwa v2, sext(v2), s86 dst_sel:DWORD dst_unused:UNUSED_PAD src0_sel:WORD_0 src1_sel:DWORD
	v_cndmask_b32_e32 v15, v15, v17, vcc
	v_lshl_add_u32 v2, v3, 23, v2
	v_lshl_or_b32 v2, v15, 21, v2
	v_add_u32_e32 v3, 0x38000000, v2
                                        ; implicit-def: $vgpr15
                                        ; implicit-def: $vgpr2
.LBB2_7182:                             ;   in Loop: Header=BB2_6908 Depth=3
	s_andn2_saveexec_b64 s[36:37], s[36:37]
; %bb.7183:                             ;   in Loop: Header=BB2_6908 Depth=3
	v_cmp_lt_i16_e32 vcc, -1, v2
	v_cndmask_b32_e32 v2, v7, v0, vcc
	v_cmp_eq_u32_e32 vcc, 0, v15
	v_cndmask_b32_e32 v3, v35, v2, vcc
; %bb.7184:                             ;   in Loop: Header=BB2_6908 Depth=3
	s_or_b64 exec, exec, s[36:37]
.LBB2_7185:                             ;   in Loop: Header=BB2_6908 Depth=3
	s_or_b64 exec, exec, s[34:35]
.LBB2_7186:                             ;   in Loop: Header=BB2_6908 Depth=3
	s_or_b64 exec, exec, s[28:29]
	v_add_f32_e32 v2, v5, v3
	v_and_b32_e32 v17, 0x7f800000, v2
	v_mov_b32_e32 v18, v29
	v_cmp_ne_u64_e32 vcc, s[76:77], v[17:18]
	v_and_b32_e32 v28, 0x7fffff, v2
                                        ; implicit-def: $vgpr18
	s_and_saveexec_b64 s[28:29], vcc
	s_xor_b64 s[34:35], exec, s[28:29]
	s_cbranch_execz .LBB2_7204
; %bb.7187:                             ;   in Loop: Header=BB2_6908 Depth=3
	v_and_b32_e32 v17, 0x7fffffff, v2
	v_mov_b32_e32 v18, v29
	v_cmp_gt_u64_e32 vcc, s[78:79], v[17:18]
	v_and_b32_sdwa v5, v2, s96 dst_sel:DWORD dst_unused:UNUSED_PAD src0_sel:BYTE_3 src1_sel:DWORD
                                        ; implicit-def: $vgpr18
	s_and_saveexec_b64 s[28:29], vcc
	s_xor_b64 s[36:37], exec, s[28:29]
	s_cbranch_execz .LBB2_7201
; %bb.7188:                             ;   in Loop: Header=BB2_6908 Depth=3
	v_cmp_ne_u32_e32 vcc, 0, v2
	v_mov_b32_e32 v18, 0
	s_and_saveexec_b64 s[38:39], vcc
	s_cbranch_execz .LBB2_7200
; %bb.7189:                             ;   in Loop: Header=BB2_6908 Depth=3
	v_bfe_u32 v15, v2, 23, 8
	v_cmp_gt_u32_e64 s[28:29], s46, v15
	v_sub_u32_e32 v2, 0x71, v15
	v_cmp_eq_u32_e32 vcc, 0, v15
	v_cndmask_b32_e64 v2, 0, v2, s[28:29]
	v_mov_b32_e32 v17, 0x70
	v_cndmask_b32_e32 v33, v2, v17, vcc
	v_add_u32_e32 v17, 21, v33
	v_or_b32_e32 v3, 0x800000, v28
	v_lshlrev_b64 v[17:18], v17, -1
	v_cndmask_b32_e32 v2, v3, v28, vcc
	v_mov_b32_e32 v3, v29
	v_add_u32_e32 v28, 20, v33
	v_bfi_b32 v17, v17, 0, v2
	v_lshlrev_b64 v[38:39], v28, 1
	v_lshrrev_b64 v[2:3], v33, v[2:3]
	v_bfi_b32 v18, v18, 0, 0
	v_cmp_eq_u64_e64 s[28:29], v[17:18], v[38:39]
	v_mov_b32_e32 v18, v3
	v_mov_b32_e32 v17, v2
	s_and_saveexec_b64 s[48:49], s[28:29]
; %bb.7190:                             ;   in Loop: Header=BB2_6908 Depth=3
	v_bfe_u32 v3, v2, 21, 1
	v_add_co_u32_e64 v3, s[28:29], v2, v3
	v_add_co_u32_e64 v17, s[28:29], -1, v3
; %bb.7191:                             ;   in Loop: Header=BB2_6908 Depth=3
	s_or_b64 exec, exec, s[48:49]
	v_add_u32_e32 v3, 0xffffff81, v15
	v_cndmask_b32_e32 v3, v3, v1, vcc
	v_lshrrev_b32_e32 v15, 23, v2
	v_add3_u32 v33, v33, v3, v15
	v_add_u32_e32 v18, 14, v33
	v_and_b32_e32 v3, 0x1fffff, v17
	v_add_u32_e32 v28, v3, v2
	v_cmp_ne_u32_e32 vcc, 0, v18
                                        ; implicit-def: $vgpr2_vgpr3
                                        ; implicit-def: $vgpr15
	s_and_saveexec_b64 s[28:29], vcc
	s_xor_b64 s[28:29], exec, s[28:29]
; %bb.7192:                             ;   in Loop: Header=BB2_6908 Depth=3
	v_cmp_lt_u64_e32 vcc, s[88:89], v[28:29]
	v_add_u32_e32 v2, 15, v33
	v_cndmask_b32_e32 v15, v18, v2, vcc
	v_cndmask_b32_e64 v2, 0, 1, vcc
	v_lshrrev_b64 v[2:3], v2, v[28:29]
; %bb.7193:                             ;   in Loop: Header=BB2_6908 Depth=3
	s_andn2_saveexec_b64 s[28:29], s[28:29]
; %bb.7194:                             ;   in Loop: Header=BB2_6908 Depth=3
	v_mov_b32_e32 v2, v28
	v_mov_b32_e32 v3, v29
	v_bfe_u32 v15, v28, 23, 1
; %bb.7195:                             ;   in Loop: Header=BB2_6908 Depth=3
	s_or_b64 exec, exec, s[28:29]
	v_lshrrev_b64 v[2:3], 21, v[2:3]
	v_cmp_gt_i32_e32 vcc, 32, v15
	v_cndmask_b32_e32 v3, 0, v3, vcc
	v_cndmask_b32_e32 v2, 3, v2, vcc
	v_cmp_ne_u64_e32 vcc, 0, v[2:3]
	v_cmp_ne_u32_e64 s[28:29], 0, v15
	s_or_b64 s[28:29], s[28:29], vcc
                                        ; implicit-def: $vgpr18
	s_and_saveexec_b64 vcc, s[28:29]
	s_xor_b64 s[28:29], exec, vcc
; %bb.7196:                             ;   in Loop: Header=BB2_6908 Depth=3
	v_min_i32_e32 v3, 31, v15
	v_lshl_or_b32 v3, v3, 2, v5
	v_and_or_b32 v18, v2, 3, v3
                                        ; implicit-def: $vgpr5
; %bb.7197:                             ;   in Loop: Header=BB2_6908 Depth=3
	s_andn2_saveexec_b64 s[28:29], s[28:29]
; %bb.7198:                             ;   in Loop: Header=BB2_6908 Depth=3
	v_mov_b32_e32 v18, v5
; %bb.7199:                             ;   in Loop: Header=BB2_6908 Depth=3
	s_or_b64 exec, exec, s[28:29]
.LBB2_7200:                             ;   in Loop: Header=BB2_6908 Depth=3
	s_or_b64 exec, exec, s[38:39]
                                        ; implicit-def: $vgpr5
.LBB2_7201:                             ;   in Loop: Header=BB2_6908 Depth=3
	s_andn2_saveexec_b64 s[28:29], s[36:37]
; %bb.7202:                             ;   in Loop: Header=BB2_6908 Depth=3
	v_or_b32_e32 v18, 0x7b, v5
; %bb.7203:                             ;   in Loop: Header=BB2_6908 Depth=3
	s_or_b64 exec, exec, s[28:29]
                                        ; implicit-def: $vgpr2
.LBB2_7204:                             ;   in Loop: Header=BB2_6908 Depth=3
	s_andn2_saveexec_b64 s[28:29], s[34:35]
	s_cbranch_execz .LBB2_7210
; %bb.7205:                             ;   in Loop: Header=BB2_6908 Depth=3
	v_cmp_ne_u64_e32 vcc, 0, v[28:29]
                                        ; implicit-def: $vgpr18
	s_and_saveexec_b64 s[34:35], vcc
	s_xor_b64 vcc, exec, s[34:35]
; %bb.7206:                             ;   in Loop: Header=BB2_6908 Depth=3
	v_or_b32_sdwa v18, v2, s47 dst_sel:DWORD dst_unused:UNUSED_PAD src0_sel:BYTE_3 src1_sel:DWORD
                                        ; implicit-def: $vgpr2
; %bb.7207:                             ;   in Loop: Header=BB2_6908 Depth=3
	s_andn2_saveexec_b64 s[34:35], vcc
; %bb.7208:                             ;   in Loop: Header=BB2_6908 Depth=3
	v_cmp_lt_i32_e32 vcc, -1, v2
	v_cndmask_b32_e32 v18, -4, v22, vcc
; %bb.7209:                             ;   in Loop: Header=BB2_6908 Depth=3
	s_or_b64 exec, exec, s[34:35]
.LBB2_7210:                             ;   in Loop: Header=BB2_6908 Depth=3
	s_or_b64 exec, exec, s[28:29]
	v_and_b32_e32 v15, 0xff, v60
	v_cmp_ne_u16_e32 vcc, 0, v15
	v_mov_b32_e32 v2, 0
	v_mov_b32_e32 v3, 0
	s_and_saveexec_b64 s[28:29], vcc
	s_cbranch_execz .LBB2_7218
; %bb.7211:                             ;   in Loop: Header=BB2_6908 Depth=3
	v_cmp_ne_u16_e32 vcc, s96, v15
	v_bfrev_b32_e32 v3, 1
	s_and_saveexec_b64 s[34:35], vcc
	s_cbranch_execz .LBB2_7217
; %bb.7212:                             ;   in Loop: Header=BB2_6908 Depth=3
	v_and_b32_e32 v3, 0x7c, v60
	v_and_b32_e32 v5, 3, v60
	v_cmp_ne_u32_e32 vcc, s85, v3
                                        ; implicit-def: $vgpr3
	s_and_saveexec_b64 s[36:37], vcc
	s_xor_b64 s[36:37], exec, s[36:37]
	s_cbranch_execz .LBB2_7214
; %bb.7213:                             ;   in Loop: Header=BB2_6908 Depth=3
	v_bfe_u32 v3, v15, 2, 5
	v_ffbh_u32_e32 v15, v5
	v_min_u32_e32 v15, 32, v15
	v_mov_b32_e32 v61, v29
	v_subrev_u32_e32 v17, 29, v15
	v_lshlrev_b64 v[38:39], v17, v[60:61]
	v_sub_u32_e32 v15, 30, v15
	v_cmp_eq_u32_e32 vcc, 0, v3
	v_cndmask_b32_e32 v3, v3, v15, vcc
	v_lshlrev_b32_e32 v15, 24, v60
	v_and_b32_e32 v17, 3, v38
	v_and_b32_e32 v15, 0x80000000, v15
	v_cndmask_b32_e32 v5, v5, v17, vcc
	v_lshl_add_u32 v3, v3, 23, v15
	v_lshl_or_b32 v3, v5, 21, v3
	v_add_u32_e32 v3, 0x38000000, v3
                                        ; implicit-def: $vgpr5
                                        ; implicit-def: $vgpr60
.LBB2_7214:                             ;   in Loop: Header=BB2_6908 Depth=3
	s_andn2_saveexec_b64 s[36:37], s[36:37]
; %bb.7215:                             ;   in Loop: Header=BB2_6908 Depth=3
	v_cmp_gt_i16_sdwa vcc, sext(v60), v48 src0_sel:BYTE_0 src1_sel:DWORD
	v_cndmask_b32_e32 v3, v7, v0, vcc
	v_cmp_eq_u32_e32 vcc, 0, v5
	v_cndmask_b32_e32 v3, v35, v3, vcc
; %bb.7216:                             ;   in Loop: Header=BB2_6908 Depth=3
	s_or_b64 exec, exec, s[36:37]
.LBB2_7217:                             ;   in Loop: Header=BB2_6908 Depth=3
	s_or_b64 exec, exec, s[34:35]
.LBB2_7218:                             ;   in Loop: Header=BB2_6908 Depth=3
	s_or_b64 exec, exec, s[28:29]
	v_cmp_ne_u16_e32 vcc, 0, v4
	s_and_saveexec_b64 s[28:29], vcc
	s_cbranch_execz .LBB2_7226
; %bb.7219:                             ;   in Loop: Header=BB2_6908 Depth=3
	v_cmp_ne_u16_e32 vcc, s97, v4
	v_bfrev_b32_e32 v2, 1
	s_and_saveexec_b64 s[34:35], vcc
	s_cbranch_execz .LBB2_7225
; %bb.7220:                             ;   in Loop: Header=BB2_6908 Depth=3
	v_and_b32_e32 v2, 0x7c, v4
	v_and_b32_e32 v15, 3, v4
	v_cmp_ne_u32_e32 vcc, s85, v2
                                        ; implicit-def: $vgpr2
	s_and_saveexec_b64 s[36:37], vcc
	s_xor_b64 s[36:37], exec, s[36:37]
	s_cbranch_execz .LBB2_7222
; %bb.7221:                             ;   in Loop: Header=BB2_6908 Depth=3
	v_ffbh_u32_e32 v17, v15
	v_min_u32_e32 v17, 32, v17
	v_and_b32_e32 v2, 0xff, v4
	v_mov_b32_e32 v5, v29
	v_subrev_u32_e32 v28, 29, v17
	v_bfe_u32 v2, v2, 2, 5
	v_lshlrev_b64 v[38:39], v28, v[4:5]
	v_sub_u32_e32 v5, 30, v17
	v_cmp_eq_u32_e32 vcc, 0, v2
	v_and_b32_e32 v17, 3, v38
	v_cndmask_b32_e32 v2, v2, v5, vcc
	v_and_b32_sdwa v4, sext(v4), s86 dst_sel:DWORD dst_unused:UNUSED_PAD src0_sel:WORD_0 src1_sel:DWORD
	v_cndmask_b32_e32 v5, v15, v17, vcc
	v_lshl_add_u32 v2, v2, 23, v4
	v_lshl_or_b32 v2, v5, 21, v2
	v_add_u32_e32 v2, 0x38000000, v2
                                        ; implicit-def: $vgpr15
                                        ; implicit-def: $vgpr4
.LBB2_7222:                             ;   in Loop: Header=BB2_6908 Depth=3
	s_andn2_saveexec_b64 s[36:37], s[36:37]
; %bb.7223:                             ;   in Loop: Header=BB2_6908 Depth=3
	v_cmp_lt_i16_e32 vcc, -1, v4
	v_cndmask_b32_e32 v2, v7, v0, vcc
	v_cmp_eq_u32_e32 vcc, 0, v15
	v_cndmask_b32_e32 v2, v35, v2, vcc
; %bb.7224:                             ;   in Loop: Header=BB2_6908 Depth=3
	s_or_b64 exec, exec, s[36:37]
.LBB2_7225:                             ;   in Loop: Header=BB2_6908 Depth=3
	s_or_b64 exec, exec, s[34:35]
.LBB2_7226:                             ;   in Loop: Header=BB2_6908 Depth=3
	s_or_b64 exec, exec, s[28:29]
	v_add_f32_e32 v2, v3, v2
	v_and_b32_e32 v3, 0x7f800000, v2
	v_mov_b32_e32 v4, v29
	v_cmp_ne_u64_e32 vcc, s[76:77], v[3:4]
	v_and_b32_e32 v28, 0x7fffff, v2
                                        ; implicit-def: $vgpr5
	s_and_saveexec_b64 s[28:29], vcc
	s_xor_b64 s[34:35], exec, s[28:29]
	s_cbranch_execz .LBB2_7244
; %bb.7227:                             ;   in Loop: Header=BB2_6908 Depth=3
	v_and_b32_e32 v3, 0x7fffffff, v2
	v_mov_b32_e32 v4, v29
	v_cmp_gt_u64_e32 vcc, s[78:79], v[3:4]
	v_and_b32_sdwa v15, v2, s96 dst_sel:DWORD dst_unused:UNUSED_PAD src0_sel:BYTE_3 src1_sel:DWORD
                                        ; implicit-def: $vgpr5
	s_and_saveexec_b64 s[28:29], vcc
	s_xor_b64 s[36:37], exec, s[28:29]
	s_cbranch_execz .LBB2_7241
; %bb.7228:                             ;   in Loop: Header=BB2_6908 Depth=3
	v_cmp_ne_u32_e32 vcc, 0, v2
	v_mov_b32_e32 v5, 0
	s_and_saveexec_b64 s[38:39], vcc
	s_cbranch_execz .LBB2_7240
; %bb.7229:                             ;   in Loop: Header=BB2_6908 Depth=3
	v_bfe_u32 v5, v2, 23, 8
	v_cmp_gt_u32_e64 s[28:29], s46, v5
	v_sub_u32_e32 v2, 0x71, v5
	v_cmp_eq_u32_e32 vcc, 0, v5
	v_cndmask_b32_e64 v2, 0, v2, s[28:29]
	v_mov_b32_e32 v4, 0x70
	v_cndmask_b32_e32 v17, v2, v4, vcc
	v_add_u32_e32 v4, 21, v17
	v_or_b32_e32 v3, 0x800000, v28
	v_lshlrev_b64 v[38:39], v4, -1
	v_cndmask_b32_e32 v2, v3, v28, vcc
	v_mov_b32_e32 v3, v29
	v_add_u32_e32 v4, 20, v17
	v_bfi_b32 v38, v38, 0, v2
	v_lshlrev_b64 v[60:61], v4, 1
	v_lshrrev_b64 v[2:3], v17, v[2:3]
	v_bfi_b32 v39, v39, 0, 0
	v_cmp_eq_u64_e64 s[28:29], v[38:39], v[60:61]
	v_mov_b32_e32 v4, v3
	v_mov_b32_e32 v3, v2
	s_and_saveexec_b64 s[48:49], s[28:29]
; %bb.7230:                             ;   in Loop: Header=BB2_6908 Depth=3
	v_bfe_u32 v3, v2, 21, 1
	v_add_co_u32_e64 v3, s[28:29], v2, v3
	v_add_co_u32_e64 v3, s[28:29], -1, v3
; %bb.7231:                             ;   in Loop: Header=BB2_6908 Depth=3
	s_or_b64 exec, exec, s[48:49]
	v_add_u32_e32 v4, 0xffffff81, v5
	v_cndmask_b32_e32 v4, v4, v1, vcc
	v_lshrrev_b32_e32 v5, 23, v2
	v_add3_u32 v17, v17, v4, v5
	v_add_u32_e32 v5, 14, v17
	v_and_b32_e32 v3, 0x1fffff, v3
	v_add_u32_e32 v28, v3, v2
	v_cmp_ne_u32_e32 vcc, 0, v5
                                        ; implicit-def: $vgpr2_vgpr3
                                        ; implicit-def: $vgpr4
	s_and_saveexec_b64 s[28:29], vcc
	s_xor_b64 s[28:29], exec, s[28:29]
; %bb.7232:                             ;   in Loop: Header=BB2_6908 Depth=3
	v_cmp_lt_u64_e32 vcc, s[88:89], v[28:29]
	v_add_u32_e32 v2, 15, v17
	v_cndmask_b32_e32 v4, v5, v2, vcc
	v_cndmask_b32_e64 v2, 0, 1, vcc
	v_lshrrev_b64 v[2:3], v2, v[28:29]
; %bb.7233:                             ;   in Loop: Header=BB2_6908 Depth=3
	s_andn2_saveexec_b64 s[28:29], s[28:29]
; %bb.7234:                             ;   in Loop: Header=BB2_6908 Depth=3
	v_mov_b32_e32 v2, v28
	v_mov_b32_e32 v3, v29
	v_bfe_u32 v4, v28, 23, 1
; %bb.7235:                             ;   in Loop: Header=BB2_6908 Depth=3
	s_or_b64 exec, exec, s[28:29]
	v_lshrrev_b64 v[2:3], 21, v[2:3]
	v_cmp_gt_i32_e32 vcc, 32, v4
	v_cndmask_b32_e32 v3, 0, v3, vcc
	v_cndmask_b32_e32 v2, 3, v2, vcc
	v_cmp_ne_u64_e32 vcc, 0, v[2:3]
	v_cmp_ne_u32_e64 s[28:29], 0, v4
	s_or_b64 s[28:29], s[28:29], vcc
                                        ; implicit-def: $vgpr5
	s_and_saveexec_b64 vcc, s[28:29]
	s_xor_b64 s[28:29], exec, vcc
; %bb.7236:                             ;   in Loop: Header=BB2_6908 Depth=3
	v_min_i32_e32 v3, 31, v4
	v_lshl_or_b32 v3, v3, 2, v15
	v_and_or_b32 v5, v2, 3, v3
                                        ; implicit-def: $vgpr15
; %bb.7237:                             ;   in Loop: Header=BB2_6908 Depth=3
	s_andn2_saveexec_b64 s[28:29], s[28:29]
; %bb.7238:                             ;   in Loop: Header=BB2_6908 Depth=3
	v_mov_b32_e32 v5, v15
; %bb.7239:                             ;   in Loop: Header=BB2_6908 Depth=3
	s_or_b64 exec, exec, s[28:29]
.LBB2_7240:                             ;   in Loop: Header=BB2_6908 Depth=3
	s_or_b64 exec, exec, s[38:39]
                                        ; implicit-def: $vgpr15
.LBB2_7241:                             ;   in Loop: Header=BB2_6908 Depth=3
	s_andn2_saveexec_b64 s[28:29], s[36:37]
; %bb.7242:                             ;   in Loop: Header=BB2_6908 Depth=3
	v_or_b32_e32 v5, 0x7b, v15
; %bb.7243:                             ;   in Loop: Header=BB2_6908 Depth=3
	s_or_b64 exec, exec, s[28:29]
                                        ; implicit-def: $vgpr2
.LBB2_7244:                             ;   in Loop: Header=BB2_6908 Depth=3
	s_andn2_saveexec_b64 s[28:29], s[34:35]
	s_cbranch_execz .LBB2_7250
; %bb.7245:                             ;   in Loop: Header=BB2_6908 Depth=3
	v_cmp_ne_u64_e32 vcc, 0, v[28:29]
                                        ; implicit-def: $vgpr5
	s_and_saveexec_b64 s[34:35], vcc
	s_xor_b64 vcc, exec, s[34:35]
; %bb.7246:                             ;   in Loop: Header=BB2_6908 Depth=3
	v_or_b32_sdwa v5, v2, s47 dst_sel:DWORD dst_unused:UNUSED_PAD src0_sel:BYTE_3 src1_sel:DWORD
                                        ; implicit-def: $vgpr2
; %bb.7247:                             ;   in Loop: Header=BB2_6908 Depth=3
	s_andn2_saveexec_b64 s[34:35], vcc
; %bb.7248:                             ;   in Loop: Header=BB2_6908 Depth=3
	v_cmp_lt_i32_e32 vcc, -1, v2
	v_cndmask_b32_e32 v5, -4, v22, vcc
; %bb.7249:                             ;   in Loop: Header=BB2_6908 Depth=3
	s_or_b64 exec, exec, s[34:35]
.LBB2_7250:                             ;   in Loop: Header=BB2_6908 Depth=3
	s_or_b64 exec, exec, s[28:29]
	v_and_b32_e32 v15, 0xff, v59
	v_cmp_ne_u16_e32 vcc, 0, v15
	v_mov_b32_e32 v2, 0
	v_mov_b32_e32 v3, 0
	s_and_saveexec_b64 s[28:29], vcc
	s_cbranch_execz .LBB2_7258
; %bb.7251:                             ;   in Loop: Header=BB2_6908 Depth=3
	v_cmp_ne_u16_e32 vcc, s96, v15
	v_bfrev_b32_e32 v3, 1
	s_and_saveexec_b64 s[34:35], vcc
	s_cbranch_execz .LBB2_7257
; %bb.7252:                             ;   in Loop: Header=BB2_6908 Depth=3
	v_and_b32_e32 v3, 0x7c, v59
	v_and_b32_e32 v4, 3, v59
	v_cmp_ne_u32_e32 vcc, s85, v3
                                        ; implicit-def: $vgpr3
	s_and_saveexec_b64 s[36:37], vcc
	s_xor_b64 s[36:37], exec, s[36:37]
	s_cbranch_execz .LBB2_7254
; %bb.7253:                             ;   in Loop: Header=BB2_6908 Depth=3
	v_bfe_u32 v3, v15, 2, 5
	v_ffbh_u32_e32 v15, v4
	v_min_u32_e32 v15, 32, v15
	v_mov_b32_e32 v60, v29
	v_subrev_u32_e32 v17, 29, v15
	v_lshlrev_b64 v[38:39], v17, v[59:60]
	v_sub_u32_e32 v15, 30, v15
	v_cmp_eq_u32_e32 vcc, 0, v3
	v_cndmask_b32_e32 v3, v3, v15, vcc
	v_lshlrev_b32_e32 v15, 24, v59
	v_and_b32_e32 v17, 3, v38
	v_and_b32_e32 v15, 0x80000000, v15
	v_cndmask_b32_e32 v4, v4, v17, vcc
	v_lshl_add_u32 v3, v3, 23, v15
	v_lshl_or_b32 v3, v4, 21, v3
	v_add_u32_e32 v3, 0x38000000, v3
                                        ; implicit-def: $vgpr4
                                        ; implicit-def: $vgpr59
.LBB2_7254:                             ;   in Loop: Header=BB2_6908 Depth=3
	s_andn2_saveexec_b64 s[36:37], s[36:37]
; %bb.7255:                             ;   in Loop: Header=BB2_6908 Depth=3
	v_cmp_gt_i16_sdwa vcc, sext(v59), v48 src0_sel:BYTE_0 src1_sel:DWORD
	v_cndmask_b32_e32 v3, v7, v0, vcc
	v_cmp_eq_u32_e32 vcc, 0, v4
	v_cndmask_b32_e32 v3, v35, v3, vcc
; %bb.7256:                             ;   in Loop: Header=BB2_6908 Depth=3
	s_or_b64 exec, exec, s[36:37]
.LBB2_7257:                             ;   in Loop: Header=BB2_6908 Depth=3
	s_or_b64 exec, exec, s[34:35]
.LBB2_7258:                             ;   in Loop: Header=BB2_6908 Depth=3
	s_or_b64 exec, exec, s[28:29]
	v_cmp_ne_u16_e32 vcc, 0, v32
	s_and_saveexec_b64 s[28:29], vcc
	s_cbranch_execz .LBB2_7266
; %bb.7259:                             ;   in Loop: Header=BB2_6908 Depth=3
	v_cmp_ne_u16_e32 vcc, s97, v32
	v_bfrev_b32_e32 v2, 1
	s_and_saveexec_b64 s[34:35], vcc
	s_cbranch_execz .LBB2_7265
; %bb.7260:                             ;   in Loop: Header=BB2_6908 Depth=3
	v_and_b32_e32 v2, 0x7c, v32
	v_and_b32_e32 v4, 3, v32
	v_cmp_ne_u32_e32 vcc, s85, v2
                                        ; implicit-def: $vgpr2
	s_and_saveexec_b64 s[36:37], vcc
	s_xor_b64 s[36:37], exec, s[36:37]
	s_cbranch_execz .LBB2_7262
; %bb.7261:                             ;   in Loop: Header=BB2_6908 Depth=3
	v_ffbh_u32_e32 v15, v4
	v_min_u32_e32 v15, 32, v15
	v_and_b32_e32 v2, 0xff, v32
	v_mov_b32_e32 v33, v29
	v_subrev_u32_e32 v17, 29, v15
	v_bfe_u32 v2, v2, 2, 5
	v_lshlrev_b64 v[38:39], v17, v[32:33]
	v_sub_u32_e32 v15, 30, v15
	v_cmp_eq_u32_e32 vcc, 0, v2
	v_and_b32_e32 v17, 3, v38
	v_cndmask_b32_e32 v2, v2, v15, vcc
	v_and_b32_sdwa v15, sext(v32), s86 dst_sel:DWORD dst_unused:UNUSED_PAD src0_sel:WORD_0 src1_sel:DWORD
	v_cndmask_b32_e32 v4, v4, v17, vcc
	v_lshl_add_u32 v2, v2, 23, v15
	v_lshl_or_b32 v2, v4, 21, v2
	v_add_u32_e32 v2, 0x38000000, v2
                                        ; implicit-def: $vgpr4
                                        ; implicit-def: $vgpr32
.LBB2_7262:                             ;   in Loop: Header=BB2_6908 Depth=3
	s_andn2_saveexec_b64 s[36:37], s[36:37]
; %bb.7263:                             ;   in Loop: Header=BB2_6908 Depth=3
	v_cmp_lt_i16_e32 vcc, -1, v32
	v_cndmask_b32_e32 v2, v7, v0, vcc
	v_cmp_eq_u32_e32 vcc, 0, v4
	v_cndmask_b32_e32 v2, v35, v2, vcc
; %bb.7264:                             ;   in Loop: Header=BB2_6908 Depth=3
	s_or_b64 exec, exec, s[36:37]
.LBB2_7265:                             ;   in Loop: Header=BB2_6908 Depth=3
	s_or_b64 exec, exec, s[34:35]
.LBB2_7266:                             ;   in Loop: Header=BB2_6908 Depth=3
	s_or_b64 exec, exec, s[28:29]
	v_add_f32_e32 v2, v3, v2
	v_and_b32_e32 v3, 0x7f800000, v2
	v_mov_b32_e32 v4, v29
	v_cmp_ne_u64_e32 vcc, s[76:77], v[3:4]
	v_and_b32_e32 v28, 0x7fffff, v2
                                        ; implicit-def: $vgpr33
	s_and_saveexec_b64 s[28:29], vcc
	s_xor_b64 s[34:35], exec, s[28:29]
	s_cbranch_execz .LBB2_7284
; %bb.7267:                             ;   in Loop: Header=BB2_6908 Depth=3
	v_and_b32_e32 v3, 0x7fffffff, v2
	v_mov_b32_e32 v4, v29
	v_cmp_gt_u64_e32 vcc, s[78:79], v[3:4]
	v_and_b32_sdwa v15, v2, s96 dst_sel:DWORD dst_unused:UNUSED_PAD src0_sel:BYTE_3 src1_sel:DWORD
                                        ; implicit-def: $vgpr33
	s_and_saveexec_b64 s[28:29], vcc
	s_xor_b64 s[36:37], exec, s[28:29]
	s_cbranch_execz .LBB2_7281
; %bb.7268:                             ;   in Loop: Header=BB2_6908 Depth=3
	v_cmp_ne_u32_e32 vcc, 0, v2
	v_mov_b32_e32 v33, 0
	s_and_saveexec_b64 s[38:39], vcc
	s_cbranch_execz .LBB2_7280
; %bb.7269:                             ;   in Loop: Header=BB2_6908 Depth=3
	v_bfe_u32 v17, v2, 23, 8
	v_cmp_gt_u32_e64 s[28:29], s46, v17
	v_sub_u32_e32 v2, 0x71, v17
	v_cmp_eq_u32_e32 vcc, 0, v17
	v_cndmask_b32_e64 v2, 0, v2, s[28:29]
	v_mov_b32_e32 v4, 0x70
	v_cndmask_b32_e32 v32, v2, v4, vcc
	v_add_u32_e32 v4, 21, v32
	v_or_b32_e32 v3, 0x800000, v28
	v_lshlrev_b64 v[38:39], v4, -1
	v_cndmask_b32_e32 v2, v3, v28, vcc
	v_mov_b32_e32 v3, v29
	v_add_u32_e32 v4, 20, v32
	v_bfi_b32 v38, v38, 0, v2
	v_lshlrev_b64 v[59:60], v4, 1
	v_lshrrev_b64 v[2:3], v32, v[2:3]
	v_bfi_b32 v39, v39, 0, 0
	v_cmp_eq_u64_e64 s[28:29], v[38:39], v[59:60]
	v_mov_b32_e32 v4, v3
	v_mov_b32_e32 v3, v2
	s_and_saveexec_b64 s[48:49], s[28:29]
; %bb.7270:                             ;   in Loop: Header=BB2_6908 Depth=3
	v_bfe_u32 v3, v2, 21, 1
	v_add_co_u32_e64 v3, s[28:29], v2, v3
	v_add_co_u32_e64 v3, s[28:29], -1, v3
; %bb.7271:                             ;   in Loop: Header=BB2_6908 Depth=3
	s_or_b64 exec, exec, s[48:49]
	v_add_u32_e32 v4, 0xffffff81, v17
	v_cndmask_b32_e32 v4, v4, v1, vcc
	v_lshrrev_b32_e32 v17, 23, v2
	v_add3_u32 v32, v32, v4, v17
	v_add_u32_e32 v17, 14, v32
	v_and_b32_e32 v3, 0x1fffff, v3
	v_add_u32_e32 v28, v3, v2
	v_cmp_ne_u32_e32 vcc, 0, v17
                                        ; implicit-def: $vgpr2_vgpr3
                                        ; implicit-def: $vgpr4
	s_and_saveexec_b64 s[28:29], vcc
	s_xor_b64 s[28:29], exec, s[28:29]
; %bb.7272:                             ;   in Loop: Header=BB2_6908 Depth=3
	v_cmp_lt_u64_e32 vcc, s[88:89], v[28:29]
	v_add_u32_e32 v2, 15, v32
	v_cndmask_b32_e32 v4, v17, v2, vcc
	v_cndmask_b32_e64 v2, 0, 1, vcc
	v_lshrrev_b64 v[2:3], v2, v[28:29]
; %bb.7273:                             ;   in Loop: Header=BB2_6908 Depth=3
	s_andn2_saveexec_b64 s[28:29], s[28:29]
; %bb.7274:                             ;   in Loop: Header=BB2_6908 Depth=3
	v_mov_b32_e32 v2, v28
	v_mov_b32_e32 v3, v29
	v_bfe_u32 v4, v28, 23, 1
; %bb.7275:                             ;   in Loop: Header=BB2_6908 Depth=3
	s_or_b64 exec, exec, s[28:29]
	v_lshrrev_b64 v[2:3], 21, v[2:3]
	v_cmp_gt_i32_e32 vcc, 32, v4
	v_cndmask_b32_e32 v3, 0, v3, vcc
	v_cndmask_b32_e32 v2, 3, v2, vcc
	v_cmp_ne_u64_e32 vcc, 0, v[2:3]
	v_cmp_ne_u32_e64 s[28:29], 0, v4
	s_or_b64 s[28:29], s[28:29], vcc
                                        ; implicit-def: $vgpr33
	s_and_saveexec_b64 vcc, s[28:29]
	s_xor_b64 s[28:29], exec, vcc
; %bb.7276:                             ;   in Loop: Header=BB2_6908 Depth=3
	v_min_i32_e32 v3, 31, v4
	v_lshl_or_b32 v3, v3, 2, v15
	v_and_or_b32 v33, v2, 3, v3
                                        ; implicit-def: $vgpr15
; %bb.7277:                             ;   in Loop: Header=BB2_6908 Depth=3
	s_andn2_saveexec_b64 s[28:29], s[28:29]
; %bb.7278:                             ;   in Loop: Header=BB2_6908 Depth=3
	v_mov_b32_e32 v33, v15
; %bb.7279:                             ;   in Loop: Header=BB2_6908 Depth=3
	s_or_b64 exec, exec, s[28:29]
.LBB2_7280:                             ;   in Loop: Header=BB2_6908 Depth=3
	s_or_b64 exec, exec, s[38:39]
                                        ; implicit-def: $vgpr15
.LBB2_7281:                             ;   in Loop: Header=BB2_6908 Depth=3
	s_andn2_saveexec_b64 s[28:29], s[36:37]
; %bb.7282:                             ;   in Loop: Header=BB2_6908 Depth=3
	v_or_b32_e32 v33, 0x7b, v15
; %bb.7283:                             ;   in Loop: Header=BB2_6908 Depth=3
	s_or_b64 exec, exec, s[28:29]
                                        ; implicit-def: $vgpr2
.LBB2_7284:                             ;   in Loop: Header=BB2_6908 Depth=3
	s_andn2_saveexec_b64 s[28:29], s[34:35]
	s_cbranch_execz .LBB2_7290
; %bb.7285:                             ;   in Loop: Header=BB2_6908 Depth=3
	v_cmp_ne_u64_e32 vcc, 0, v[28:29]
                                        ; implicit-def: $vgpr33
	s_and_saveexec_b64 s[34:35], vcc
	s_xor_b64 vcc, exec, s[34:35]
; %bb.7286:                             ;   in Loop: Header=BB2_6908 Depth=3
	v_or_b32_sdwa v33, v2, s47 dst_sel:DWORD dst_unused:UNUSED_PAD src0_sel:BYTE_3 src1_sel:DWORD
                                        ; implicit-def: $vgpr2
; %bb.7287:                             ;   in Loop: Header=BB2_6908 Depth=3
	s_andn2_saveexec_b64 s[34:35], vcc
; %bb.7288:                             ;   in Loop: Header=BB2_6908 Depth=3
	v_cmp_lt_i32_e32 vcc, -1, v2
	v_cndmask_b32_e32 v33, -4, v22, vcc
; %bb.7289:                             ;   in Loop: Header=BB2_6908 Depth=3
	s_or_b64 exec, exec, s[34:35]
.LBB2_7290:                             ;   in Loop: Header=BB2_6908 Depth=3
	s_or_b64 exec, exec, s[28:29]
	v_and_b32_e32 v15, 0xff, v58
	v_cmp_ne_u16_e32 vcc, 0, v15
	v_mov_b32_e32 v2, 0
	v_mov_b32_e32 v3, 0
	s_and_saveexec_b64 s[28:29], vcc
	s_cbranch_execz .LBB2_7298
; %bb.7291:                             ;   in Loop: Header=BB2_6908 Depth=3
	v_cmp_ne_u16_e32 vcc, s96, v15
	v_bfrev_b32_e32 v3, 1
	s_and_saveexec_b64 s[34:35], vcc
	s_cbranch_execz .LBB2_7297
; %bb.7292:                             ;   in Loop: Header=BB2_6908 Depth=3
	v_and_b32_e32 v3, 0x7c, v58
	v_and_b32_e32 v4, 3, v58
	v_cmp_ne_u32_e32 vcc, s85, v3
                                        ; implicit-def: $vgpr3
	s_and_saveexec_b64 s[36:37], vcc
	s_xor_b64 s[36:37], exec, s[36:37]
	s_cbranch_execz .LBB2_7294
; %bb.7293:                             ;   in Loop: Header=BB2_6908 Depth=3
	v_bfe_u32 v3, v15, 2, 5
	v_ffbh_u32_e32 v15, v4
	v_min_u32_e32 v15, 32, v15
	v_mov_b32_e32 v59, v29
	v_subrev_u32_e32 v17, 29, v15
	v_lshlrev_b64 v[38:39], v17, v[58:59]
	v_sub_u32_e32 v15, 30, v15
	v_cmp_eq_u32_e32 vcc, 0, v3
	v_cndmask_b32_e32 v3, v3, v15, vcc
	v_lshlrev_b32_e32 v15, 24, v58
	v_and_b32_e32 v17, 3, v38
	v_and_b32_e32 v15, 0x80000000, v15
	v_cndmask_b32_e32 v4, v4, v17, vcc
	v_lshl_add_u32 v3, v3, 23, v15
	v_lshl_or_b32 v3, v4, 21, v3
	v_add_u32_e32 v3, 0x38000000, v3
                                        ; implicit-def: $vgpr4
                                        ; implicit-def: $vgpr58
.LBB2_7294:                             ;   in Loop: Header=BB2_6908 Depth=3
	s_andn2_saveexec_b64 s[36:37], s[36:37]
; %bb.7295:                             ;   in Loop: Header=BB2_6908 Depth=3
	v_cmp_gt_i16_sdwa vcc, sext(v58), v48 src0_sel:BYTE_0 src1_sel:DWORD
	v_cndmask_b32_e32 v3, v7, v0, vcc
	v_cmp_eq_u32_e32 vcc, 0, v4
	v_cndmask_b32_e32 v3, v35, v3, vcc
; %bb.7296:                             ;   in Loop: Header=BB2_6908 Depth=3
	s_or_b64 exec, exec, s[36:37]
.LBB2_7297:                             ;   in Loop: Header=BB2_6908 Depth=3
	s_or_b64 exec, exec, s[34:35]
.LBB2_7298:                             ;   in Loop: Header=BB2_6908 Depth=3
	s_or_b64 exec, exec, s[28:29]
	v_cmp_ne_u16_e32 vcc, 0, v31
	s_and_saveexec_b64 s[28:29], vcc
	s_cbranch_execz .LBB2_7306
; %bb.7299:                             ;   in Loop: Header=BB2_6908 Depth=3
	v_cmp_ne_u16_e32 vcc, s97, v31
	v_bfrev_b32_e32 v2, 1
	s_and_saveexec_b64 s[34:35], vcc
	s_cbranch_execz .LBB2_7305
; %bb.7300:                             ;   in Loop: Header=BB2_6908 Depth=3
	v_and_b32_e32 v2, 0x7c, v31
	v_and_b32_e32 v4, 3, v31
	v_cmp_ne_u32_e32 vcc, s85, v2
                                        ; implicit-def: $vgpr2
	s_and_saveexec_b64 s[36:37], vcc
	s_xor_b64 s[36:37], exec, s[36:37]
	s_cbranch_execz .LBB2_7302
; %bb.7301:                             ;   in Loop: Header=BB2_6908 Depth=3
	v_ffbh_u32_e32 v15, v4
	v_min_u32_e32 v15, 32, v15
	v_and_b32_e32 v2, 0xff, v31
	v_mov_b32_e32 v32, v29
	v_subrev_u32_e32 v17, 29, v15
	v_bfe_u32 v2, v2, 2, 5
	v_lshlrev_b64 v[38:39], v17, v[31:32]
	v_sub_u32_e32 v15, 30, v15
	v_cmp_eq_u32_e32 vcc, 0, v2
	v_and_b32_e32 v17, 3, v38
	v_cndmask_b32_e32 v2, v2, v15, vcc
	v_and_b32_sdwa v15, sext(v31), s86 dst_sel:DWORD dst_unused:UNUSED_PAD src0_sel:WORD_0 src1_sel:DWORD
	v_cndmask_b32_e32 v4, v4, v17, vcc
	v_lshl_add_u32 v2, v2, 23, v15
	v_lshl_or_b32 v2, v4, 21, v2
	v_add_u32_e32 v2, 0x38000000, v2
                                        ; implicit-def: $vgpr4
                                        ; implicit-def: $vgpr31
.LBB2_7302:                             ;   in Loop: Header=BB2_6908 Depth=3
	s_andn2_saveexec_b64 s[36:37], s[36:37]
; %bb.7303:                             ;   in Loop: Header=BB2_6908 Depth=3
	v_cmp_lt_i16_e32 vcc, -1, v31
	v_cndmask_b32_e32 v2, v7, v0, vcc
	v_cmp_eq_u32_e32 vcc, 0, v4
	v_cndmask_b32_e32 v2, v35, v2, vcc
; %bb.7304:                             ;   in Loop: Header=BB2_6908 Depth=3
	s_or_b64 exec, exec, s[36:37]
.LBB2_7305:                             ;   in Loop: Header=BB2_6908 Depth=3
	s_or_b64 exec, exec, s[34:35]
.LBB2_7306:                             ;   in Loop: Header=BB2_6908 Depth=3
	s_or_b64 exec, exec, s[28:29]
	v_add_f32_e32 v2, v3, v2
	v_and_b32_e32 v3, 0x7f800000, v2
	v_mov_b32_e32 v4, v29
	v_cmp_ne_u64_e32 vcc, s[76:77], v[3:4]
	v_and_b32_e32 v28, 0x7fffff, v2
                                        ; implicit-def: $vgpr32
	s_and_saveexec_b64 s[28:29], vcc
	s_xor_b64 s[34:35], exec, s[28:29]
	s_cbranch_execz .LBB2_7324
; %bb.7307:                             ;   in Loop: Header=BB2_6908 Depth=3
	v_and_b32_e32 v3, 0x7fffffff, v2
	v_mov_b32_e32 v4, v29
	v_cmp_gt_u64_e32 vcc, s[78:79], v[3:4]
	v_and_b32_sdwa v15, v2, s96 dst_sel:DWORD dst_unused:UNUSED_PAD src0_sel:BYTE_3 src1_sel:DWORD
                                        ; implicit-def: $vgpr32
	s_and_saveexec_b64 s[28:29], vcc
	s_xor_b64 s[36:37], exec, s[28:29]
	s_cbranch_execz .LBB2_7321
; %bb.7308:                             ;   in Loop: Header=BB2_6908 Depth=3
	v_cmp_ne_u32_e32 vcc, 0, v2
	v_mov_b32_e32 v32, 0
	s_and_saveexec_b64 s[38:39], vcc
	s_cbranch_execz .LBB2_7320
; %bb.7309:                             ;   in Loop: Header=BB2_6908 Depth=3
	v_bfe_u32 v17, v2, 23, 8
	v_cmp_gt_u32_e64 s[28:29], s46, v17
	v_sub_u32_e32 v2, 0x71, v17
	v_cmp_eq_u32_e32 vcc, 0, v17
	v_cndmask_b32_e64 v2, 0, v2, s[28:29]
	v_mov_b32_e32 v4, 0x70
	v_cndmask_b32_e32 v31, v2, v4, vcc
	v_add_u32_e32 v4, 21, v31
	v_or_b32_e32 v3, 0x800000, v28
	v_lshlrev_b64 v[38:39], v4, -1
	v_cndmask_b32_e32 v2, v3, v28, vcc
	v_mov_b32_e32 v3, v29
	v_add_u32_e32 v4, 20, v31
	v_bfi_b32 v38, v38, 0, v2
	v_lshlrev_b64 v[58:59], v4, 1
	v_lshrrev_b64 v[2:3], v31, v[2:3]
	v_bfi_b32 v39, v39, 0, 0
	v_cmp_eq_u64_e64 s[28:29], v[38:39], v[58:59]
	v_mov_b32_e32 v4, v3
	v_mov_b32_e32 v3, v2
	s_and_saveexec_b64 s[48:49], s[28:29]
; %bb.7310:                             ;   in Loop: Header=BB2_6908 Depth=3
	v_bfe_u32 v3, v2, 21, 1
	v_add_co_u32_e64 v3, s[28:29], v2, v3
	v_add_co_u32_e64 v3, s[28:29], -1, v3
; %bb.7311:                             ;   in Loop: Header=BB2_6908 Depth=3
	s_or_b64 exec, exec, s[48:49]
	v_add_u32_e32 v4, 0xffffff81, v17
	v_cndmask_b32_e32 v4, v4, v1, vcc
	v_lshrrev_b32_e32 v17, 23, v2
	v_add3_u32 v31, v31, v4, v17
	v_add_u32_e32 v17, 14, v31
	v_and_b32_e32 v3, 0x1fffff, v3
	v_add_u32_e32 v28, v3, v2
	v_cmp_ne_u32_e32 vcc, 0, v17
                                        ; implicit-def: $vgpr2_vgpr3
                                        ; implicit-def: $vgpr4
	s_and_saveexec_b64 s[28:29], vcc
	s_xor_b64 s[28:29], exec, s[28:29]
; %bb.7312:                             ;   in Loop: Header=BB2_6908 Depth=3
	v_cmp_lt_u64_e32 vcc, s[88:89], v[28:29]
	v_add_u32_e32 v2, 15, v31
	v_cndmask_b32_e32 v4, v17, v2, vcc
	v_cndmask_b32_e64 v2, 0, 1, vcc
	v_lshrrev_b64 v[2:3], v2, v[28:29]
; %bb.7313:                             ;   in Loop: Header=BB2_6908 Depth=3
	s_andn2_saveexec_b64 s[28:29], s[28:29]
; %bb.7314:                             ;   in Loop: Header=BB2_6908 Depth=3
	v_mov_b32_e32 v2, v28
	v_mov_b32_e32 v3, v29
	v_bfe_u32 v4, v28, 23, 1
; %bb.7315:                             ;   in Loop: Header=BB2_6908 Depth=3
	s_or_b64 exec, exec, s[28:29]
	v_lshrrev_b64 v[2:3], 21, v[2:3]
	v_cmp_gt_i32_e32 vcc, 32, v4
	v_cndmask_b32_e32 v3, 0, v3, vcc
	v_cndmask_b32_e32 v2, 3, v2, vcc
	v_cmp_ne_u64_e32 vcc, 0, v[2:3]
	v_cmp_ne_u32_e64 s[28:29], 0, v4
	s_or_b64 s[28:29], s[28:29], vcc
                                        ; implicit-def: $vgpr32
	s_and_saveexec_b64 vcc, s[28:29]
	s_xor_b64 s[28:29], exec, vcc
; %bb.7316:                             ;   in Loop: Header=BB2_6908 Depth=3
	v_min_i32_e32 v3, 31, v4
	v_lshl_or_b32 v3, v3, 2, v15
	v_and_or_b32 v32, v2, 3, v3
                                        ; implicit-def: $vgpr15
; %bb.7317:                             ;   in Loop: Header=BB2_6908 Depth=3
	s_andn2_saveexec_b64 s[28:29], s[28:29]
; %bb.7318:                             ;   in Loop: Header=BB2_6908 Depth=3
	v_mov_b32_e32 v32, v15
; %bb.7319:                             ;   in Loop: Header=BB2_6908 Depth=3
	s_or_b64 exec, exec, s[28:29]
.LBB2_7320:                             ;   in Loop: Header=BB2_6908 Depth=3
	s_or_b64 exec, exec, s[38:39]
                                        ; implicit-def: $vgpr15
.LBB2_7321:                             ;   in Loop: Header=BB2_6908 Depth=3
	s_andn2_saveexec_b64 s[28:29], s[36:37]
; %bb.7322:                             ;   in Loop: Header=BB2_6908 Depth=3
	v_or_b32_e32 v32, 0x7b, v15
; %bb.7323:                             ;   in Loop: Header=BB2_6908 Depth=3
	s_or_b64 exec, exec, s[28:29]
                                        ; implicit-def: $vgpr2
.LBB2_7324:                             ;   in Loop: Header=BB2_6908 Depth=3
	s_andn2_saveexec_b64 s[28:29], s[34:35]
	s_cbranch_execz .LBB2_7330
; %bb.7325:                             ;   in Loop: Header=BB2_6908 Depth=3
	v_cmp_ne_u64_e32 vcc, 0, v[28:29]
                                        ; implicit-def: $vgpr32
	s_and_saveexec_b64 s[34:35], vcc
	s_xor_b64 vcc, exec, s[34:35]
; %bb.7326:                             ;   in Loop: Header=BB2_6908 Depth=3
	v_or_b32_sdwa v32, v2, s47 dst_sel:DWORD dst_unused:UNUSED_PAD src0_sel:BYTE_3 src1_sel:DWORD
                                        ; implicit-def: $vgpr2
; %bb.7327:                             ;   in Loop: Header=BB2_6908 Depth=3
	s_andn2_saveexec_b64 s[34:35], vcc
; %bb.7328:                             ;   in Loop: Header=BB2_6908 Depth=3
	v_cmp_lt_i32_e32 vcc, -1, v2
	v_cndmask_b32_e32 v32, -4, v22, vcc
; %bb.7329:                             ;   in Loop: Header=BB2_6908 Depth=3
	s_or_b64 exec, exec, s[34:35]
.LBB2_7330:                             ;   in Loop: Header=BB2_6908 Depth=3
	s_or_b64 exec, exec, s[28:29]
	v_and_b32_e32 v15, 0xff, v57
	v_cmp_ne_u16_e32 vcc, 0, v15
	v_mov_b32_e32 v2, 0
	v_mov_b32_e32 v3, 0
	s_and_saveexec_b64 s[28:29], vcc
	s_cbranch_execz .LBB2_7338
; %bb.7331:                             ;   in Loop: Header=BB2_6908 Depth=3
	v_cmp_ne_u16_e32 vcc, s96, v15
	v_bfrev_b32_e32 v3, 1
	s_and_saveexec_b64 s[34:35], vcc
	s_cbranch_execz .LBB2_7337
; %bb.7332:                             ;   in Loop: Header=BB2_6908 Depth=3
	v_and_b32_e32 v3, 0x7c, v57
	v_and_b32_e32 v4, 3, v57
	v_cmp_ne_u32_e32 vcc, s85, v3
                                        ; implicit-def: $vgpr3
	s_and_saveexec_b64 s[36:37], vcc
	s_xor_b64 s[36:37], exec, s[36:37]
	s_cbranch_execz .LBB2_7334
; %bb.7333:                             ;   in Loop: Header=BB2_6908 Depth=3
	v_bfe_u32 v3, v15, 2, 5
	v_ffbh_u32_e32 v15, v4
	v_min_u32_e32 v15, 32, v15
	v_mov_b32_e32 v58, v29
	v_subrev_u32_e32 v17, 29, v15
	v_lshlrev_b64 v[38:39], v17, v[57:58]
	v_sub_u32_e32 v15, 30, v15
	v_cmp_eq_u32_e32 vcc, 0, v3
	v_cndmask_b32_e32 v3, v3, v15, vcc
	v_lshlrev_b32_e32 v15, 24, v57
	v_and_b32_e32 v17, 3, v38
	v_and_b32_e32 v15, 0x80000000, v15
	v_cndmask_b32_e32 v4, v4, v17, vcc
	v_lshl_add_u32 v3, v3, 23, v15
	v_lshl_or_b32 v3, v4, 21, v3
	v_add_u32_e32 v3, 0x38000000, v3
                                        ; implicit-def: $vgpr4
                                        ; implicit-def: $vgpr57
.LBB2_7334:                             ;   in Loop: Header=BB2_6908 Depth=3
	s_andn2_saveexec_b64 s[36:37], s[36:37]
; %bb.7335:                             ;   in Loop: Header=BB2_6908 Depth=3
	v_cmp_gt_i16_sdwa vcc, sext(v57), v48 src0_sel:BYTE_0 src1_sel:DWORD
	v_cndmask_b32_e32 v3, v7, v0, vcc
	v_cmp_eq_u32_e32 vcc, 0, v4
	v_cndmask_b32_e32 v3, v35, v3, vcc
; %bb.7336:                             ;   in Loop: Header=BB2_6908 Depth=3
	s_or_b64 exec, exec, s[36:37]
.LBB2_7337:                             ;   in Loop: Header=BB2_6908 Depth=3
	s_or_b64 exec, exec, s[34:35]
.LBB2_7338:                             ;   in Loop: Header=BB2_6908 Depth=3
	s_or_b64 exec, exec, s[28:29]
	v_cmp_ne_u16_e32 vcc, 0, v14
	s_and_saveexec_b64 s[28:29], vcc
	s_cbranch_execz .LBB2_7346
; %bb.7339:                             ;   in Loop: Header=BB2_6908 Depth=3
	v_cmp_ne_u16_e32 vcc, s97, v14
	v_bfrev_b32_e32 v2, 1
	s_and_saveexec_b64 s[34:35], vcc
	s_cbranch_execz .LBB2_7345
; %bb.7340:                             ;   in Loop: Header=BB2_6908 Depth=3
	v_and_b32_e32 v2, 0x7c, v14
	v_and_b32_e32 v4, 3, v14
	v_cmp_ne_u32_e32 vcc, s85, v2
                                        ; implicit-def: $vgpr2
	s_and_saveexec_b64 s[36:37], vcc
	s_xor_b64 s[36:37], exec, s[36:37]
	s_cbranch_execz .LBB2_7342
; %bb.7341:                             ;   in Loop: Header=BB2_6908 Depth=3
	v_ffbh_u32_e32 v17, v4
	v_min_u32_e32 v17, 32, v17
	v_and_b32_e32 v2, 0xff, v14
	v_mov_b32_e32 v15, v29
	v_subrev_u32_e32 v28, 29, v17
	v_bfe_u32 v2, v2, 2, 5
	v_lshlrev_b64 v[38:39], v28, v[14:15]
	v_sub_u32_e32 v15, 30, v17
	v_cmp_eq_u32_e32 vcc, 0, v2
	v_and_b32_e32 v17, 3, v38
	v_cndmask_b32_e32 v2, v2, v15, vcc
	v_and_b32_sdwa v14, sext(v14), s86 dst_sel:DWORD dst_unused:UNUSED_PAD src0_sel:WORD_0 src1_sel:DWORD
	v_cndmask_b32_e32 v4, v4, v17, vcc
	v_lshl_add_u32 v2, v2, 23, v14
	v_lshl_or_b32 v2, v4, 21, v2
	v_add_u32_e32 v2, 0x38000000, v2
                                        ; implicit-def: $vgpr4
                                        ; implicit-def: $vgpr14
.LBB2_7342:                             ;   in Loop: Header=BB2_6908 Depth=3
	s_andn2_saveexec_b64 s[36:37], s[36:37]
; %bb.7343:                             ;   in Loop: Header=BB2_6908 Depth=3
	v_cmp_lt_i16_e32 vcc, -1, v14
	v_cndmask_b32_e32 v2, v7, v0, vcc
	v_cmp_eq_u32_e32 vcc, 0, v4
	v_cndmask_b32_e32 v2, v35, v2, vcc
; %bb.7344:                             ;   in Loop: Header=BB2_6908 Depth=3
	s_or_b64 exec, exec, s[36:37]
.LBB2_7345:                             ;   in Loop: Header=BB2_6908 Depth=3
	s_or_b64 exec, exec, s[34:35]
.LBB2_7346:                             ;   in Loop: Header=BB2_6908 Depth=3
	s_or_b64 exec, exec, s[28:29]
	v_add_f32_e32 v2, v3, v2
	v_and_b32_e32 v3, 0x7f800000, v2
	v_mov_b32_e32 v4, v29
	v_cmp_ne_u64_e32 vcc, s[76:77], v[3:4]
	v_and_b32_e32 v28, 0x7fffff, v2
                                        ; implicit-def: $vgpr14
	s_and_saveexec_b64 s[28:29], vcc
	s_xor_b64 s[34:35], exec, s[28:29]
	s_cbranch_execz .LBB2_7364
; %bb.7347:                             ;   in Loop: Header=BB2_6908 Depth=3
	v_and_b32_e32 v3, 0x7fffffff, v2
	v_mov_b32_e32 v4, v29
	v_cmp_gt_u64_e32 vcc, s[78:79], v[3:4]
	v_and_b32_sdwa v15, v2, s96 dst_sel:DWORD dst_unused:UNUSED_PAD src0_sel:BYTE_3 src1_sel:DWORD
                                        ; implicit-def: $vgpr14
	s_and_saveexec_b64 s[28:29], vcc
	s_xor_b64 s[36:37], exec, s[28:29]
	s_cbranch_execz .LBB2_7361
; %bb.7348:                             ;   in Loop: Header=BB2_6908 Depth=3
	v_cmp_ne_u32_e32 vcc, 0, v2
	v_mov_b32_e32 v14, 0
	s_and_saveexec_b64 s[38:39], vcc
	s_cbranch_execz .LBB2_7360
; %bb.7349:                             ;   in Loop: Header=BB2_6908 Depth=3
	v_bfe_u32 v14, v2, 23, 8
	v_cmp_gt_u32_e64 s[28:29], s46, v14
	v_sub_u32_e32 v2, 0x71, v14
	v_cmp_eq_u32_e32 vcc, 0, v14
	v_cndmask_b32_e64 v2, 0, v2, s[28:29]
	v_mov_b32_e32 v4, 0x70
	v_cndmask_b32_e32 v17, v2, v4, vcc
	v_add_u32_e32 v4, 21, v17
	v_or_b32_e32 v3, 0x800000, v28
	v_lshlrev_b64 v[38:39], v4, -1
	v_cndmask_b32_e32 v2, v3, v28, vcc
	v_mov_b32_e32 v3, v29
	v_add_u32_e32 v4, 20, v17
	v_bfi_b32 v38, v38, 0, v2
	v_lshlrev_b64 v[57:58], v4, 1
	v_lshrrev_b64 v[2:3], v17, v[2:3]
	v_bfi_b32 v39, v39, 0, 0
	v_cmp_eq_u64_e64 s[28:29], v[38:39], v[57:58]
	v_mov_b32_e32 v4, v3
	v_mov_b32_e32 v3, v2
	s_and_saveexec_b64 s[48:49], s[28:29]
; %bb.7350:                             ;   in Loop: Header=BB2_6908 Depth=3
	v_bfe_u32 v3, v2, 21, 1
	v_add_co_u32_e64 v3, s[28:29], v2, v3
	v_add_co_u32_e64 v3, s[28:29], -1, v3
; %bb.7351:                             ;   in Loop: Header=BB2_6908 Depth=3
	s_or_b64 exec, exec, s[48:49]
	v_add_u32_e32 v4, 0xffffff81, v14
	v_cndmask_b32_e32 v4, v4, v1, vcc
	v_lshrrev_b32_e32 v14, 23, v2
	v_add3_u32 v17, v17, v4, v14
	v_add_u32_e32 v14, 14, v17
	v_and_b32_e32 v3, 0x1fffff, v3
	v_add_u32_e32 v28, v3, v2
	v_cmp_ne_u32_e32 vcc, 0, v14
                                        ; implicit-def: $vgpr2_vgpr3
                                        ; implicit-def: $vgpr4
	s_and_saveexec_b64 s[28:29], vcc
	s_xor_b64 s[28:29], exec, s[28:29]
; %bb.7352:                             ;   in Loop: Header=BB2_6908 Depth=3
	v_cmp_lt_u64_e32 vcc, s[88:89], v[28:29]
	v_add_u32_e32 v2, 15, v17
	v_cndmask_b32_e32 v4, v14, v2, vcc
	v_cndmask_b32_e64 v2, 0, 1, vcc
	v_lshrrev_b64 v[2:3], v2, v[28:29]
; %bb.7353:                             ;   in Loop: Header=BB2_6908 Depth=3
	s_andn2_saveexec_b64 s[28:29], s[28:29]
; %bb.7354:                             ;   in Loop: Header=BB2_6908 Depth=3
	v_mov_b32_e32 v2, v28
	v_mov_b32_e32 v3, v29
	v_bfe_u32 v4, v28, 23, 1
; %bb.7355:                             ;   in Loop: Header=BB2_6908 Depth=3
	s_or_b64 exec, exec, s[28:29]
	v_lshrrev_b64 v[2:3], 21, v[2:3]
	v_cmp_gt_i32_e32 vcc, 32, v4
	v_cndmask_b32_e32 v3, 0, v3, vcc
	v_cndmask_b32_e32 v2, 3, v2, vcc
	v_cmp_ne_u64_e32 vcc, 0, v[2:3]
	v_cmp_ne_u32_e64 s[28:29], 0, v4
	s_or_b64 s[28:29], s[28:29], vcc
                                        ; implicit-def: $vgpr14
	s_and_saveexec_b64 vcc, s[28:29]
	s_xor_b64 s[28:29], exec, vcc
; %bb.7356:                             ;   in Loop: Header=BB2_6908 Depth=3
	v_min_i32_e32 v3, 31, v4
	v_lshl_or_b32 v3, v3, 2, v15
	v_and_or_b32 v14, v2, 3, v3
                                        ; implicit-def: $vgpr15
; %bb.7357:                             ;   in Loop: Header=BB2_6908 Depth=3
	s_andn2_saveexec_b64 s[28:29], s[28:29]
; %bb.7358:                             ;   in Loop: Header=BB2_6908 Depth=3
	v_mov_b32_e32 v14, v15
; %bb.7359:                             ;   in Loop: Header=BB2_6908 Depth=3
	s_or_b64 exec, exec, s[28:29]
.LBB2_7360:                             ;   in Loop: Header=BB2_6908 Depth=3
	s_or_b64 exec, exec, s[38:39]
                                        ; implicit-def: $vgpr15
.LBB2_7361:                             ;   in Loop: Header=BB2_6908 Depth=3
	s_andn2_saveexec_b64 s[28:29], s[36:37]
; %bb.7362:                             ;   in Loop: Header=BB2_6908 Depth=3
	v_or_b32_e32 v14, 0x7b, v15
; %bb.7363:                             ;   in Loop: Header=BB2_6908 Depth=3
	s_or_b64 exec, exec, s[28:29]
                                        ; implicit-def: $vgpr2
.LBB2_7364:                             ;   in Loop: Header=BB2_6908 Depth=3
	s_andn2_saveexec_b64 s[28:29], s[34:35]
	s_cbranch_execz .LBB2_7370
; %bb.7365:                             ;   in Loop: Header=BB2_6908 Depth=3
	v_cmp_ne_u64_e32 vcc, 0, v[28:29]
                                        ; implicit-def: $vgpr14
	s_and_saveexec_b64 s[34:35], vcc
	s_xor_b64 vcc, exec, s[34:35]
; %bb.7366:                             ;   in Loop: Header=BB2_6908 Depth=3
	v_or_b32_sdwa v14, v2, s47 dst_sel:DWORD dst_unused:UNUSED_PAD src0_sel:BYTE_3 src1_sel:DWORD
                                        ; implicit-def: $vgpr2
; %bb.7367:                             ;   in Loop: Header=BB2_6908 Depth=3
	s_andn2_saveexec_b64 s[34:35], vcc
; %bb.7368:                             ;   in Loop: Header=BB2_6908 Depth=3
	v_cmp_lt_i32_e32 vcc, -1, v2
	v_cndmask_b32_e32 v14, -4, v22, vcc
; %bb.7369:                             ;   in Loop: Header=BB2_6908 Depth=3
	s_or_b64 exec, exec, s[34:35]
.LBB2_7370:                             ;   in Loop: Header=BB2_6908 Depth=3
	s_or_b64 exec, exec, s[28:29]
	v_and_b32_e32 v15, 0xff, v56
	v_cmp_ne_u16_e32 vcc, 0, v15
	v_mov_b32_e32 v2, 0
	v_mov_b32_e32 v3, 0
	s_and_saveexec_b64 s[28:29], vcc
	s_cbranch_execz .LBB2_7378
; %bb.7371:                             ;   in Loop: Header=BB2_6908 Depth=3
	v_cmp_ne_u16_e32 vcc, s96, v15
	v_bfrev_b32_e32 v3, 1
	s_and_saveexec_b64 s[34:35], vcc
	s_cbranch_execz .LBB2_7377
; %bb.7372:                             ;   in Loop: Header=BB2_6908 Depth=3
	v_and_b32_e32 v3, 0x7c, v56
	v_and_b32_e32 v4, 3, v56
	v_cmp_ne_u32_e32 vcc, s85, v3
                                        ; implicit-def: $vgpr3
	s_and_saveexec_b64 s[36:37], vcc
	s_xor_b64 s[36:37], exec, s[36:37]
	s_cbranch_execz .LBB2_7374
; %bb.7373:                             ;   in Loop: Header=BB2_6908 Depth=3
	v_bfe_u32 v3, v15, 2, 5
	v_ffbh_u32_e32 v15, v4
	v_min_u32_e32 v15, 32, v15
	v_mov_b32_e32 v57, v29
	v_subrev_u32_e32 v17, 29, v15
	v_lshlrev_b64 v[38:39], v17, v[56:57]
	v_sub_u32_e32 v15, 30, v15
	v_cmp_eq_u32_e32 vcc, 0, v3
	v_cndmask_b32_e32 v3, v3, v15, vcc
	v_lshlrev_b32_e32 v15, 24, v56
	v_and_b32_e32 v17, 3, v38
	v_and_b32_e32 v15, 0x80000000, v15
	v_cndmask_b32_e32 v4, v4, v17, vcc
	v_lshl_add_u32 v3, v3, 23, v15
	v_lshl_or_b32 v3, v4, 21, v3
	v_add_u32_e32 v3, 0x38000000, v3
                                        ; implicit-def: $vgpr4
                                        ; implicit-def: $vgpr56
.LBB2_7374:                             ;   in Loop: Header=BB2_6908 Depth=3
	s_andn2_saveexec_b64 s[36:37], s[36:37]
; %bb.7375:                             ;   in Loop: Header=BB2_6908 Depth=3
	v_cmp_gt_i16_sdwa vcc, sext(v56), v48 src0_sel:BYTE_0 src1_sel:DWORD
	v_cndmask_b32_e32 v3, v7, v0, vcc
	v_cmp_eq_u32_e32 vcc, 0, v4
	v_cndmask_b32_e32 v3, v35, v3, vcc
; %bb.7376:                             ;   in Loop: Header=BB2_6908 Depth=3
	s_or_b64 exec, exec, s[36:37]
.LBB2_7377:                             ;   in Loop: Header=BB2_6908 Depth=3
	s_or_b64 exec, exec, s[34:35]
.LBB2_7378:                             ;   in Loop: Header=BB2_6908 Depth=3
	s_or_b64 exec, exec, s[28:29]
	v_cmp_ne_u16_e32 vcc, 0, v30
	s_and_saveexec_b64 s[28:29], vcc
	s_cbranch_execz .LBB2_7386
; %bb.7379:                             ;   in Loop: Header=BB2_6908 Depth=3
	v_cmp_ne_u16_e32 vcc, s97, v30
	v_bfrev_b32_e32 v2, 1
	s_and_saveexec_b64 s[34:35], vcc
	s_cbranch_execz .LBB2_7385
; %bb.7380:                             ;   in Loop: Header=BB2_6908 Depth=3
	v_and_b32_e32 v2, 0x7c, v30
	v_and_b32_e32 v4, 3, v30
	v_cmp_ne_u32_e32 vcc, s85, v2
                                        ; implicit-def: $vgpr2
	s_and_saveexec_b64 s[36:37], vcc
	s_xor_b64 s[36:37], exec, s[36:37]
	s_cbranch_execz .LBB2_7382
; %bb.7381:                             ;   in Loop: Header=BB2_6908 Depth=3
	v_ffbh_u32_e32 v15, v4
	v_min_u32_e32 v15, 32, v15
	v_and_b32_e32 v2, 0xff, v30
	v_mov_b32_e32 v31, v29
	v_subrev_u32_e32 v17, 29, v15
	v_bfe_u32 v2, v2, 2, 5
	v_lshlrev_b64 v[38:39], v17, v[30:31]
	v_sub_u32_e32 v15, 30, v15
	v_cmp_eq_u32_e32 vcc, 0, v2
	v_and_b32_e32 v17, 3, v38
	v_cndmask_b32_e32 v2, v2, v15, vcc
	v_and_b32_sdwa v15, sext(v30), s86 dst_sel:DWORD dst_unused:UNUSED_PAD src0_sel:WORD_0 src1_sel:DWORD
	v_cndmask_b32_e32 v4, v4, v17, vcc
	v_lshl_add_u32 v2, v2, 23, v15
	v_lshl_or_b32 v2, v4, 21, v2
	v_add_u32_e32 v2, 0x38000000, v2
                                        ; implicit-def: $vgpr4
                                        ; implicit-def: $vgpr30
.LBB2_7382:                             ;   in Loop: Header=BB2_6908 Depth=3
	s_andn2_saveexec_b64 s[36:37], s[36:37]
; %bb.7383:                             ;   in Loop: Header=BB2_6908 Depth=3
	v_cmp_lt_i16_e32 vcc, -1, v30
	v_cndmask_b32_e32 v2, v7, v0, vcc
	v_cmp_eq_u32_e32 vcc, 0, v4
	v_cndmask_b32_e32 v2, v35, v2, vcc
; %bb.7384:                             ;   in Loop: Header=BB2_6908 Depth=3
	s_or_b64 exec, exec, s[36:37]
.LBB2_7385:                             ;   in Loop: Header=BB2_6908 Depth=3
	s_or_b64 exec, exec, s[34:35]
.LBB2_7386:                             ;   in Loop: Header=BB2_6908 Depth=3
	s_or_b64 exec, exec, s[28:29]
	v_add_f32_e32 v2, v3, v2
	v_and_b32_e32 v3, 0x7f800000, v2
	v_mov_b32_e32 v4, v29
	v_cmp_ne_u64_e32 vcc, s[76:77], v[3:4]
	v_and_b32_e32 v28, 0x7fffff, v2
                                        ; implicit-def: $vgpr15
	s_and_saveexec_b64 s[28:29], vcc
	s_xor_b64 s[34:35], exec, s[28:29]
	s_cbranch_execz .LBB2_7404
; %bb.7387:                             ;   in Loop: Header=BB2_6908 Depth=3
	v_and_b32_e32 v3, 0x7fffffff, v2
	v_mov_b32_e32 v4, v29
	v_cmp_gt_u64_e32 vcc, s[78:79], v[3:4]
	v_and_b32_sdwa v17, v2, s96 dst_sel:DWORD dst_unused:UNUSED_PAD src0_sel:BYTE_3 src1_sel:DWORD
                                        ; implicit-def: $vgpr15
	s_and_saveexec_b64 s[28:29], vcc
	s_xor_b64 s[36:37], exec, s[28:29]
	s_cbranch_execz .LBB2_7401
; %bb.7388:                             ;   in Loop: Header=BB2_6908 Depth=3
	v_cmp_ne_u32_e32 vcc, 0, v2
	v_mov_b32_e32 v15, 0
	s_and_saveexec_b64 s[38:39], vcc
	s_cbranch_execz .LBB2_7400
; %bb.7389:                             ;   in Loop: Header=BB2_6908 Depth=3
	v_bfe_u32 v15, v2, 23, 8
	v_cmp_gt_u32_e64 s[28:29], s46, v15
	v_sub_u32_e32 v2, 0x71, v15
	v_cmp_eq_u32_e32 vcc, 0, v15
	v_cndmask_b32_e64 v2, 0, v2, s[28:29]
	v_mov_b32_e32 v4, 0x70
	v_cndmask_b32_e32 v30, v2, v4, vcc
	v_add_u32_e32 v4, 21, v30
	v_or_b32_e32 v3, 0x800000, v28
	v_lshlrev_b64 v[38:39], v4, -1
	v_cndmask_b32_e32 v2, v3, v28, vcc
	v_mov_b32_e32 v3, v29
	v_add_u32_e32 v4, 20, v30
	v_bfi_b32 v38, v38, 0, v2
	v_lshlrev_b64 v[56:57], v4, 1
	v_lshrrev_b64 v[2:3], v30, v[2:3]
	v_bfi_b32 v39, v39, 0, 0
	v_cmp_eq_u64_e64 s[28:29], v[38:39], v[56:57]
	v_mov_b32_e32 v4, v3
	v_mov_b32_e32 v3, v2
	s_and_saveexec_b64 s[48:49], s[28:29]
; %bb.7390:                             ;   in Loop: Header=BB2_6908 Depth=3
	v_bfe_u32 v3, v2, 21, 1
	v_add_co_u32_e64 v3, s[28:29], v2, v3
	v_add_co_u32_e64 v3, s[28:29], -1, v3
; %bb.7391:                             ;   in Loop: Header=BB2_6908 Depth=3
	s_or_b64 exec, exec, s[48:49]
	v_add_u32_e32 v4, 0xffffff81, v15
	v_cndmask_b32_e32 v4, v4, v1, vcc
	v_lshrrev_b32_e32 v15, 23, v2
	v_add3_u32 v30, v30, v4, v15
	v_add_u32_e32 v15, 14, v30
	v_and_b32_e32 v3, 0x1fffff, v3
	v_add_u32_e32 v28, v3, v2
	v_cmp_ne_u32_e32 vcc, 0, v15
                                        ; implicit-def: $vgpr2_vgpr3
                                        ; implicit-def: $vgpr4
	s_and_saveexec_b64 s[28:29], vcc
	s_xor_b64 s[28:29], exec, s[28:29]
; %bb.7392:                             ;   in Loop: Header=BB2_6908 Depth=3
	v_cmp_lt_u64_e32 vcc, s[88:89], v[28:29]
	v_add_u32_e32 v2, 15, v30
	v_cndmask_b32_e32 v4, v15, v2, vcc
	v_cndmask_b32_e64 v2, 0, 1, vcc
	v_lshrrev_b64 v[2:3], v2, v[28:29]
; %bb.7393:                             ;   in Loop: Header=BB2_6908 Depth=3
	s_andn2_saveexec_b64 s[28:29], s[28:29]
; %bb.7394:                             ;   in Loop: Header=BB2_6908 Depth=3
	v_mov_b32_e32 v2, v28
	v_mov_b32_e32 v3, v29
	v_bfe_u32 v4, v28, 23, 1
; %bb.7395:                             ;   in Loop: Header=BB2_6908 Depth=3
	s_or_b64 exec, exec, s[28:29]
	v_lshrrev_b64 v[2:3], 21, v[2:3]
	v_cmp_gt_i32_e32 vcc, 32, v4
	v_cndmask_b32_e32 v3, 0, v3, vcc
	v_cndmask_b32_e32 v2, 3, v2, vcc
	v_cmp_ne_u64_e32 vcc, 0, v[2:3]
	v_cmp_ne_u32_e64 s[28:29], 0, v4
	s_or_b64 s[28:29], s[28:29], vcc
                                        ; implicit-def: $vgpr15
	s_and_saveexec_b64 vcc, s[28:29]
	s_xor_b64 s[28:29], exec, vcc
; %bb.7396:                             ;   in Loop: Header=BB2_6908 Depth=3
	v_min_i32_e32 v3, 31, v4
	v_lshl_or_b32 v3, v3, 2, v17
	v_and_or_b32 v15, v2, 3, v3
                                        ; implicit-def: $vgpr17
; %bb.7397:                             ;   in Loop: Header=BB2_6908 Depth=3
	s_andn2_saveexec_b64 s[28:29], s[28:29]
; %bb.7398:                             ;   in Loop: Header=BB2_6908 Depth=3
	v_mov_b32_e32 v15, v17
; %bb.7399:                             ;   in Loop: Header=BB2_6908 Depth=3
	s_or_b64 exec, exec, s[28:29]
.LBB2_7400:                             ;   in Loop: Header=BB2_6908 Depth=3
	s_or_b64 exec, exec, s[38:39]
                                        ; implicit-def: $vgpr17
.LBB2_7401:                             ;   in Loop: Header=BB2_6908 Depth=3
	s_andn2_saveexec_b64 s[28:29], s[36:37]
; %bb.7402:                             ;   in Loop: Header=BB2_6908 Depth=3
	v_or_b32_e32 v15, 0x7b, v17
; %bb.7403:                             ;   in Loop: Header=BB2_6908 Depth=3
	s_or_b64 exec, exec, s[28:29]
                                        ; implicit-def: $vgpr2
.LBB2_7404:                             ;   in Loop: Header=BB2_6908 Depth=3
	s_andn2_saveexec_b64 s[28:29], s[34:35]
	s_cbranch_execz .LBB2_7410
; %bb.7405:                             ;   in Loop: Header=BB2_6908 Depth=3
	v_cmp_ne_u64_e32 vcc, 0, v[28:29]
                                        ; implicit-def: $vgpr15
	s_and_saveexec_b64 s[34:35], vcc
	s_xor_b64 vcc, exec, s[34:35]
; %bb.7406:                             ;   in Loop: Header=BB2_6908 Depth=3
	v_or_b32_sdwa v15, v2, s47 dst_sel:DWORD dst_unused:UNUSED_PAD src0_sel:BYTE_3 src1_sel:DWORD
                                        ; implicit-def: $vgpr2
; %bb.7407:                             ;   in Loop: Header=BB2_6908 Depth=3
	s_andn2_saveexec_b64 s[34:35], vcc
; %bb.7408:                             ;   in Loop: Header=BB2_6908 Depth=3
	v_cmp_lt_i32_e32 vcc, -1, v2
	v_cndmask_b32_e32 v15, -4, v22, vcc
; %bb.7409:                             ;   in Loop: Header=BB2_6908 Depth=3
	s_or_b64 exec, exec, s[34:35]
.LBB2_7410:                             ;   in Loop: Header=BB2_6908 Depth=3
	s_or_b64 exec, exec, s[28:29]
	v_and_b32_e32 v17, 0xff, v55
	v_cmp_ne_u16_e32 vcc, 0, v17
	v_mov_b32_e32 v2, 0
	v_mov_b32_e32 v3, 0
	s_and_saveexec_b64 s[28:29], vcc
	s_cbranch_execz .LBB2_7418
; %bb.7411:                             ;   in Loop: Header=BB2_6908 Depth=3
	v_cmp_ne_u16_e32 vcc, s96, v17
	v_bfrev_b32_e32 v3, 1
	s_and_saveexec_b64 s[34:35], vcc
	s_cbranch_execz .LBB2_7417
; %bb.7412:                             ;   in Loop: Header=BB2_6908 Depth=3
	v_and_b32_e32 v3, 0x7c, v55
	v_and_b32_e32 v4, 3, v55
	v_cmp_ne_u32_e32 vcc, s85, v3
                                        ; implicit-def: $vgpr3
	s_and_saveexec_b64 s[36:37], vcc
	s_xor_b64 s[36:37], exec, s[36:37]
	s_cbranch_execz .LBB2_7414
; %bb.7413:                             ;   in Loop: Header=BB2_6908 Depth=3
	v_bfe_u32 v3, v17, 2, 5
	v_ffbh_u32_e32 v17, v4
	v_min_u32_e32 v17, 32, v17
	v_mov_b32_e32 v56, v29
	v_subrev_u32_e32 v28, 29, v17
	v_lshlrev_b64 v[30:31], v28, v[55:56]
	v_sub_u32_e32 v17, 30, v17
	v_cmp_eq_u32_e32 vcc, 0, v3
	v_cndmask_b32_e32 v3, v3, v17, vcc
	v_lshlrev_b32_e32 v17, 24, v55
	v_and_b32_e32 v28, 3, v30
	v_and_b32_e32 v17, 0x80000000, v17
	v_cndmask_b32_e32 v4, v4, v28, vcc
	v_lshl_add_u32 v3, v3, 23, v17
	v_lshl_or_b32 v3, v4, 21, v3
	v_add_u32_e32 v3, 0x38000000, v3
                                        ; implicit-def: $vgpr4
                                        ; implicit-def: $vgpr55
.LBB2_7414:                             ;   in Loop: Header=BB2_6908 Depth=3
	s_andn2_saveexec_b64 s[36:37], s[36:37]
; %bb.7415:                             ;   in Loop: Header=BB2_6908 Depth=3
	v_cmp_gt_i16_sdwa vcc, sext(v55), v48 src0_sel:BYTE_0 src1_sel:DWORD
	v_cndmask_b32_e32 v3, v7, v0, vcc
	v_cmp_eq_u32_e32 vcc, 0, v4
	v_cndmask_b32_e32 v3, v35, v3, vcc
; %bb.7416:                             ;   in Loop: Header=BB2_6908 Depth=3
	s_or_b64 exec, exec, s[36:37]
.LBB2_7417:                             ;   in Loop: Header=BB2_6908 Depth=3
	s_or_b64 exec, exec, s[34:35]
.LBB2_7418:                             ;   in Loop: Header=BB2_6908 Depth=3
	s_or_b64 exec, exec, s[28:29]
	v_cmp_ne_u16_e32 vcc, 0, v16
	s_and_saveexec_b64 s[28:29], vcc
	s_cbranch_execz .LBB2_7426
; %bb.7419:                             ;   in Loop: Header=BB2_6908 Depth=3
	v_cmp_ne_u16_e32 vcc, s97, v16
	v_bfrev_b32_e32 v2, 1
	s_and_saveexec_b64 s[34:35], vcc
	s_cbranch_execz .LBB2_7425
; %bb.7420:                             ;   in Loop: Header=BB2_6908 Depth=3
	v_and_b32_e32 v2, 0x7c, v16
	v_and_b32_e32 v4, 3, v16
	v_cmp_ne_u32_e32 vcc, s85, v2
                                        ; implicit-def: $vgpr2
	s_and_saveexec_b64 s[36:37], vcc
	s_xor_b64 s[36:37], exec, s[36:37]
	s_cbranch_execz .LBB2_7422
; %bb.7421:                             ;   in Loop: Header=BB2_6908 Depth=3
	v_ffbh_u32_e32 v28, v4
	v_min_u32_e32 v28, 32, v28
	v_and_b32_e32 v2, 0xff, v16
	v_mov_b32_e32 v17, v29
	v_subrev_u32_e32 v30, 29, v28
	v_bfe_u32 v2, v2, 2, 5
	v_lshlrev_b64 v[30:31], v30, v[16:17]
	v_sub_u32_e32 v17, 30, v28
	v_cmp_eq_u32_e32 vcc, 0, v2
	v_and_b32_e32 v28, 3, v30
	v_cndmask_b32_e32 v2, v2, v17, vcc
	v_and_b32_sdwa v16, sext(v16), s86 dst_sel:DWORD dst_unused:UNUSED_PAD src0_sel:WORD_0 src1_sel:DWORD
	v_cndmask_b32_e32 v4, v4, v28, vcc
	v_lshl_add_u32 v2, v2, 23, v16
	v_lshl_or_b32 v2, v4, 21, v2
	v_add_u32_e32 v2, 0x38000000, v2
                                        ; implicit-def: $vgpr4
                                        ; implicit-def: $vgpr16
.LBB2_7422:                             ;   in Loop: Header=BB2_6908 Depth=3
	s_andn2_saveexec_b64 s[36:37], s[36:37]
; %bb.7423:                             ;   in Loop: Header=BB2_6908 Depth=3
	v_cmp_lt_i16_e32 vcc, -1, v16
	v_cndmask_b32_e32 v2, v7, v0, vcc
	v_cmp_eq_u32_e32 vcc, 0, v4
	v_cndmask_b32_e32 v2, v35, v2, vcc
; %bb.7424:                             ;   in Loop: Header=BB2_6908 Depth=3
	s_or_b64 exec, exec, s[36:37]
.LBB2_7425:                             ;   in Loop: Header=BB2_6908 Depth=3
	s_or_b64 exec, exec, s[34:35]
.LBB2_7426:                             ;   in Loop: Header=BB2_6908 Depth=3
	s_or_b64 exec, exec, s[28:29]
	v_add_f32_e32 v2, v3, v2
	v_and_b32_e32 v3, 0x7f800000, v2
	v_mov_b32_e32 v4, v29
	v_cmp_ne_u64_e32 vcc, s[76:77], v[3:4]
	v_and_b32_e32 v28, 0x7fffff, v2
                                        ; implicit-def: $vgpr16
	s_and_saveexec_b64 s[28:29], vcc
	s_xor_b64 s[34:35], exec, s[28:29]
	s_cbranch_execz .LBB2_7444
; %bb.7427:                             ;   in Loop: Header=BB2_6908 Depth=3
	v_and_b32_e32 v3, 0x7fffffff, v2
	v_mov_b32_e32 v4, v29
	v_cmp_gt_u64_e32 vcc, s[78:79], v[3:4]
	v_and_b32_sdwa v17, v2, s96 dst_sel:DWORD dst_unused:UNUSED_PAD src0_sel:BYTE_3 src1_sel:DWORD
                                        ; implicit-def: $vgpr16
	s_and_saveexec_b64 s[28:29], vcc
	s_xor_b64 s[36:37], exec, s[28:29]
	s_cbranch_execz .LBB2_7441
; %bb.7428:                             ;   in Loop: Header=BB2_6908 Depth=3
	v_cmp_ne_u32_e32 vcc, 0, v2
	v_mov_b32_e32 v16, 0
	s_and_saveexec_b64 s[38:39], vcc
	s_cbranch_execz .LBB2_7440
; %bb.7429:                             ;   in Loop: Header=BB2_6908 Depth=3
	v_bfe_u32 v16, v2, 23, 8
	v_cmp_gt_u32_e64 s[28:29], s46, v16
	v_sub_u32_e32 v2, 0x71, v16
	v_cmp_eq_u32_e32 vcc, 0, v16
	v_cndmask_b32_e64 v2, 0, v2, s[28:29]
	v_mov_b32_e32 v4, 0x70
	v_cndmask_b32_e32 v30, v2, v4, vcc
	v_add_u32_e32 v4, 21, v30
	v_or_b32_e32 v3, 0x800000, v28
	v_lshlrev_b64 v[38:39], v4, -1
	v_cndmask_b32_e32 v2, v3, v28, vcc
	v_mov_b32_e32 v3, v29
	v_add_u32_e32 v4, 20, v30
	v_bfi_b32 v38, v38, 0, v2
	v_lshlrev_b64 v[55:56], v4, 1
	v_lshrrev_b64 v[2:3], v30, v[2:3]
	v_bfi_b32 v39, v39, 0, 0
	v_cmp_eq_u64_e64 s[28:29], v[38:39], v[55:56]
	v_mov_b32_e32 v4, v3
	v_mov_b32_e32 v3, v2
	s_and_saveexec_b64 s[48:49], s[28:29]
; %bb.7430:                             ;   in Loop: Header=BB2_6908 Depth=3
	v_bfe_u32 v3, v2, 21, 1
	v_add_co_u32_e64 v3, s[28:29], v2, v3
	v_add_co_u32_e64 v3, s[28:29], -1, v3
; %bb.7431:                             ;   in Loop: Header=BB2_6908 Depth=3
	s_or_b64 exec, exec, s[48:49]
	v_add_u32_e32 v4, 0xffffff81, v16
	v_cndmask_b32_e32 v4, v4, v1, vcc
	v_lshrrev_b32_e32 v16, 23, v2
	v_add3_u32 v30, v30, v4, v16
	v_add_u32_e32 v16, 14, v30
	v_and_b32_e32 v3, 0x1fffff, v3
	v_add_u32_e32 v28, v3, v2
	v_cmp_ne_u32_e32 vcc, 0, v16
                                        ; implicit-def: $vgpr2_vgpr3
                                        ; implicit-def: $vgpr4
	s_and_saveexec_b64 s[28:29], vcc
	s_xor_b64 s[28:29], exec, s[28:29]
; %bb.7432:                             ;   in Loop: Header=BB2_6908 Depth=3
	v_cmp_lt_u64_e32 vcc, s[88:89], v[28:29]
	v_add_u32_e32 v2, 15, v30
	v_cndmask_b32_e32 v4, v16, v2, vcc
	v_cndmask_b32_e64 v2, 0, 1, vcc
	v_lshrrev_b64 v[2:3], v2, v[28:29]
; %bb.7433:                             ;   in Loop: Header=BB2_6908 Depth=3
	s_andn2_saveexec_b64 s[28:29], s[28:29]
; %bb.7434:                             ;   in Loop: Header=BB2_6908 Depth=3
	v_mov_b32_e32 v2, v28
	v_mov_b32_e32 v3, v29
	v_bfe_u32 v4, v28, 23, 1
; %bb.7435:                             ;   in Loop: Header=BB2_6908 Depth=3
	s_or_b64 exec, exec, s[28:29]
	v_lshrrev_b64 v[2:3], 21, v[2:3]
	v_cmp_gt_i32_e32 vcc, 32, v4
	v_cndmask_b32_e32 v3, 0, v3, vcc
	v_cndmask_b32_e32 v2, 3, v2, vcc
	v_cmp_ne_u64_e32 vcc, 0, v[2:3]
	v_cmp_ne_u32_e64 s[28:29], 0, v4
	s_or_b64 s[28:29], s[28:29], vcc
                                        ; implicit-def: $vgpr16
	s_and_saveexec_b64 vcc, s[28:29]
	s_xor_b64 s[28:29], exec, vcc
; %bb.7436:                             ;   in Loop: Header=BB2_6908 Depth=3
	v_min_i32_e32 v3, 31, v4
	v_lshl_or_b32 v3, v3, 2, v17
	v_and_or_b32 v16, v2, 3, v3
                                        ; implicit-def: $vgpr17
; %bb.7437:                             ;   in Loop: Header=BB2_6908 Depth=3
	s_andn2_saveexec_b64 s[28:29], s[28:29]
; %bb.7438:                             ;   in Loop: Header=BB2_6908 Depth=3
	v_mov_b32_e32 v16, v17
; %bb.7439:                             ;   in Loop: Header=BB2_6908 Depth=3
	s_or_b64 exec, exec, s[28:29]
.LBB2_7440:                             ;   in Loop: Header=BB2_6908 Depth=3
	s_or_b64 exec, exec, s[38:39]
                                        ; implicit-def: $vgpr17
.LBB2_7441:                             ;   in Loop: Header=BB2_6908 Depth=3
	s_andn2_saveexec_b64 s[28:29], s[36:37]
; %bb.7442:                             ;   in Loop: Header=BB2_6908 Depth=3
	v_or_b32_e32 v16, 0x7b, v17
; %bb.7443:                             ;   in Loop: Header=BB2_6908 Depth=3
	s_or_b64 exec, exec, s[28:29]
                                        ; implicit-def: $vgpr2
.LBB2_7444:                             ;   in Loop: Header=BB2_6908 Depth=3
	s_andn2_saveexec_b64 s[28:29], s[34:35]
	s_cbranch_execz .LBB2_7450
; %bb.7445:                             ;   in Loop: Header=BB2_6908 Depth=3
	v_cmp_ne_u64_e32 vcc, 0, v[28:29]
                                        ; implicit-def: $vgpr16
	s_and_saveexec_b64 s[34:35], vcc
	s_xor_b64 vcc, exec, s[34:35]
; %bb.7446:                             ;   in Loop: Header=BB2_6908 Depth=3
	v_or_b32_sdwa v16, v2, s47 dst_sel:DWORD dst_unused:UNUSED_PAD src0_sel:BYTE_3 src1_sel:DWORD
                                        ; implicit-def: $vgpr2
; %bb.7447:                             ;   in Loop: Header=BB2_6908 Depth=3
	s_andn2_saveexec_b64 s[34:35], vcc
; %bb.7448:                             ;   in Loop: Header=BB2_6908 Depth=3
	v_cmp_lt_i32_e32 vcc, -1, v2
	v_cndmask_b32_e32 v16, -4, v22, vcc
; %bb.7449:                             ;   in Loop: Header=BB2_6908 Depth=3
	s_or_b64 exec, exec, s[34:35]
.LBB2_7450:                             ;   in Loop: Header=BB2_6908 Depth=3
	s_or_b64 exec, exec, s[28:29]
	v_and_b32_e32 v17, 0xff, v44
	v_cmp_ne_u16_e32 vcc, 0, v17
	v_mov_b32_e32 v2, 0
	v_mov_b32_e32 v3, 0
	s_and_saveexec_b64 s[28:29], vcc
	s_cbranch_execz .LBB2_7458
; %bb.7451:                             ;   in Loop: Header=BB2_6908 Depth=3
	v_cmp_ne_u16_e32 vcc, s96, v17
	v_bfrev_b32_e32 v3, 1
	s_and_saveexec_b64 s[34:35], vcc
	s_cbranch_execz .LBB2_7457
; %bb.7452:                             ;   in Loop: Header=BB2_6908 Depth=3
	v_and_b32_e32 v3, 0x7c, v44
	v_and_b32_e32 v4, 3, v44
	v_cmp_ne_u32_e32 vcc, s85, v3
                                        ; implicit-def: $vgpr3
	s_and_saveexec_b64 s[36:37], vcc
	s_xor_b64 s[36:37], exec, s[36:37]
	s_cbranch_execz .LBB2_7454
; %bb.7453:                             ;   in Loop: Header=BB2_6908 Depth=3
	v_bfe_u32 v3, v17, 2, 5
	v_ffbh_u32_e32 v17, v4
	v_min_u32_e32 v17, 32, v17
	v_mov_b32_e32 v45, v29
	v_subrev_u32_e32 v28, 29, v17
	v_lshlrev_b64 v[30:31], v28, v[44:45]
	v_sub_u32_e32 v17, 30, v17
	v_cmp_eq_u32_e32 vcc, 0, v3
	v_cndmask_b32_e32 v3, v3, v17, vcc
	v_lshlrev_b32_e32 v17, 24, v44
	v_and_b32_e32 v28, 3, v30
	v_and_b32_e32 v17, 0x80000000, v17
	v_cndmask_b32_e32 v4, v4, v28, vcc
	v_lshl_add_u32 v3, v3, 23, v17
	v_lshl_or_b32 v3, v4, 21, v3
	v_add_u32_e32 v3, 0x38000000, v3
                                        ; implicit-def: $vgpr4
                                        ; implicit-def: $vgpr44
.LBB2_7454:                             ;   in Loop: Header=BB2_6908 Depth=3
	s_andn2_saveexec_b64 s[36:37], s[36:37]
; %bb.7455:                             ;   in Loop: Header=BB2_6908 Depth=3
	v_cmp_gt_i16_sdwa vcc, sext(v44), v48 src0_sel:BYTE_0 src1_sel:DWORD
	v_cndmask_b32_e32 v3, v7, v0, vcc
	v_cmp_eq_u32_e32 vcc, 0, v4
	v_cndmask_b32_e32 v3, v35, v3, vcc
; %bb.7456:                             ;   in Loop: Header=BB2_6908 Depth=3
	s_or_b64 exec, exec, s[36:37]
.LBB2_7457:                             ;   in Loop: Header=BB2_6908 Depth=3
	s_or_b64 exec, exec, s[34:35]
.LBB2_7458:                             ;   in Loop: Header=BB2_6908 Depth=3
	s_or_b64 exec, exec, s[28:29]
	v_cmp_ne_u16_e32 vcc, 0, v46
	s_and_saveexec_b64 s[28:29], vcc
	s_cbranch_execz .LBB2_7466
; %bb.7459:                             ;   in Loop: Header=BB2_6908 Depth=3
	v_cmp_ne_u16_e32 vcc, s97, v46
	v_bfrev_b32_e32 v2, 1
	s_and_saveexec_b64 s[34:35], vcc
	s_cbranch_execz .LBB2_7465
; %bb.7460:                             ;   in Loop: Header=BB2_6908 Depth=3
	v_and_b32_e32 v2, 0x7c, v46
	v_and_b32_e32 v4, 3, v46
	v_cmp_ne_u32_e32 vcc, s85, v2
                                        ; implicit-def: $vgpr2
	s_and_saveexec_b64 s[36:37], vcc
	s_xor_b64 s[36:37], exec, s[36:37]
	s_cbranch_execz .LBB2_7462
; %bb.7461:                             ;   in Loop: Header=BB2_6908 Depth=3
	v_ffbh_u32_e32 v17, v4
	v_min_u32_e32 v17, 32, v17
	v_and_b32_e32 v2, 0xff, v46
	v_mov_b32_e32 v47, v29
	v_subrev_u32_e32 v28, 29, v17
	v_bfe_u32 v2, v2, 2, 5
	v_lshlrev_b64 v[30:31], v28, v[46:47]
	v_sub_u32_e32 v17, 30, v17
	v_cmp_eq_u32_e32 vcc, 0, v2
	v_and_b32_e32 v28, 3, v30
	v_cndmask_b32_e32 v2, v2, v17, vcc
	v_and_b32_sdwa v17, sext(v46), s86 dst_sel:DWORD dst_unused:UNUSED_PAD src0_sel:WORD_0 src1_sel:DWORD
	v_cndmask_b32_e32 v4, v4, v28, vcc
	v_lshl_add_u32 v2, v2, 23, v17
	v_lshl_or_b32 v2, v4, 21, v2
	v_add_u32_e32 v2, 0x38000000, v2
                                        ; implicit-def: $vgpr4
                                        ; implicit-def: $vgpr46
.LBB2_7462:                             ;   in Loop: Header=BB2_6908 Depth=3
	s_andn2_saveexec_b64 s[36:37], s[36:37]
; %bb.7463:                             ;   in Loop: Header=BB2_6908 Depth=3
	v_cmp_lt_i16_e32 vcc, -1, v46
	v_cndmask_b32_e32 v2, v7, v0, vcc
	v_cmp_eq_u32_e32 vcc, 0, v4
	v_cndmask_b32_e32 v2, v35, v2, vcc
; %bb.7464:                             ;   in Loop: Header=BB2_6908 Depth=3
	s_or_b64 exec, exec, s[36:37]
.LBB2_7465:                             ;   in Loop: Header=BB2_6908 Depth=3
	s_or_b64 exec, exec, s[34:35]
.LBB2_7466:                             ;   in Loop: Header=BB2_6908 Depth=3
	s_or_b64 exec, exec, s[28:29]
	v_add_f32_e32 v2, v3, v2
	v_and_b32_e32 v3, 0x7f800000, v2
	v_mov_b32_e32 v4, v29
	v_cmp_ne_u64_e32 vcc, s[76:77], v[3:4]
	v_and_b32_e32 v28, 0x7fffff, v2
                                        ; implicit-def: $vgpr3
	s_and_saveexec_b64 s[28:29], vcc
	s_xor_b64 s[34:35], exec, s[28:29]
	s_cbranch_execz .LBB2_7484
; %bb.7467:                             ;   in Loop: Header=BB2_6908 Depth=3
	v_and_b32_e32 v3, 0x7fffffff, v2
	v_mov_b32_e32 v4, v29
	v_cmp_gt_u64_e32 vcc, s[78:79], v[3:4]
	v_and_b32_sdwa v17, v2, s96 dst_sel:DWORD dst_unused:UNUSED_PAD src0_sel:BYTE_3 src1_sel:DWORD
                                        ; implicit-def: $vgpr3
	s_and_saveexec_b64 s[28:29], vcc
	s_xor_b64 s[36:37], exec, s[28:29]
	s_cbranch_execz .LBB2_7481
; %bb.7468:                             ;   in Loop: Header=BB2_6908 Depth=3
	v_cmp_ne_u32_e32 vcc, 0, v2
	v_mov_b32_e32 v3, 0
	s_and_saveexec_b64 s[38:39], vcc
	s_cbranch_execz .LBB2_7480
; %bb.7469:                             ;   in Loop: Header=BB2_6908 Depth=3
	v_bfe_u32 v30, v2, 23, 8
	v_cmp_gt_u32_e64 s[28:29], s46, v30
	v_sub_u32_e32 v2, 0x71, v30
	v_cmp_eq_u32_e32 vcc, 0, v30
	v_cndmask_b32_e64 v2, 0, v2, s[28:29]
	v_mov_b32_e32 v4, 0x70
	v_cndmask_b32_e32 v31, v2, v4, vcc
	v_add_u32_e32 v4, 21, v31
	v_or_b32_e32 v3, 0x800000, v28
	v_lshlrev_b64 v[38:39], v4, -1
	v_cndmask_b32_e32 v2, v3, v28, vcc
	v_mov_b32_e32 v3, v29
	v_add_u32_e32 v4, 20, v31
	v_bfi_b32 v38, v38, 0, v2
	v_lshlrev_b64 v[44:45], v4, 1
	v_lshrrev_b64 v[2:3], v31, v[2:3]
	v_bfi_b32 v39, v39, 0, 0
	v_cmp_eq_u64_e64 s[28:29], v[38:39], v[44:45]
	v_mov_b32_e32 v4, v3
	v_mov_b32_e32 v3, v2
	s_and_saveexec_b64 s[48:49], s[28:29]
; %bb.7470:                             ;   in Loop: Header=BB2_6908 Depth=3
	v_bfe_u32 v3, v2, 21, 1
	v_add_co_u32_e64 v3, s[28:29], v2, v3
	v_add_co_u32_e64 v3, s[28:29], -1, v3
; %bb.7471:                             ;   in Loop: Header=BB2_6908 Depth=3
	s_or_b64 exec, exec, s[48:49]
	v_add_u32_e32 v4, 0xffffff81, v30
	v_cndmask_b32_e32 v4, v4, v1, vcc
	v_lshrrev_b32_e32 v28, 23, v2
	v_add3_u32 v31, v31, v4, v28
	v_add_u32_e32 v30, 14, v31
	v_and_b32_e32 v3, 0x1fffff, v3
	v_add_u32_e32 v28, v3, v2
	v_cmp_ne_u32_e32 vcc, 0, v30
                                        ; implicit-def: $vgpr2_vgpr3
                                        ; implicit-def: $vgpr4
	s_and_saveexec_b64 s[28:29], vcc
	s_xor_b64 s[28:29], exec, s[28:29]
; %bb.7472:                             ;   in Loop: Header=BB2_6908 Depth=3
	v_cmp_lt_u64_e32 vcc, s[88:89], v[28:29]
	v_add_u32_e32 v2, 15, v31
	v_cndmask_b32_e32 v4, v30, v2, vcc
	v_cndmask_b32_e64 v2, 0, 1, vcc
	v_lshrrev_b64 v[2:3], v2, v[28:29]
; %bb.7473:                             ;   in Loop: Header=BB2_6908 Depth=3
	s_andn2_saveexec_b64 s[28:29], s[28:29]
; %bb.7474:                             ;   in Loop: Header=BB2_6908 Depth=3
	v_mov_b32_e32 v2, v28
	v_mov_b32_e32 v3, v29
	v_bfe_u32 v4, v28, 23, 1
; %bb.7475:                             ;   in Loop: Header=BB2_6908 Depth=3
	s_or_b64 exec, exec, s[28:29]
	v_lshrrev_b64 v[2:3], 21, v[2:3]
	v_cmp_gt_i32_e32 vcc, 32, v4
	v_cndmask_b32_e32 v3, 0, v3, vcc
	v_cndmask_b32_e32 v2, 3, v2, vcc
	v_cmp_ne_u64_e32 vcc, 0, v[2:3]
	v_cmp_ne_u32_e64 s[28:29], 0, v4
	s_or_b64 s[28:29], s[28:29], vcc
                                        ; implicit-def: $vgpr3
	s_and_saveexec_b64 vcc, s[28:29]
	s_xor_b64 s[28:29], exec, vcc
; %bb.7476:                             ;   in Loop: Header=BB2_6908 Depth=3
	v_min_i32_e32 v3, 31, v4
	v_lshl_or_b32 v3, v3, 2, v17
	v_and_or_b32 v3, v2, 3, v3
                                        ; implicit-def: $vgpr17
; %bb.7477:                             ;   in Loop: Header=BB2_6908 Depth=3
	s_andn2_saveexec_b64 s[28:29], s[28:29]
; %bb.7478:                             ;   in Loop: Header=BB2_6908 Depth=3
	v_mov_b32_e32 v3, v17
; %bb.7479:                             ;   in Loop: Header=BB2_6908 Depth=3
	s_or_b64 exec, exec, s[28:29]
.LBB2_7480:                             ;   in Loop: Header=BB2_6908 Depth=3
	s_or_b64 exec, exec, s[38:39]
                                        ; implicit-def: $vgpr17
.LBB2_7481:                             ;   in Loop: Header=BB2_6908 Depth=3
	s_andn2_saveexec_b64 s[28:29], s[36:37]
; %bb.7482:                             ;   in Loop: Header=BB2_6908 Depth=3
	v_or_b32_e32 v3, 0x7b, v17
; %bb.7483:                             ;   in Loop: Header=BB2_6908 Depth=3
	s_or_b64 exec, exec, s[28:29]
                                        ; implicit-def: $vgpr2
.LBB2_7484:                             ;   in Loop: Header=BB2_6908 Depth=3
	s_andn2_saveexec_b64 s[28:29], s[34:35]
	s_cbranch_execz .LBB2_6907
; %bb.7485:                             ;   in Loop: Header=BB2_6908 Depth=3
	v_cmp_ne_u64_e32 vcc, 0, v[28:29]
                                        ; implicit-def: $vgpr3
	s_and_saveexec_b64 s[34:35], vcc
	s_xor_b64 vcc, exec, s[34:35]
; %bb.7486:                             ;   in Loop: Header=BB2_6908 Depth=3
	v_or_b32_sdwa v3, v2, s47 dst_sel:DWORD dst_unused:UNUSED_PAD src0_sel:BYTE_3 src1_sel:DWORD
                                        ; implicit-def: $vgpr2
; %bb.7487:                             ;   in Loop: Header=BB2_6908 Depth=3
	s_andn2_saveexec_b64 s[34:35], vcc
	s_cbranch_execz .LBB2_6906
; %bb.7488:                             ;   in Loop: Header=BB2_6908 Depth=3
	v_cmp_lt_i32_e32 vcc, -1, v2
	v_cndmask_b32_e32 v3, -4, v22, vcc
	s_branch .LBB2_6906
.LBB2_7489:                             ;   in Loop: Header=BB2_4813 Depth=2
	s_or_b64 exec, exec, s[30:31]
	buffer_load_dword v41, off, s[0:3], s33 offset:188 ; 4-byte Folded Reload
	buffer_load_dword v42, off, s[0:3], s33 offset:192 ; 4-byte Folded Reload
	;; [unrolled: 1-line block ×4, first 2 shown]
.LBB2_7490:                             ;   in Loop: Header=BB2_4813 Depth=2
	s_or_b64 exec, exec, s[40:41]
	v_lshlrev_b32_e32 v2, 9, v54
	v_cmp_ne_u32_e32 vcc, v51, v2
	s_and_b64 exec, exec, vcc
	s_cbranch_execz .LBB2_7574
; %bb.7491:                             ;   in Loop: Header=BB2_4813 Depth=2
	v_lshlrev_b32_e32 v3, 6, v23
	v_sub_u32_e32 v3, v52, v3
	v_lshlrev_b32_e32 v4, 6, v53
	v_sub_u32_e32 v3, v3, v4
	v_add_u32_e32 v2, v2, v3
	v_sub_u32_e32 v18, v51, v2
	v_cmp_lt_i32_e32 vcc, 0, v18
	s_and_b64 exec, exec, vcc
	s_cbranch_execz .LBB2_7574
; %bb.7492:                             ;   in Loop: Header=BB2_4813 Depth=2
	s_trap 2
	ds_read_b128 v[8:11], v0
	v_add_u32_e32 v2, v2, v37
	v_ashrrev_i32_e32 v3, 31, v2
	s_mov_b64 s[30:31], 0
	s_waitcnt lgkmcnt(0)
	v_add_co_u32_e32 v8, vcc, v8, v2
	v_addc_co_u32_e32 v9, vcc, v9, v3, vcc
	v_add_co_u32_e32 v10, vcc, v10, v2
	v_addc_co_u32_e32 v11, vcc, v11, v3, vcc
	v_mov_b32_e32 v15, v9
	v_mov_b32_e32 v17, v11
	;; [unrolled: 1-line block ×4, first 2 shown]
.LBB2_7493:                             ;   Parent Loop BB2_47 Depth=1
                                        ;     Parent Loop BB2_4813 Depth=2
                                        ; =>    This Loop Header: Depth=3
                                        ;         Child Loop BB2_7572 Depth 4
	s_trap 2
	ds_read_b64 v[2:3], v0
	v_mov_b32_e32 v4, 0
	s_waitcnt lgkmcnt(0)
	v_cmp_eq_u32_sdwa s[40:41], v2, v29 src0_sel:BYTE_0 src1_sel:DWORD
	v_readfirstlane_b32 s28, v2
	v_readfirstlane_b32 s29, v3
	v_mov_b32_e32 v3, 0
	s_and_b64 vcc, exec, s[40:41]
	s_cbranch_vccnz .LBB2_7499
; %bb.7494:                             ;   in Loop: Header=BB2_7493 Depth=3
	s_bfe_i32 vcc_lo, s28, 0x80000
	s_and_b32 s40, 0xffff, vcc_lo
	s_cmpk_eq_u32 s40, 0xff80
	v_bfrev_b32_e32 v4, 1
	s_cbranch_scc1 .LBB2_7499
; %bb.7495:                             ;   in Loop: Header=BB2_7493 Depth=3
	s_and_b32 s34, s28, 3
	s_and_b32 vcc_hi, s28, 0x7c
	s_mov_b64 s[40:41], -1
	s_cmpk_lg_i32 vcc_hi, 0x7c
	s_sext_i32_i16 s35, vcc_lo
                                        ; implicit-def: $sgpr36
	s_cbranch_scc0 .LBB2_7497
; %bb.7496:                             ;   in Loop: Header=BB2_7493 Depth=3
	s_flbit_i32_b32 s41, s34
	s_min_u32 s41, s41, 32
	s_sub_i32 vcc_lo, s41, 29
	s_bfe_u32 s40, s28, 0x50002
	s_lshl_b64 s[28:29], s[28:29], vcc_lo
	s_sub_i32 s29, 30, s41
	s_and_b32 s28, s28, 3
	s_cmp_eq_u32 s40, 0
	s_cselect_b32 s29, s29, s40
	s_cselect_b32 s28, s28, s34
	s_and_b32 s40, s35, 0x80000000
	s_lshl_b32 s29, s29, 23
	s_add_i32 s29, s29, s40
	s_lshl_b32 s28, s28, 21
	s_or_b32 s28, s29, s28
	s_add_i32 s36, s28, 0x38000000
	s_mov_b64 s[40:41], 0
.LBB2_7497:                             ;   in Loop: Header=BB2_7493 Depth=3
	s_andn2_b64 vcc, exec, s[40:41]
	v_mov_b32_e32 v4, s36
	s_cbranch_vccnz .LBB2_7499
; %bb.7498:                             ;   in Loop: Header=BB2_7493 Depth=3
	s_cmp_eq_u32 s34, 0
	s_cselect_b64 vcc, -1, 0
	s_cmp_gt_i32 s35, -1
	s_cselect_b64 s[28:29], -1, 0
	v_cndmask_b32_e64 v2, v7, v0, s[28:29]
	v_cndmask_b32_e32 v4, v35, v2, vcc
.LBB2_7499:                             ;   in Loop: Header=BB2_7493 Depth=3
	flat_load_sbyte v2, v[14:15] glc slc
	s_waitcnt vmcnt(0) lgkmcnt(0)
	v_cmp_ne_u16_e32 vcc, 0, v2
	s_and_saveexec_b64 s[28:29], vcc
	s_cbranch_execz .LBB2_7507
; %bb.7500:                             ;   in Loop: Header=BB2_7493 Depth=3
	v_cmp_ne_u16_e32 vcc, s97, v2
	v_bfrev_b32_e32 v3, 1
	s_and_saveexec_b64 s[40:41], vcc
	s_cbranch_execz .LBB2_7506
; %bb.7501:                             ;   in Loop: Header=BB2_7493 Depth=3
	v_and_b32_e32 v3, 0x7c, v2
	v_and_b32_e32 v5, 3, v2
	v_cmp_ne_u32_e32 vcc, s85, v3
                                        ; implicit-def: $vgpr3
	s_and_saveexec_b64 s[34:35], vcc
	s_xor_b64 s[34:35], exec, s[34:35]
	s_cbranch_execz .LBB2_7503
; %bb.7502:                             ;   in Loop: Header=BB2_7493 Depth=3
	v_ffbh_u32_e32 v28, v5
	v_min_u32_e32 v28, 32, v28
	v_and_b32_e32 v23, 0xff, v2
	v_mov_b32_e32 v3, v29
	v_subrev_u32_e32 v30, 29, v28
	v_bfe_u32 v23, v23, 2, 5
	v_lshlrev_b64 v[30:31], v30, v[2:3]
	v_sub_u32_e32 v3, 30, v28
	v_cmp_eq_u32_e32 vcc, 0, v23
	v_and_b32_e32 v28, 3, v30
	v_cndmask_b32_e32 v3, v23, v3, vcc
	v_and_b32_sdwa v2, sext(v2), s86 dst_sel:DWORD dst_unused:UNUSED_PAD src0_sel:WORD_0 src1_sel:DWORD
	v_cndmask_b32_e32 v5, v5, v28, vcc
	v_lshl_add_u32 v2, v3, 23, v2
	v_lshl_or_b32 v2, v5, 21, v2
	v_add_u32_e32 v3, 0x38000000, v2
                                        ; implicit-def: $vgpr5
                                        ; implicit-def: $vgpr2
.LBB2_7503:                             ;   in Loop: Header=BB2_7493 Depth=3
	s_andn2_saveexec_b64 s[34:35], s[34:35]
; %bb.7504:                             ;   in Loop: Header=BB2_7493 Depth=3
	v_cmp_lt_i16_e32 vcc, -1, v2
	v_cndmask_b32_e32 v2, v7, v0, vcc
	v_cmp_eq_u32_e32 vcc, 0, v5
	v_cndmask_b32_e32 v3, v35, v2, vcc
; %bb.7505:                             ;   in Loop: Header=BB2_7493 Depth=3
	s_or_b64 exec, exec, s[34:35]
.LBB2_7506:                             ;   in Loop: Header=BB2_7493 Depth=3
	s_or_b64 exec, exec, s[40:41]
.LBB2_7507:                             ;   in Loop: Header=BB2_7493 Depth=3
	s_or_b64 exec, exec, s[28:29]
	v_mul_f32_e32 v2, v4, v3
	v_and_b32_e32 v3, 0x7f800000, v2
	v_mov_b32_e32 v4, v29
	v_cmp_ne_u64_e32 vcc, s[76:77], v[3:4]
	v_and_b32_e32 v28, 0x7fffff, v2
                                        ; implicit-def: $vgpr4
	s_and_saveexec_b64 s[28:29], vcc
	s_xor_b64 s[40:41], exec, s[28:29]
	s_cbranch_execz .LBB2_7525
; %bb.7508:                             ;   in Loop: Header=BB2_7493 Depth=3
	v_and_b32_e32 v3, 0x7fffffff, v2
	v_mov_b32_e32 v4, v29
	v_cmp_gt_u64_e32 vcc, s[78:79], v[3:4]
	v_and_b32_sdwa v5, v2, s96 dst_sel:DWORD dst_unused:UNUSED_PAD src0_sel:BYTE_3 src1_sel:DWORD
                                        ; implicit-def: $vgpr4
	s_and_saveexec_b64 s[28:29], vcc
	s_xor_b64 s[34:35], exec, s[28:29]
	s_cbranch_execz .LBB2_7522
; %bb.7509:                             ;   in Loop: Header=BB2_7493 Depth=3
	v_cmp_ne_u32_e32 vcc, 0, v2
	v_mov_b32_e32 v4, 0
	s_and_saveexec_b64 s[36:37], vcc
	s_cbranch_execz .LBB2_7521
; %bb.7510:                             ;   in Loop: Header=BB2_7493 Depth=3
	v_bfe_u32 v23, v2, 23, 8
	v_cmp_gt_u32_e64 s[28:29], s46, v23
	v_sub_u32_e32 v2, 0x71, v23
	v_cmp_eq_u32_e32 vcc, 0, v23
	v_cndmask_b32_e64 v2, 0, v2, s[28:29]
	v_mov_b32_e32 v4, 0x70
	v_cndmask_b32_e32 v30, v2, v4, vcc
	v_add_u32_e32 v4, 21, v30
	v_or_b32_e32 v3, 0x800000, v28
	v_lshlrev_b64 v[31:32], v4, -1
	v_cndmask_b32_e32 v2, v3, v28, vcc
	v_mov_b32_e32 v3, v29
	v_add_u32_e32 v4, 20, v30
	v_bfi_b32 v31, v31, 0, v2
	v_lshlrev_b64 v[37:38], v4, 1
	v_lshrrev_b64 v[2:3], v30, v[2:3]
	v_bfi_b32 v32, v32, 0, 0
	v_cmp_eq_u64_e64 s[28:29], v[31:32], v[37:38]
	v_mov_b32_e32 v4, v3
	v_mov_b32_e32 v3, v2
	s_and_saveexec_b64 s[38:39], s[28:29]
; %bb.7511:                             ;   in Loop: Header=BB2_7493 Depth=3
	v_bfe_u32 v3, v2, 21, 1
	v_add_co_u32_e64 v3, s[28:29], v2, v3
	v_add_co_u32_e64 v3, s[28:29], -1, v3
; %bb.7512:                             ;   in Loop: Header=BB2_7493 Depth=3
	s_or_b64 exec, exec, s[38:39]
	v_add_u32_e32 v4, 0xffffff81, v23
	v_cndmask_b32_e32 v4, v4, v1, vcc
	v_lshrrev_b32_e32 v23, 23, v2
	v_add3_u32 v30, v30, v4, v23
	v_add_u32_e32 v4, 14, v30
	v_and_b32_e32 v3, 0x1fffff, v3
	v_add_u32_e32 v28, v3, v2
	v_cmp_ne_u32_e32 vcc, 0, v4
                                        ; implicit-def: $vgpr2_vgpr3
                                        ; implicit-def: $vgpr23
	s_and_saveexec_b64 s[28:29], vcc
	s_xor_b64 s[28:29], exec, s[28:29]
; %bb.7513:                             ;   in Loop: Header=BB2_7493 Depth=3
	v_cmp_lt_u64_e32 vcc, s[88:89], v[28:29]
	v_add_u32_e32 v2, 15, v30
	v_cndmask_b32_e32 v23, v4, v2, vcc
	v_cndmask_b32_e64 v2, 0, 1, vcc
	v_lshrrev_b64 v[2:3], v2, v[28:29]
; %bb.7514:                             ;   in Loop: Header=BB2_7493 Depth=3
	s_andn2_saveexec_b64 s[28:29], s[28:29]
; %bb.7515:                             ;   in Loop: Header=BB2_7493 Depth=3
	v_mov_b32_e32 v2, v28
	v_mov_b32_e32 v3, v29
	v_bfe_u32 v23, v28, 23, 1
; %bb.7516:                             ;   in Loop: Header=BB2_7493 Depth=3
	s_or_b64 exec, exec, s[28:29]
	v_lshrrev_b64 v[2:3], 21, v[2:3]
	v_cmp_gt_i32_e32 vcc, 32, v23
	v_cndmask_b32_e32 v3, 0, v3, vcc
	v_cndmask_b32_e32 v2, 3, v2, vcc
	v_cmp_ne_u64_e32 vcc, 0, v[2:3]
	v_cmp_ne_u32_e64 s[28:29], 0, v23
	s_or_b64 s[28:29], s[28:29], vcc
                                        ; implicit-def: $vgpr4
	s_and_saveexec_b64 vcc, s[28:29]
	s_xor_b64 s[28:29], exec, vcc
; %bb.7517:                             ;   in Loop: Header=BB2_7493 Depth=3
	v_min_i32_e32 v3, 31, v23
	v_lshl_or_b32 v3, v3, 2, v5
	v_and_or_b32 v4, v2, 3, v3
                                        ; implicit-def: $vgpr5
; %bb.7518:                             ;   in Loop: Header=BB2_7493 Depth=3
	s_andn2_saveexec_b64 s[28:29], s[28:29]
; %bb.7519:                             ;   in Loop: Header=BB2_7493 Depth=3
	v_mov_b32_e32 v4, v5
; %bb.7520:                             ;   in Loop: Header=BB2_7493 Depth=3
	s_or_b64 exec, exec, s[28:29]
.LBB2_7521:                             ;   in Loop: Header=BB2_7493 Depth=3
	s_or_b64 exec, exec, s[36:37]
                                        ; implicit-def: $vgpr5
.LBB2_7522:                             ;   in Loop: Header=BB2_7493 Depth=3
	s_andn2_saveexec_b64 s[28:29], s[34:35]
; %bb.7523:                             ;   in Loop: Header=BB2_7493 Depth=3
	v_or_b32_e32 v4, 0x7b, v5
; %bb.7524:                             ;   in Loop: Header=BB2_7493 Depth=3
	s_or_b64 exec, exec, s[28:29]
                                        ; implicit-def: $vgpr2
.LBB2_7525:                             ;   in Loop: Header=BB2_7493 Depth=3
	s_andn2_saveexec_b64 s[28:29], s[40:41]
	s_cbranch_execz .LBB2_7531
; %bb.7526:                             ;   in Loop: Header=BB2_7493 Depth=3
	v_cmp_ne_u64_e32 vcc, 0, v[28:29]
                                        ; implicit-def: $vgpr4
	s_and_saveexec_b64 s[40:41], vcc
	s_xor_b64 s[40:41], exec, s[40:41]
; %bb.7527:                             ;   in Loop: Header=BB2_7493 Depth=3
	v_or_b32_sdwa v4, v2, s47 dst_sel:DWORD dst_unused:UNUSED_PAD src0_sel:BYTE_3 src1_sel:DWORD
                                        ; implicit-def: $vgpr2
; %bb.7528:                             ;   in Loop: Header=BB2_7493 Depth=3
	s_andn2_saveexec_b64 s[40:41], s[40:41]
; %bb.7529:                             ;   in Loop: Header=BB2_7493 Depth=3
	v_cmp_lt_i32_e32 vcc, -1, v2
	v_cndmask_b32_e32 v4, -4, v22, vcc
; %bb.7530:                             ;   in Loop: Header=BB2_7493 Depth=3
	s_or_b64 exec, exec, s[40:41]
.LBB2_7531:                             ;   in Loop: Header=BB2_7493 Depth=3
	s_or_b64 exec, exec, s[28:29]
	flat_load_sbyte v2, v[16:17] glc slc
	v_and_b32_e32 v28, 0xff, v4
	v_cmp_ne_u16_e32 vcc, 0, v28
	v_mov_b32_e32 v3, 0
	v_mov_b32_e32 v5, 0
	s_and_saveexec_b64 s[28:29], vcc
	s_cbranch_execz .LBB2_7539
; %bb.7532:                             ;   in Loop: Header=BB2_7493 Depth=3
	v_cmp_ne_u16_e32 vcc, s96, v28
	v_bfrev_b32_e32 v5, 1
	s_and_saveexec_b64 s[40:41], vcc
	s_cbranch_execz .LBB2_7538
; %bb.7533:                             ;   in Loop: Header=BB2_7493 Depth=3
	v_and_b32_e32 v5, 0x7c, v4
	v_and_b32_e32 v23, 3, v4
	v_cmp_ne_u32_e32 vcc, s85, v5
                                        ; implicit-def: $vgpr5
	s_and_saveexec_b64 s[34:35], vcc
	s_xor_b64 s[34:35], exec, s[34:35]
	s_cbranch_execz .LBB2_7535
; %bb.7534:                             ;   in Loop: Header=BB2_7493 Depth=3
	v_ffbh_u32_e32 v30, v23
	v_min_u32_e32 v32, 32, v30
	v_mov_b32_e32 v5, v29
	v_subrev_u32_e32 v30, 29, v32
	v_bfe_u32 v28, v28, 2, 5
	v_lshlrev_b64 v[30:31], v30, v[4:5]
	v_sub_u32_e32 v5, 30, v32
	v_cmp_eq_u32_e32 vcc, 0, v28
	v_lshlrev_b32_e32 v4, 24, v4
	v_and_b32_e32 v30, 3, v30
	v_cndmask_b32_e32 v5, v28, v5, vcc
	v_and_b32_e32 v4, 0x80000000, v4
	v_cndmask_b32_e32 v23, v23, v30, vcc
	v_lshl_add_u32 v4, v5, 23, v4
	v_lshl_or_b32 v4, v23, 21, v4
	v_add_u32_e32 v5, 0x38000000, v4
                                        ; implicit-def: $vgpr23
                                        ; implicit-def: $vgpr4
.LBB2_7535:                             ;   in Loop: Header=BB2_7493 Depth=3
	s_andn2_saveexec_b64 s[34:35], s[34:35]
; %bb.7536:                             ;   in Loop: Header=BB2_7493 Depth=3
	v_cmp_gt_i16_sdwa vcc, sext(v4), v48 src0_sel:BYTE_0 src1_sel:DWORD
	v_cndmask_b32_e32 v4, v7, v0, vcc
	v_cmp_eq_u32_e32 vcc, 0, v23
	v_cndmask_b32_e32 v5, v35, v4, vcc
; %bb.7537:                             ;   in Loop: Header=BB2_7493 Depth=3
	s_or_b64 exec, exec, s[34:35]
.LBB2_7538:                             ;   in Loop: Header=BB2_7493 Depth=3
	s_or_b64 exec, exec, s[40:41]
.LBB2_7539:                             ;   in Loop: Header=BB2_7493 Depth=3
	s_or_b64 exec, exec, s[28:29]
	s_waitcnt vmcnt(0) lgkmcnt(0)
	v_cmp_ne_u16_e32 vcc, 0, v2
	s_and_saveexec_b64 s[28:29], vcc
	s_cbranch_execz .LBB2_7547
; %bb.7540:                             ;   in Loop: Header=BB2_7493 Depth=3
	v_cmp_ne_u16_e32 vcc, s97, v2
	v_bfrev_b32_e32 v3, 1
	s_and_saveexec_b64 s[40:41], vcc
	s_cbranch_execz .LBB2_7546
; %bb.7541:                             ;   in Loop: Header=BB2_7493 Depth=3
	v_and_b32_e32 v3, 0x7c, v2
	v_and_b32_e32 v4, 3, v2
	v_cmp_ne_u32_e32 vcc, s85, v3
                                        ; implicit-def: $vgpr3
	s_and_saveexec_b64 s[34:35], vcc
	s_xor_b64 s[34:35], exec, s[34:35]
	s_cbranch_execz .LBB2_7543
; %bb.7542:                             ;   in Loop: Header=BB2_7493 Depth=3
	v_ffbh_u32_e32 v30, v4
	v_and_b32_e32 v3, 0xff, v2
	v_min_u32_e32 v30, 32, v30
	v_bfe_u32 v23, v3, 2, 5
	v_mov_b32_e32 v3, v29
	v_subrev_u32_e32 v31, 29, v30
	v_and_b32_sdwa v28, sext(v2), s86 dst_sel:DWORD dst_unused:UNUSED_PAD src0_sel:WORD_0 src1_sel:DWORD
	v_lshlrev_b64 v[2:3], v31, v[2:3]
	v_sub_u32_e32 v3, 30, v30
	v_cmp_eq_u32_e32 vcc, 0, v23
	v_and_b32_e32 v2, 3, v2
	v_cndmask_b32_e32 v3, v23, v3, vcc
	v_cndmask_b32_e32 v2, v4, v2, vcc
	v_lshl_add_u32 v3, v3, 23, v28
	v_lshl_or_b32 v2, v2, 21, v3
	v_add_u32_e32 v3, 0x38000000, v2
                                        ; implicit-def: $vgpr2
                                        ; implicit-def: $vgpr4
.LBB2_7543:                             ;   in Loop: Header=BB2_7493 Depth=3
	s_andn2_saveexec_b64 s[34:35], s[34:35]
; %bb.7544:                             ;   in Loop: Header=BB2_7493 Depth=3
	v_cmp_lt_i16_e32 vcc, -1, v2
	v_cndmask_b32_e32 v2, v7, v0, vcc
	v_cmp_eq_u32_e32 vcc, 0, v4
	v_cndmask_b32_e32 v3, v35, v2, vcc
; %bb.7545:                             ;   in Loop: Header=BB2_7493 Depth=3
	s_or_b64 exec, exec, s[34:35]
.LBB2_7546:                             ;   in Loop: Header=BB2_7493 Depth=3
	s_or_b64 exec, exec, s[40:41]
.LBB2_7547:                             ;   in Loop: Header=BB2_7493 Depth=3
	s_or_b64 exec, exec, s[28:29]
	v_add_f32_e32 v2, v5, v3
	v_and_b32_e32 v3, 0x7f800000, v2
	v_mov_b32_e32 v4, v29
	v_cmp_ne_u64_e32 vcc, s[76:77], v[3:4]
	v_and_b32_e32 v28, 0x7fffff, v2
                                        ; implicit-def: $vgpr3
	s_and_saveexec_b64 s[28:29], vcc
	s_xor_b64 s[40:41], exec, s[28:29]
	s_cbranch_execz .LBB2_7565
; %bb.7548:                             ;   in Loop: Header=BB2_7493 Depth=3
	v_and_b32_e32 v3, 0x7fffffff, v2
	v_mov_b32_e32 v4, v29
	v_cmp_gt_u64_e32 vcc, s[78:79], v[3:4]
	v_and_b32_sdwa v5, v2, s96 dst_sel:DWORD dst_unused:UNUSED_PAD src0_sel:BYTE_3 src1_sel:DWORD
                                        ; implicit-def: $vgpr3
	s_and_saveexec_b64 s[28:29], vcc
	s_xor_b64 s[34:35], exec, s[28:29]
	s_cbranch_execz .LBB2_7562
; %bb.7549:                             ;   in Loop: Header=BB2_7493 Depth=3
	v_cmp_ne_u32_e32 vcc, 0, v2
	v_mov_b32_e32 v3, 0
	s_and_saveexec_b64 s[36:37], vcc
	s_cbranch_execz .LBB2_7561
; %bb.7550:                             ;   in Loop: Header=BB2_7493 Depth=3
	v_bfe_u32 v23, v2, 23, 8
	v_cmp_gt_u32_e64 s[28:29], s46, v23
	v_sub_u32_e32 v2, 0x71, v23
	v_cmp_eq_u32_e32 vcc, 0, v23
	v_cndmask_b32_e64 v2, 0, v2, s[28:29]
	v_mov_b32_e32 v4, 0x70
	v_cndmask_b32_e32 v30, v2, v4, vcc
	v_add_u32_e32 v4, 21, v30
	v_or_b32_e32 v3, 0x800000, v28
	v_lshlrev_b64 v[31:32], v4, -1
	v_cndmask_b32_e32 v2, v3, v28, vcc
	v_mov_b32_e32 v3, v29
	v_add_u32_e32 v4, 20, v30
	v_bfi_b32 v31, v31, 0, v2
	v_lshlrev_b64 v[37:38], v4, 1
	v_lshrrev_b64 v[2:3], v30, v[2:3]
	v_bfi_b32 v32, v32, 0, 0
	v_cmp_eq_u64_e64 s[28:29], v[31:32], v[37:38]
	v_mov_b32_e32 v4, v3
	v_mov_b32_e32 v3, v2
	s_and_saveexec_b64 s[38:39], s[28:29]
; %bb.7551:                             ;   in Loop: Header=BB2_7493 Depth=3
	v_bfe_u32 v3, v2, 21, 1
	v_add_co_u32_e64 v3, s[28:29], v2, v3
	v_add_co_u32_e64 v3, s[28:29], -1, v3
; %bb.7552:                             ;   in Loop: Header=BB2_7493 Depth=3
	s_or_b64 exec, exec, s[38:39]
	v_add_u32_e32 v4, 0xffffff81, v23
	v_cndmask_b32_e32 v4, v4, v1, vcc
	v_lshrrev_b32_e32 v23, 23, v2
	v_add3_u32 v30, v30, v4, v23
	v_add_u32_e32 v23, 14, v30
	v_and_b32_e32 v3, 0x1fffff, v3
	v_add_u32_e32 v28, v3, v2
	v_cmp_ne_u32_e32 vcc, 0, v23
                                        ; implicit-def: $vgpr2_vgpr3
                                        ; implicit-def: $vgpr4
	s_and_saveexec_b64 s[28:29], vcc
	s_xor_b64 s[28:29], exec, s[28:29]
; %bb.7553:                             ;   in Loop: Header=BB2_7493 Depth=3
	v_cmp_lt_u64_e32 vcc, s[88:89], v[28:29]
	v_add_u32_e32 v2, 15, v30
	v_cndmask_b32_e32 v4, v23, v2, vcc
	v_cndmask_b32_e64 v2, 0, 1, vcc
	v_lshrrev_b64 v[2:3], v2, v[28:29]
; %bb.7554:                             ;   in Loop: Header=BB2_7493 Depth=3
	s_andn2_saveexec_b64 s[28:29], s[28:29]
; %bb.7555:                             ;   in Loop: Header=BB2_7493 Depth=3
	v_mov_b32_e32 v2, v28
	v_mov_b32_e32 v3, v29
	v_bfe_u32 v4, v28, 23, 1
; %bb.7556:                             ;   in Loop: Header=BB2_7493 Depth=3
	s_or_b64 exec, exec, s[28:29]
	v_lshrrev_b64 v[2:3], 21, v[2:3]
	v_cmp_gt_i32_e32 vcc, 32, v4
	v_cndmask_b32_e32 v3, 0, v3, vcc
	v_cndmask_b32_e32 v2, 3, v2, vcc
	v_cmp_ne_u64_e32 vcc, 0, v[2:3]
	v_cmp_ne_u32_e64 s[28:29], 0, v4
	s_or_b64 s[28:29], s[28:29], vcc
                                        ; implicit-def: $vgpr3
	s_and_saveexec_b64 vcc, s[28:29]
	s_xor_b64 s[28:29], exec, vcc
; %bb.7557:                             ;   in Loop: Header=BB2_7493 Depth=3
	v_min_i32_e32 v3, 31, v4
	v_lshl_or_b32 v3, v3, 2, v5
	v_and_or_b32 v3, v2, 3, v3
                                        ; implicit-def: $vgpr5
; %bb.7558:                             ;   in Loop: Header=BB2_7493 Depth=3
	s_andn2_saveexec_b64 s[28:29], s[28:29]
; %bb.7559:                             ;   in Loop: Header=BB2_7493 Depth=3
	v_mov_b32_e32 v3, v5
; %bb.7560:                             ;   in Loop: Header=BB2_7493 Depth=3
	s_or_b64 exec, exec, s[28:29]
.LBB2_7561:                             ;   in Loop: Header=BB2_7493 Depth=3
	s_or_b64 exec, exec, s[36:37]
                                        ; implicit-def: $vgpr5
.LBB2_7562:                             ;   in Loop: Header=BB2_7493 Depth=3
	s_andn2_saveexec_b64 s[28:29], s[34:35]
; %bb.7563:                             ;   in Loop: Header=BB2_7493 Depth=3
	v_or_b32_e32 v3, 0x7b, v5
; %bb.7564:                             ;   in Loop: Header=BB2_7493 Depth=3
	s_or_b64 exec, exec, s[28:29]
                                        ; implicit-def: $vgpr2
.LBB2_7565:                             ;   in Loop: Header=BB2_7493 Depth=3
	s_andn2_saveexec_b64 s[28:29], s[40:41]
	s_cbranch_execz .LBB2_7571
; %bb.7566:                             ;   in Loop: Header=BB2_7493 Depth=3
	v_cmp_ne_u64_e32 vcc, 0, v[28:29]
                                        ; implicit-def: $vgpr3
	s_and_saveexec_b64 s[40:41], vcc
	s_xor_b64 s[40:41], exec, s[40:41]
; %bb.7567:                             ;   in Loop: Header=BB2_7493 Depth=3
	v_or_b32_sdwa v3, v2, s47 dst_sel:DWORD dst_unused:UNUSED_PAD src0_sel:BYTE_3 src1_sel:DWORD
                                        ; implicit-def: $vgpr2
; %bb.7568:                             ;   in Loop: Header=BB2_7493 Depth=3
	s_andn2_saveexec_b64 s[40:41], s[40:41]
; %bb.7569:                             ;   in Loop: Header=BB2_7493 Depth=3
	v_cmp_lt_i32_e32 vcc, -1, v2
	v_cndmask_b32_e32 v3, -4, v22, vcc
; %bb.7570:                             ;   in Loop: Header=BB2_7493 Depth=3
	s_or_b64 exec, exec, s[40:41]
.LBB2_7571:                             ;   in Loop: Header=BB2_7493 Depth=3
	s_or_b64 exec, exec, s[28:29]
	s_mov_b64 s[36:37], 0
	s_mov_b64 s[34:35], -1
.LBB2_7572:                             ;   Parent Loop BB2_47 Depth=1
                                        ;     Parent Loop BB2_4813 Depth=2
                                        ;       Parent Loop BB2_7493 Depth=3
                                        ; =>      This Inner Loop Header: Depth=4
	s_cmp_eq_u32 s36, 1
	s_cselect_b64 vcc, -1, 0
	v_cndmask_b32_e32 v4, v8, v10, vcc
	v_cndmask_b32_e32 v5, v9, v11, vcc
	v_add_co_u32_e64 v2, s[28:29], 64, v4
	s_cmp_eq_u32 s36, 0
	flat_store_byte v[4:5], v3 glc slc
	v_addc_co_u32_e64 v4, s[28:29], 0, v5, s[28:29]
	s_cselect_b64 s[28:29], -1, 0
	s_and_b64 s[40:41], exec, s[34:35]
	s_mov_b64 s[36:37], 1
	s_mov_b64 s[34:35], 0
	v_cndmask_b32_e32 v11, v11, v4, vcc
	v_cndmask_b32_e32 v10, v10, v2, vcc
	v_cndmask_b32_e64 v9, v9, v4, s[28:29]
	v_cndmask_b32_e64 v8, v8, v2, s[28:29]
	s_mov_b64 vcc, s[40:41]
	s_cbranch_vccnz .LBB2_7572
; %bb.7573:                             ;   in Loop: Header=BB2_7493 Depth=3
	buffer_load_dword v2, off, s[0:3], s33 offset:128 ; 4-byte Folded Reload
	buffer_load_dword v3, off, s[0:3], s33 offset:132 ; 4-byte Folded Reload
	;; [unrolled: 1-line block ×3, first 2 shown]
	s_waitcnt vmcnt(0)
	v_add_co_u32_e32 v14, vcc, v14, v2
	v_addc_co_u32_e32 v15, vcc, v15, v3, vcc
	v_add_co_u32_e32 v16, vcc, v16, v2
	v_addc_co_u32_e32 v17, vcc, v17, v3, vcc
	buffer_load_dword v3, off, s[0:3], s33 offset:120 ; 4-byte Folded Reload
	buffer_load_dword v2, off, s[0:3], s33 offset:64 ; 4-byte Folded Reload
	s_waitcnt vmcnt(0)
	v_add_co_u32_e32 v8, vcc, v8, v3
	v_addc_co_u32_e32 v9, vcc, v9, v4, vcc
	v_sub_u32_e32 v18, v18, v2
	v_cmp_gt_i32_e32 vcc, 1, v18
	s_or_b64 s[30:31], vcc, s[30:31]
	v_add_co_u32_e32 v10, vcc, v10, v3
	v_addc_co_u32_e32 v11, vcc, v11, v4, vcc
	s_andn2_b64 exec, exec, s[30:31]
	s_cbranch_execnz .LBB2_7493
.LBB2_7574:                             ;   in Loop: Header=BB2_4813 Depth=2
	s_or_b64 exec, exec, s[42:43]
	buffer_load_dword v15, off, s[0:3], s33 offset:176 ; 4-byte Folded Reload
	s_mov_b64 s[28:29], 0
.LBB2_7575:                             ;   in Loop: Header=BB2_4813 Depth=2
	s_and_b64 vcc, exec, s[28:29]
	s_cbranch_vccz .LBB2_10262
; %bb.7576:                             ;   in Loop: Header=BB2_4813 Depth=2
	s_mov_b64 s[28:29], -1
	s_and_saveexec_b64 s[40:41], s[24:25]
	s_cbranch_execz .LBB2_7578
; %bb.7577:                             ;   in Loop: Header=BB2_4813 Depth=2
	ds_read_b32 v2, v0 offset:720
	s_waitcnt lgkmcnt(0)
	v_and_b32_e32 v2, 15, v2
	v_cmp_eq_u32_e32 vcc, 0, v2
	s_orn2_b64 s[28:29], vcc, exec
.LBB2_7578:                             ;   in Loop: Header=BB2_4813 Depth=2
	s_or_b64 exec, exec, s[40:41]
	s_and_saveexec_b64 s[40:41], s[14:15]
	s_cbranch_execz .LBB2_7580
; %bb.7579:                             ;   in Loop: Header=BB2_4813 Depth=2
	ds_read_b32 v2, v0 offset:784
	s_waitcnt lgkmcnt(0)
	v_and_b32_e32 v2, 15, v2
	v_cmp_eq_u32_e32 vcc, 0, v2
	s_and_b64 s[42:43], s[28:29], vcc
	s_andn2_b64 s[28:29], s[28:29], exec
	s_and_b64 s[42:43], s[42:43], exec
	s_or_b64 s[28:29], s[28:29], s[42:43]
.LBB2_7580:                             ;   in Loop: Header=BB2_4813 Depth=2
	s_or_b64 exec, exec, s[40:41]
	buffer_load_dword v37, off, s[0:3], s33 offset:144 ; 4-byte Folded Reload
	buffer_load_dword v56, off, s[0:3], s33 offset:140 ; 4-byte Folded Reload
	s_xor_b64 s[28:29], s[28:29], -1
	v_cndmask_b32_e64 v2, 0, 1, s[28:29]
	s_mov_b64 s[42:43], -1
	v_mov_b32_e32 v47, 0
	v_cmp_ne_u32_e32 vcc, 0, v2
	s_cbranch_vccz .LBB2_7582
; %bb.7581:                             ;   in Loop: Header=BB2_4813 Depth=2
	s_and_saveexec_b64 s[40:41], s[42:43]
	s_cbranch_execnz .LBB2_9593
	s_branch .LBB2_10261
.LBB2_7582:                             ;   in Loop: Header=BB2_4813 Depth=2
	buffer_load_dword v2, off, s[0:3], s33 offset:168 ; 4-byte Folded Reload
	buffer_load_dword v4, off, s[0:3], s33 offset:144 ; 4-byte Folded Reload
	s_waitcnt vmcnt(0)
	v_sub_u32_e32 v16, v4, v2
	v_ashrrev_i32_e32 v2, 31, v4
	v_lshrrev_b32_e32 v2, 22, v2
	v_add_u32_e32 v2, v4, v2
	v_ashrrev_i32_e32 v3, 10, v2
	v_and_b32_e32 v17, 0xfffffc00, v2
	buffer_load_dword v2, off, s[0:3], s33 offset:172 ; 4-byte Folded Reload
	v_sub_u32_e32 v61, v4, v17
	v_cmp_lt_i32_e64 s[28:29], 15, v61
	s_waitcnt vmcnt(0)
	v_sub_u32_e32 v2, v3, v2
	v_addc_co_u32_e64 v18, vcc, 0, v2, s[28:29]
	v_cmp_lt_i32_e32 vcc, 15, v16
	s_and_saveexec_b64 s[30:31], vcc
	s_cbranch_execz .LBB2_8586
; %bb.7583:                             ;   in Loop: Header=BB2_4813 Depth=2
	s_trap 2
	buffer_load_dword v4, off, s[0:3], s33 offset:168 ; 4-byte Folded Reload
	ds_read_b64 v[2:3], v0
	v_mov_b32_e32 v8, v41
	v_mov_b32_e32 v9, v42
	s_waitcnt lgkmcnt(0)
	v_readfirstlane_b32 s42, v2
	s_bfe_i32 s36, s42, 0x80000
	s_and_b32 s43, s42, 3
	s_bfe_u32 s40, s42, 0x50002
	s_and_b32 s41, s42, 0x7c
	s_cmpk_eq_i32 s41, 0x7c
	s_flbit_i32_b32 s41, s43
	s_waitcnt vmcnt(0)
	v_add_co_u32_e32 v40, vcc, v43, v4
	buffer_store_dword v43, off, s[0:3], s33 offset:196 ; 4-byte Folded Spill
	s_nop 0
	buffer_store_dword v44, off, s[0:3], s33 offset:200 ; 4-byte Folded Spill
	v_addc_co_u32_e32 v41, vcc, 0, v44, vcc
	v_add_co_u32_e32 v42, vcc, v2, v4
	v_addc_co_u32_e32 v43, vcc, 0, v3, vcc
	v_add_co_u32_e32 v44, vcc, v8, v4
	buffer_store_dword v8, off, s[0:3], s33 offset:188 ; 4-byte Folded Spill
	s_nop 0
	buffer_store_dword v9, off, s[0:3], s33 offset:192 ; 4-byte Folded Spill
	v_addc_co_u32_e32 v45, vcc, 0, v9, vcc
	s_cselect_b64 vcc, -1, 0
	s_min_u32 s41, s41, 32
	s_sub_i32 s34, s41, 29
	v_lshlrev_b64 v[2:3], s34, v[2:3]
	s_sub_i32 s41, 30, s41
	s_cmp_eq_u32 s40, 0
	v_and_b32_e32 v2, 3, v2
	s_cselect_b32 s34, s41, s40
	v_mov_b32_e32 v3, s43
	s_cselect_b64 s[40:41], -1, 0
	v_cndmask_b32_e64 v2, v3, v2, s[40:41]
	s_lshl_b32 s40, s42, 24
	s_and_b32 s40, s40, 0x80000000
	s_lshl_b32 s41, s34, 23
	s_add_i32 s41, s41, s40
	v_lshlrev_b32_e32 v2, 21, v2
	s_cmp_eq_u32 s43, 0
	s_sext_i32_i8 s42, s42
	v_or_b32_e32 v2, s41, v2
	s_cselect_b64 s[40:41], -1, 0
	s_cmp_gt_i32 s42, -1
	s_cselect_b64 s[42:43], -1, 0
	v_cndmask_b32_e64 v3, v7, v0, s[42:43]
	v_add_u32_e32 v2, 0x38000000, v2
	v_cndmask_b32_e64 v3, v35, v3, s[40:41]
	v_cndmask_b32_e32 v31, v2, v3, vcc
	s_mov_b64 s[34:35], 0
	s_and_b32 s50, s36, 0xff
	s_branch .LBB2_7586
.LBB2_7584:                             ;   in Loop: Header=BB2_7586 Depth=3
	s_or_b64 exec, exec, s[42:43]
.LBB2_7585:                             ;   in Loop: Header=BB2_7586 Depth=3
	s_or_b64 exec, exec, s[40:41]
	v_lshl_or_b32 v3, v15, 8, v14
	v_lshlrev_b32_e32 v4, 16, v57
	v_lshlrev_b32_e32 v10, 24, v58
	v_or3_b32 v53, v3, v4, v10
	v_lshl_or_b32 v3, v33, 8, v23
	v_lshlrev_b32_e32 v4, 16, v52
	v_lshlrev_b32_e32 v10, 24, v46
	v_or3_b32 v52, v3, v4, v10
	;; [unrolled: 4-line block ×3, first 2 shown]
	v_lshlrev_b32_e32 v2, 24, v2
	v_lshlrev_b32_e32 v3, 16, v9
	v_lshl_or_b32 v4, v8, 8, v5
	v_or3_b32 v55, v4, v3, v2
	buffer_load_dword v2, off, s[0:3], s33 offset:56 ; 4-byte Folded Reload
	v_sub_u32_e32 v18, v18, v36
	global_store_dwordx4 v[44:45], v[52:55], off glc slc
	s_waitcnt vmcnt(1)
	v_add_co_u32_e32 v40, vcc, v40, v2
	v_addc_co_u32_e32 v41, vcc, 0, v41, vcc
	v_add_co_u32_e32 v42, vcc, v42, v2
	v_addc_co_u32_e32 v43, vcc, 0, v43, vcc
	;; [unrolled: 2-line block ×3, first 2 shown]
	v_sub_u32_e32 v16, v16, v2
	v_cmp_gt_i32_e32 vcc, 16, v16
	s_or_b64 s[34:35], vcc, s[34:35]
	s_andn2_b64 exec, exec, s[34:35]
	s_cbranch_execz .LBB2_8585
.LBB2_7586:                             ;   Parent Loop BB2_47 Depth=1
                                        ;     Parent Loop BB2_4813 Depth=2
                                        ; =>    This Inner Loop Header: Depth=3
	s_cmpk_lt_i32 s50, 0x80
	s_cbranch_scc1 .LBB2_7590
; %bb.7587:                             ;   in Loop: Header=BB2_7586 Depth=3
	s_and_b32 s42, 0xffff, s50
	s_mov_b64 s[40:41], -1
	s_cmpk_eq_i32 s42, 0x80
	s_cbranch_scc0 .LBB2_7589
; %bb.7588:                             ;   in Loop: Header=BB2_7586 Depth=3
	s_mov_b64 s[40:41], 0
.LBB2_7589:                             ;   in Loop: Header=BB2_7586 Depth=3
	s_brev_b32 s36, 1
	s_branch .LBB2_7592
.LBB2_7590:                             ;   in Loop: Header=BB2_7586 Depth=3
	s_mov_b64 s[40:41], 0
	s_brev_b32 s36, 1
	s_cbranch_execz .LBB2_7592
; %bb.7591:                             ;   in Loop: Header=BB2_7586 Depth=3
	s_and_b32 s40, 0xffff, s50
	s_cmp_lg_u32 s40, 0
	s_mov_b32 s36, 0
	s_cselect_b64 s[40:41], -1, 0
.LBB2_7592:                             ;   in Loop: Header=BB2_7586 Depth=3
	s_andn2_b64 vcc, exec, s[40:41]
	v_mov_b32_e32 v23, s36
	s_cbranch_vccnz .LBB2_7594
; %bb.7593:                             ;   in Loop: Header=BB2_7586 Depth=3
	v_mov_b32_e32 v23, v31
.LBB2_7594:                             ;   in Loop: Header=BB2_7586 Depth=3
	global_load_dwordx4 v[8:11], v[40:41], off glc slc
	v_mov_b32_e32 v2, 0
	s_waitcnt vmcnt(0)
	v_cmp_ne_u16_sdwa s[42:43], v8, v29 src0_sel:BYTE_0 src1_sel:DWORD
	s_and_saveexec_b64 s[40:41], s[42:43]
	s_cbranch_execz .LBB2_7602
; %bb.7595:                             ;   in Loop: Header=BB2_7586 Depth=3
	v_cmp_ne_u16_sdwa vcc, sext(v8), s97 src0_sel:BYTE_0 src1_sel:DWORD
	v_bfrev_b32_e32 v2, 1
	s_and_saveexec_b64 s[42:43], vcc
	s_cbranch_execz .LBB2_7601
; %bb.7596:                             ;   in Loop: Header=BB2_7586 Depth=3
	v_and_b32_e32 v2, 0x7c, v8
	v_and_b32_e32 v3, 3, v8
	v_cmp_ne_u32_e32 vcc, s85, v2
                                        ; implicit-def: $vgpr2
	s_and_saveexec_b64 s[36:37], vcc
	s_xor_b64 s[36:37], exec, s[36:37]
	s_cbranch_execz .LBB2_7598
; %bb.7597:                             ;   in Loop: Header=BB2_7586 Depth=3
	v_ffbh_u32_e32 v4, v3
	v_min_u32_e32 v14, 32, v4
	v_subrev_u32_e32 v4, 29, v14
	v_lshlrev_b64 v[4:5], v4, v[8:9]
	v_bfe_u32 v2, v8, 2, 5
	v_and_b32_e32 v4, 3, v4
	v_cmp_eq_u32_e32 vcc, 0, v2
	v_sub_u32_e32 v5, 30, v14
	v_cndmask_b32_e32 v3, v3, v4, vcc
	v_lshlrev_b32_e32 v4, 24, v8
	v_cndmask_b32_e32 v2, v2, v5, vcc
	v_and_b32_e32 v4, 0x80000000, v4
	v_lshl_add_u32 v2, v2, 23, v4
	v_lshl_or_b32 v2, v3, 21, v2
	v_add_u32_e32 v2, 0x38000000, v2
                                        ; implicit-def: $vgpr3
.LBB2_7598:                             ;   in Loop: Header=BB2_7586 Depth=3
	s_andn2_saveexec_b64 s[36:37], s[36:37]
; %bb.7599:                             ;   in Loop: Header=BB2_7586 Depth=3
	v_cmp_gt_i16_sdwa vcc, sext(v8), v48 src0_sel:BYTE_0 src1_sel:DWORD
	v_cndmask_b32_e32 v2, v7, v0, vcc
	v_cmp_eq_u32_e32 vcc, 0, v3
	v_cndmask_b32_e32 v2, v35, v2, vcc
; %bb.7600:                             ;   in Loop: Header=BB2_7586 Depth=3
	s_or_b64 exec, exec, s[36:37]
.LBB2_7601:                             ;   in Loop: Header=BB2_7586 Depth=3
	s_or_b64 exec, exec, s[42:43]
.LBB2_7602:                             ;   in Loop: Header=BB2_7586 Depth=3
	s_or_b64 exec, exec, s[40:41]
	v_mul_f32_e32 v2, v23, v2
	v_and_b32_e32 v3, 0x7f800000, v2
	v_mov_b32_e32 v4, v29
	v_cmp_ne_u64_e32 vcc, s[76:77], v[3:4]
	v_and_b32_e32 v28, 0x7fffff, v2
                                        ; implicit-def: $vgpr14
	s_and_saveexec_b64 s[40:41], vcc
	s_xor_b64 s[42:43], exec, s[40:41]
	s_cbranch_execz .LBB2_7616
; %bb.7603:                             ;   in Loop: Header=BB2_7586 Depth=3
	v_and_b32_e32 v3, 0x7fffffff, v2
	v_mov_b32_e32 v4, v29
	v_cmp_gt_u64_e32 vcc, s[78:79], v[3:4]
	v_and_b32_sdwa v5, v2, s96 dst_sel:DWORD dst_unused:UNUSED_PAD src0_sel:BYTE_3 src1_sel:DWORD
                                        ; implicit-def: $vgpr14
	s_and_saveexec_b64 s[40:41], vcc
	s_xor_b64 s[36:37], exec, s[40:41]
	s_cbranch_execz .LBB2_7613
; %bb.7604:                             ;   in Loop: Header=BB2_7586 Depth=3
	v_mov_b32_e32 v14, 0
	v_cmp_ne_u32_e32 vcc, 0, v2
	s_and_saveexec_b64 s[38:39], vcc
	s_cbranch_execz .LBB2_7612
; %bb.7605:                             ;   in Loop: Header=BB2_7586 Depth=3
	v_bfe_u32 v14, v2, 23, 8
	v_cmp_gt_u32_e64 s[40:41], s46, v14
	v_sub_u32_e32 v2, 0x71, v14
	v_cmp_eq_u32_e32 vcc, 0, v14
	v_cndmask_b32_e64 v2, 0, v2, s[40:41]
	v_mov_b32_e32 v4, 0x70
	v_cndmask_b32_e32 v15, v2, v4, vcc
	v_add_u32_e32 v4, 21, v15
	v_or_b32_e32 v3, 0x800000, v28
	v_lshlrev_b64 v[32:33], v4, -1
	v_cndmask_b32_e32 v2, v3, v28, vcc
	v_mov_b32_e32 v3, v29
	v_add_u32_e32 v4, 20, v15
	v_bfi_b32 v32, v32, 0, v2
	v_lshlrev_b64 v[37:38], v4, 1
	v_lshrrev_b64 v[2:3], v15, v[2:3]
	v_bfi_b32 v33, v33, 0, 0
	v_cmp_eq_u64_e64 s[40:41], v[32:33], v[37:38]
	v_mov_b32_e32 v4, v3
	v_mov_b32_e32 v3, v2
	s_and_saveexec_b64 s[48:49], s[40:41]
; %bb.7606:                             ;   in Loop: Header=BB2_7586 Depth=3
	v_bfe_u32 v3, v2, 21, 1
	v_add_co_u32_e64 v3, s[40:41], v2, v3
	v_add_co_u32_e64 v3, s[40:41], -1, v3
; %bb.7607:                             ;   in Loop: Header=BB2_7586 Depth=3
	s_or_b64 exec, exec, s[48:49]
	v_add_u32_e32 v4, 0xffffff81, v14
	v_cndmask_b32_e32 v4, v4, v1, vcc
	v_lshrrev_b32_e32 v14, 23, v2
	v_add3_u32 v15, v15, v4, v14
	v_add_u32_e32 v14, 14, v15
	v_and_b32_e32 v3, 0x1fffff, v3
	v_add_u32_e32 v28, v3, v2
	v_cmp_ne_u32_e32 vcc, 0, v14
                                        ; implicit-def: $vgpr2_vgpr3
                                        ; implicit-def: $vgpr4
	s_and_saveexec_b64 s[40:41], vcc
	s_xor_b64 s[40:41], exec, s[40:41]
; %bb.7608:                             ;   in Loop: Header=BB2_7586 Depth=3
	v_cmp_lt_u64_e32 vcc, s[88:89], v[28:29]
	v_add_u32_e32 v2, 15, v15
	v_cndmask_b32_e32 v4, v14, v2, vcc
	v_cndmask_b32_e64 v2, 0, 1, vcc
	v_lshrrev_b64 v[2:3], v2, v[28:29]
; %bb.7609:                             ;   in Loop: Header=BB2_7586 Depth=3
	s_andn2_saveexec_b64 s[40:41], s[40:41]
; %bb.7610:                             ;   in Loop: Header=BB2_7586 Depth=3
	v_mov_b32_e32 v2, v28
	v_mov_b32_e32 v3, v29
	v_bfe_u32 v4, v28, 23, 1
; %bb.7611:                             ;   in Loop: Header=BB2_7586 Depth=3
	s_or_b64 exec, exec, s[40:41]
	v_lshrrev_b64 v[2:3], 21, v[2:3]
	v_cmp_gt_i32_e32 vcc, 32, v4
	v_cndmask_b32_e32 v3, 0, v3, vcc
	v_cndmask_b32_e32 v2, 3, v2, vcc
	v_cmp_eq_u64_e64 s[40:41], 0, v[2:3]
	v_min_i32_e32 v3, 31, v4
	v_lshlrev_b32_e32 v3, 2, v3
	v_cmp_eq_u32_e32 vcc, 0, v4
	v_and_b32_e32 v3, 0xfc, v3
	v_and_or_b32 v2, v2, 3, v3
	s_and_b64 s[40:41], vcc, s[40:41]
	v_cndmask_b32_e64 v2, v2, 0, s[40:41]
	v_or_b32_e32 v14, v2, v5
.LBB2_7612:                             ;   in Loop: Header=BB2_7586 Depth=3
	s_or_b64 exec, exec, s[38:39]
                                        ; implicit-def: $vgpr5
.LBB2_7613:                             ;   in Loop: Header=BB2_7586 Depth=3
	s_andn2_saveexec_b64 s[40:41], s[36:37]
; %bb.7614:                             ;   in Loop: Header=BB2_7586 Depth=3
	v_or_b32_e32 v14, 0x7b, v5
; %bb.7615:                             ;   in Loop: Header=BB2_7586 Depth=3
	s_or_b64 exec, exec, s[40:41]
                                        ; implicit-def: $vgpr2
.LBB2_7616:                             ;   in Loop: Header=BB2_7586 Depth=3
	s_andn2_saveexec_b64 s[40:41], s[42:43]
	s_cbranch_execz .LBB2_7622
; %bb.7617:                             ;   in Loop: Header=BB2_7586 Depth=3
	v_cmp_ne_u64_e32 vcc, 0, v[28:29]
                                        ; implicit-def: $vgpr14
	s_and_saveexec_b64 s[42:43], vcc
	s_xor_b64 s[42:43], exec, s[42:43]
; %bb.7618:                             ;   in Loop: Header=BB2_7586 Depth=3
	v_or_b32_sdwa v14, v2, s47 dst_sel:DWORD dst_unused:UNUSED_PAD src0_sel:BYTE_3 src1_sel:DWORD
                                        ; implicit-def: $vgpr2
; %bb.7619:                             ;   in Loop: Header=BB2_7586 Depth=3
	s_andn2_saveexec_b64 s[42:43], s[42:43]
; %bb.7620:                             ;   in Loop: Header=BB2_7586 Depth=3
	v_cmp_lt_i32_e32 vcc, -1, v2
	v_cndmask_b32_e32 v14, v6, v22, vcc
; %bb.7621:                             ;   in Loop: Header=BB2_7586 Depth=3
	s_or_b64 exec, exec, s[42:43]
.LBB2_7622:                             ;   in Loop: Header=BB2_7586 Depth=3
	s_or_b64 exec, exec, s[40:41]
	v_lshrrev_b16_e32 v2, 8, v8
	v_cmp_ne_u16_e32 vcc, 0, v2
	v_mov_b32_e32 v3, 0
	s_and_saveexec_b64 s[40:41], vcc
	s_cbranch_execz .LBB2_7630
; %bb.7623:                             ;   in Loop: Header=BB2_7586 Depth=3
	v_cmp_ne_u16_e32 vcc, s96, v2
	v_bfrev_b32_e32 v3, 1
	s_and_saveexec_b64 s[42:43], vcc
	s_cbranch_execz .LBB2_7629
; %bb.7624:                             ;   in Loop: Header=BB2_7586 Depth=3
	v_and_b32_e32 v3, 0x7c, v2
	v_and_b32_e32 v4, 3, v2
	v_cmp_ne_u32_e32 vcc, s85, v3
                                        ; implicit-def: $vgpr3
	s_and_saveexec_b64 s[36:37], vcc
	s_xor_b64 s[36:37], exec, s[36:37]
	s_cbranch_execz .LBB2_7626
; %bb.7625:                             ;   in Loop: Header=BB2_7586 Depth=3
	v_ffbh_u32_e32 v15, v4
	v_min_u32_e32 v15, 32, v15
	v_mov_b32_e32 v3, v29
	v_subrev_u32_e32 v28, 29, v15
	v_bfe_u32 v5, v2, 2, 5
	v_lshlrev_b64 v[2:3], v28, v[2:3]
	v_cmp_eq_u32_e32 vcc, 0, v5
	v_and_b32_e32 v2, 3, v2
	v_sub_u32_e32 v3, 30, v15
	v_cndmask_b32_e32 v2, v4, v2, vcc
	v_lshlrev_b32_e32 v4, 16, v8
	v_cndmask_b32_e32 v3, v5, v3, vcc
	v_and_b32_e32 v4, 0x80000000, v4
	v_lshl_add_u32 v3, v3, 23, v4
	v_lshl_or_b32 v2, v2, 21, v3
	v_add_u32_e32 v3, 0x38000000, v2
                                        ; implicit-def: $vgpr4
.LBB2_7626:                             ;   in Loop: Header=BB2_7586 Depth=3
	s_andn2_saveexec_b64 s[36:37], s[36:37]
; %bb.7627:                             ;   in Loop: Header=BB2_7586 Depth=3
	v_cmp_lt_i16_e32 vcc, -1, v8
	v_cndmask_b32_e32 v2, v7, v0, vcc
	v_cmp_eq_u32_e32 vcc, 0, v4
	v_cndmask_b32_e32 v3, v35, v2, vcc
; %bb.7628:                             ;   in Loop: Header=BB2_7586 Depth=3
	s_or_b64 exec, exec, s[36:37]
.LBB2_7629:                             ;   in Loop: Header=BB2_7586 Depth=3
	s_or_b64 exec, exec, s[42:43]
.LBB2_7630:                             ;   in Loop: Header=BB2_7586 Depth=3
	s_or_b64 exec, exec, s[40:41]
	v_mul_f32_e32 v2, v23, v3
	v_and_b32_e32 v3, 0x7f800000, v2
	v_mov_b32_e32 v4, v29
	v_cmp_ne_u64_e32 vcc, s[76:77], v[3:4]
	v_and_b32_e32 v28, 0x7fffff, v2
                                        ; implicit-def: $vgpr33
	s_and_saveexec_b64 s[40:41], vcc
	s_xor_b64 s[42:43], exec, s[40:41]
	s_cbranch_execz .LBB2_7644
; %bb.7631:                             ;   in Loop: Header=BB2_7586 Depth=3
	v_and_b32_e32 v3, 0x7fffffff, v2
	v_mov_b32_e32 v4, v29
	v_cmp_gt_u64_e32 vcc, s[78:79], v[3:4]
	v_and_b32_sdwa v5, v2, s96 dst_sel:DWORD dst_unused:UNUSED_PAD src0_sel:BYTE_3 src1_sel:DWORD
                                        ; implicit-def: $vgpr33
	s_and_saveexec_b64 s[40:41], vcc
	s_xor_b64 s[36:37], exec, s[40:41]
	s_cbranch_execz .LBB2_7641
; %bb.7632:                             ;   in Loop: Header=BB2_7586 Depth=3
	v_mov_b32_e32 v33, 0
	v_cmp_ne_u32_e32 vcc, 0, v2
	s_and_saveexec_b64 s[38:39], vcc
	s_cbranch_execz .LBB2_7640
; %bb.7633:                             ;   in Loop: Header=BB2_7586 Depth=3
	v_bfe_u32 v15, v2, 23, 8
	v_cmp_gt_u32_e64 s[40:41], s46, v15
	v_sub_u32_e32 v2, 0x71, v15
	v_cmp_eq_u32_e32 vcc, 0, v15
	v_cndmask_b32_e64 v2, 0, v2, s[40:41]
	v_mov_b32_e32 v4, 0x70
	v_cndmask_b32_e32 v32, v2, v4, vcc
	v_add_u32_e32 v4, 21, v32
	v_or_b32_e32 v3, 0x800000, v28
	v_lshlrev_b64 v[37:38], v4, -1
	v_cndmask_b32_e32 v2, v3, v28, vcc
	v_mov_b32_e32 v3, v29
	v_add_u32_e32 v4, 20, v32
	v_bfi_b32 v37, v37, 0, v2
	v_lshlrev_b64 v[51:52], v4, 1
	v_lshrrev_b64 v[2:3], v32, v[2:3]
	v_bfi_b32 v38, v38, 0, 0
	v_cmp_eq_u64_e64 s[40:41], v[37:38], v[51:52]
	v_mov_b32_e32 v4, v3
	v_mov_b32_e32 v3, v2
	s_and_saveexec_b64 s[48:49], s[40:41]
; %bb.7634:                             ;   in Loop: Header=BB2_7586 Depth=3
	v_bfe_u32 v3, v2, 21, 1
	v_add_co_u32_e64 v3, s[40:41], v2, v3
	v_add_co_u32_e64 v3, s[40:41], -1, v3
; %bb.7635:                             ;   in Loop: Header=BB2_7586 Depth=3
	s_or_b64 exec, exec, s[48:49]
	v_add_u32_e32 v4, 0xffffff81, v15
	v_cndmask_b32_e32 v4, v4, v1, vcc
	v_lshrrev_b32_e32 v15, 23, v2
	v_add3_u32 v32, v32, v4, v15
	v_add_u32_e32 v15, 14, v32
	v_and_b32_e32 v3, 0x1fffff, v3
	v_add_u32_e32 v28, v3, v2
	v_cmp_ne_u32_e32 vcc, 0, v15
                                        ; implicit-def: $vgpr2_vgpr3
                                        ; implicit-def: $vgpr4
	s_and_saveexec_b64 s[40:41], vcc
	s_xor_b64 s[40:41], exec, s[40:41]
; %bb.7636:                             ;   in Loop: Header=BB2_7586 Depth=3
	v_cmp_lt_u64_e32 vcc, s[88:89], v[28:29]
	v_add_u32_e32 v2, 15, v32
	v_cndmask_b32_e32 v4, v15, v2, vcc
	v_cndmask_b32_e64 v2, 0, 1, vcc
	v_lshrrev_b64 v[2:3], v2, v[28:29]
; %bb.7637:                             ;   in Loop: Header=BB2_7586 Depth=3
	s_andn2_saveexec_b64 s[40:41], s[40:41]
; %bb.7638:                             ;   in Loop: Header=BB2_7586 Depth=3
	v_mov_b32_e32 v2, v28
	v_mov_b32_e32 v3, v29
	v_bfe_u32 v4, v28, 23, 1
; %bb.7639:                             ;   in Loop: Header=BB2_7586 Depth=3
	s_or_b64 exec, exec, s[40:41]
	v_lshrrev_b64 v[2:3], 21, v[2:3]
	v_cmp_gt_i32_e32 vcc, 32, v4
	v_cndmask_b32_e32 v3, 0, v3, vcc
	v_cndmask_b32_e32 v2, 3, v2, vcc
	v_cmp_eq_u64_e64 s[40:41], 0, v[2:3]
	v_min_i32_e32 v3, 31, v4
	v_lshlrev_b32_e32 v3, 2, v3
	v_cmp_eq_u32_e32 vcc, 0, v4
	v_and_b32_e32 v3, 0xfc, v3
	v_and_or_b32 v2, v2, 3, v3
	s_and_b64 s[40:41], vcc, s[40:41]
	v_cndmask_b32_e64 v2, v2, 0, s[40:41]
	v_or_b32_e32 v33, v2, v5
.LBB2_7640:                             ;   in Loop: Header=BB2_7586 Depth=3
	s_or_b64 exec, exec, s[38:39]
                                        ; implicit-def: $vgpr5
.LBB2_7641:                             ;   in Loop: Header=BB2_7586 Depth=3
	s_andn2_saveexec_b64 s[40:41], s[36:37]
; %bb.7642:                             ;   in Loop: Header=BB2_7586 Depth=3
	v_or_b32_e32 v33, 0x7b, v5
; %bb.7643:                             ;   in Loop: Header=BB2_7586 Depth=3
	s_or_b64 exec, exec, s[40:41]
                                        ; implicit-def: $vgpr2
.LBB2_7644:                             ;   in Loop: Header=BB2_7586 Depth=3
	s_andn2_saveexec_b64 s[40:41], s[42:43]
	s_cbranch_execz .LBB2_7650
; %bb.7645:                             ;   in Loop: Header=BB2_7586 Depth=3
	v_cmp_ne_u64_e32 vcc, 0, v[28:29]
                                        ; implicit-def: $vgpr33
	s_and_saveexec_b64 s[42:43], vcc
	s_xor_b64 s[42:43], exec, s[42:43]
; %bb.7646:                             ;   in Loop: Header=BB2_7586 Depth=3
	v_or_b32_sdwa v33, v2, s47 dst_sel:DWORD dst_unused:UNUSED_PAD src0_sel:BYTE_3 src1_sel:DWORD
                                        ; implicit-def: $vgpr2
; %bb.7647:                             ;   in Loop: Header=BB2_7586 Depth=3
	s_andn2_saveexec_b64 s[42:43], s[42:43]
; %bb.7648:                             ;   in Loop: Header=BB2_7586 Depth=3
	v_cmp_lt_i32_e32 vcc, -1, v2
	v_cndmask_b32_e32 v33, v6, v22, vcc
; %bb.7649:                             ;   in Loop: Header=BB2_7586 Depth=3
	s_or_b64 exec, exec, s[42:43]
.LBB2_7650:                             ;   in Loop: Header=BB2_7586 Depth=3
	s_or_b64 exec, exec, s[40:41]
	v_lshrrev_b32_e32 v2, 16, v8
	v_cmp_ne_u16_sdwa s[42:43], v2, v29 src0_sel:BYTE_0 src1_sel:DWORD
	v_mov_b32_e32 v3, 0
	s_and_saveexec_b64 s[40:41], s[42:43]
	s_cbranch_execz .LBB2_7658
; %bb.7651:                             ;   in Loop: Header=BB2_7586 Depth=3
	v_cmp_ne_u16_sdwa vcc, v2, s96 src0_sel:BYTE_0 src1_sel:DWORD
	v_bfrev_b32_e32 v3, 1
	s_and_saveexec_b64 s[42:43], vcc
	s_cbranch_execz .LBB2_7657
; %bb.7652:                             ;   in Loop: Header=BB2_7586 Depth=3
	v_and_b32_e32 v3, 0x7c0000, v8
	v_bfe_u32 v4, v8, 16, 2
	v_cmp_ne_u32_e32 vcc, s44, v3
                                        ; implicit-def: $vgpr3
	s_and_saveexec_b64 s[36:37], vcc
	s_xor_b64 s[36:37], exec, s[36:37]
	s_cbranch_execz .LBB2_7654
; %bb.7653:                             ;   in Loop: Header=BB2_7586 Depth=3
	v_ffbh_u32_e32 v3, v4
	v_min_u32_e32 v15, 32, v3
	v_subrev_u32_e32 v3, 29, v15
	v_lshlrev_b64 v[2:3], v3, v[2:3]
	v_bfe_u32 v5, v8, 18, 5
	v_and_b32_e32 v2, 3, v2
	v_cmp_eq_u32_e32 vcc, 0, v5
	v_sub_u32_e32 v3, 30, v15
	v_cndmask_b32_e32 v2, v4, v2, vcc
	v_lshlrev_b32_e32 v4, 8, v8
	v_cndmask_b32_e32 v3, v5, v3, vcc
	v_and_b32_e32 v4, 0x80000000, v4
	v_lshl_add_u32 v3, v3, 23, v4
	v_lshl_or_b32 v2, v2, 21, v3
	v_add_u32_e32 v3, 0x38000000, v2
                                        ; implicit-def: $vgpr4
                                        ; implicit-def: $vgpr2
.LBB2_7654:                             ;   in Loop: Header=BB2_7586 Depth=3
	s_andn2_saveexec_b64 s[36:37], s[36:37]
; %bb.7655:                             ;   in Loop: Header=BB2_7586 Depth=3
	v_cmp_gt_i16_sdwa vcc, sext(v2), v48 src0_sel:BYTE_0 src1_sel:DWORD
	v_cndmask_b32_e32 v2, v7, v0, vcc
	v_cmp_eq_u32_e32 vcc, 0, v4
	v_cndmask_b32_e32 v3, v35, v2, vcc
; %bb.7656:                             ;   in Loop: Header=BB2_7586 Depth=3
	s_or_b64 exec, exec, s[36:37]
.LBB2_7657:                             ;   in Loop: Header=BB2_7586 Depth=3
	s_or_b64 exec, exec, s[42:43]
.LBB2_7658:                             ;   in Loop: Header=BB2_7586 Depth=3
	s_or_b64 exec, exec, s[40:41]
	v_mul_f32_e32 v2, v23, v3
	v_and_b32_e32 v3, 0x7f800000, v2
	v_mov_b32_e32 v4, v29
	v_cmp_ne_u64_e32 vcc, s[76:77], v[3:4]
	v_and_b32_e32 v28, 0x7fffff, v2
                                        ; implicit-def: $vgpr52
	s_and_saveexec_b64 s[40:41], vcc
	s_xor_b64 s[42:43], exec, s[40:41]
	s_cbranch_execz .LBB2_7672
; %bb.7659:                             ;   in Loop: Header=BB2_7586 Depth=3
	v_and_b32_e32 v3, 0x7fffffff, v2
	v_mov_b32_e32 v4, v29
	v_cmp_gt_u64_e32 vcc, s[78:79], v[3:4]
	v_and_b32_sdwa v5, v2, s96 dst_sel:DWORD dst_unused:UNUSED_PAD src0_sel:BYTE_3 src1_sel:DWORD
                                        ; implicit-def: $vgpr52
	s_and_saveexec_b64 s[40:41], vcc
	s_xor_b64 s[36:37], exec, s[40:41]
	s_cbranch_execz .LBB2_7669
; %bb.7660:                             ;   in Loop: Header=BB2_7586 Depth=3
	v_mov_b32_e32 v52, 0
	v_cmp_ne_u32_e32 vcc, 0, v2
	s_and_saveexec_b64 s[38:39], vcc
	s_cbranch_execz .LBB2_7668
; %bb.7661:                             ;   in Loop: Header=BB2_7586 Depth=3
	v_bfe_u32 v15, v2, 23, 8
	v_cmp_gt_u32_e64 s[40:41], s46, v15
	v_sub_u32_e32 v2, 0x71, v15
	v_cmp_eq_u32_e32 vcc, 0, v15
	v_cndmask_b32_e64 v2, 0, v2, s[40:41]
	v_mov_b32_e32 v4, 0x70
	v_cndmask_b32_e32 v32, v2, v4, vcc
	v_add_u32_e32 v4, 21, v32
	v_or_b32_e32 v3, 0x800000, v28
	v_lshlrev_b64 v[37:38], v4, -1
	v_cndmask_b32_e32 v2, v3, v28, vcc
	v_mov_b32_e32 v3, v29
	v_add_u32_e32 v4, 20, v32
	v_bfi_b32 v37, v37, 0, v2
	v_lshlrev_b64 v[51:52], v4, 1
	v_lshrrev_b64 v[2:3], v32, v[2:3]
	v_bfi_b32 v38, v38, 0, 0
	v_cmp_eq_u64_e64 s[40:41], v[37:38], v[51:52]
	v_mov_b32_e32 v4, v3
	v_mov_b32_e32 v3, v2
	s_and_saveexec_b64 s[48:49], s[40:41]
; %bb.7662:                             ;   in Loop: Header=BB2_7586 Depth=3
	v_bfe_u32 v3, v2, 21, 1
	v_add_co_u32_e64 v3, s[40:41], v2, v3
	v_add_co_u32_e64 v3, s[40:41], -1, v3
; %bb.7663:                             ;   in Loop: Header=BB2_7586 Depth=3
	s_or_b64 exec, exec, s[48:49]
	v_add_u32_e32 v4, 0xffffff81, v15
	v_cndmask_b32_e32 v4, v4, v1, vcc
	v_lshrrev_b32_e32 v15, 23, v2
	v_add3_u32 v32, v32, v4, v15
	v_add_u32_e32 v15, 14, v32
	v_and_b32_e32 v3, 0x1fffff, v3
	v_add_u32_e32 v28, v3, v2
	v_cmp_ne_u32_e32 vcc, 0, v15
                                        ; implicit-def: $vgpr2_vgpr3
                                        ; implicit-def: $vgpr4
	s_and_saveexec_b64 s[40:41], vcc
	s_xor_b64 s[40:41], exec, s[40:41]
; %bb.7664:                             ;   in Loop: Header=BB2_7586 Depth=3
	v_cmp_lt_u64_e32 vcc, s[88:89], v[28:29]
	v_add_u32_e32 v2, 15, v32
	v_cndmask_b32_e32 v4, v15, v2, vcc
	v_cndmask_b32_e64 v2, 0, 1, vcc
	v_lshrrev_b64 v[2:3], v2, v[28:29]
; %bb.7665:                             ;   in Loop: Header=BB2_7586 Depth=3
	s_andn2_saveexec_b64 s[40:41], s[40:41]
; %bb.7666:                             ;   in Loop: Header=BB2_7586 Depth=3
	v_mov_b32_e32 v2, v28
	v_mov_b32_e32 v3, v29
	v_bfe_u32 v4, v28, 23, 1
; %bb.7667:                             ;   in Loop: Header=BB2_7586 Depth=3
	s_or_b64 exec, exec, s[40:41]
	v_lshrrev_b64 v[2:3], 21, v[2:3]
	v_cmp_gt_i32_e32 vcc, 32, v4
	v_cndmask_b32_e32 v3, 0, v3, vcc
	v_cndmask_b32_e32 v2, 3, v2, vcc
	v_cmp_eq_u64_e64 s[40:41], 0, v[2:3]
	v_min_i32_e32 v3, 31, v4
	v_lshlrev_b32_e32 v3, 2, v3
	v_cmp_eq_u32_e32 vcc, 0, v4
	v_and_b32_e32 v3, 0xfc, v3
	v_and_or_b32 v2, v2, 3, v3
	s_and_b64 s[40:41], vcc, s[40:41]
	v_cndmask_b32_e64 v2, v2, 0, s[40:41]
	v_or_b32_e32 v52, v2, v5
.LBB2_7668:                             ;   in Loop: Header=BB2_7586 Depth=3
	s_or_b64 exec, exec, s[38:39]
                                        ; implicit-def: $vgpr5
.LBB2_7669:                             ;   in Loop: Header=BB2_7586 Depth=3
	s_andn2_saveexec_b64 s[40:41], s[36:37]
; %bb.7670:                             ;   in Loop: Header=BB2_7586 Depth=3
	v_or_b32_e32 v52, 0x7b, v5
; %bb.7671:                             ;   in Loop: Header=BB2_7586 Depth=3
	s_or_b64 exec, exec, s[40:41]
                                        ; implicit-def: $vgpr2
.LBB2_7672:                             ;   in Loop: Header=BB2_7586 Depth=3
	s_andn2_saveexec_b64 s[40:41], s[42:43]
	s_cbranch_execz .LBB2_7678
; %bb.7673:                             ;   in Loop: Header=BB2_7586 Depth=3
	v_cmp_ne_u64_e32 vcc, 0, v[28:29]
                                        ; implicit-def: $vgpr52
	s_and_saveexec_b64 s[42:43], vcc
	s_xor_b64 s[42:43], exec, s[42:43]
; %bb.7674:                             ;   in Loop: Header=BB2_7586 Depth=3
	v_or_b32_sdwa v52, v2, s47 dst_sel:DWORD dst_unused:UNUSED_PAD src0_sel:BYTE_3 src1_sel:DWORD
                                        ; implicit-def: $vgpr2
; %bb.7675:                             ;   in Loop: Header=BB2_7586 Depth=3
	s_andn2_saveexec_b64 s[42:43], s[42:43]
; %bb.7676:                             ;   in Loop: Header=BB2_7586 Depth=3
	v_cmp_lt_i32_e32 vcc, -1, v2
	v_cndmask_b32_e32 v52, v6, v22, vcc
; %bb.7677:                             ;   in Loop: Header=BB2_7586 Depth=3
	s_or_b64 exec, exec, s[42:43]
.LBB2_7678:                             ;   in Loop: Header=BB2_7586 Depth=3
	s_or_b64 exec, exec, s[40:41]
	v_cmp_lt_u32_e32 vcc, s57, v8
	v_mov_b32_e32 v3, 0
	s_and_saveexec_b64 s[40:41], vcc
	s_cbranch_execz .LBB2_7686
; %bb.7679:                             ;   in Loop: Header=BB2_7586 Depth=3
	v_lshrrev_b32_e32 v2, 24, v8
	v_cmp_ne_u32_e32 vcc, s96, v2
	v_bfrev_b32_e32 v3, 1
	s_and_saveexec_b64 s[42:43], vcc
	s_cbranch_execz .LBB2_7685
; %bb.7680:                             ;   in Loop: Header=BB2_7586 Depth=3
	v_and_b32_e32 v3, 0x7c000000, v8
	v_bfe_u32 v4, v8, 24, 2
	v_cmp_ne_u32_e32 vcc, s45, v3
                                        ; implicit-def: $vgpr3
	s_and_saveexec_b64 s[36:37], vcc
	s_xor_b64 s[36:37], exec, s[36:37]
	s_cbranch_execz .LBB2_7682
; %bb.7681:                             ;   in Loop: Header=BB2_7586 Depth=3
	v_ffbh_u32_e32 v3, v4
	v_min_u32_e32 v15, 32, v3
	v_subrev_u32_e32 v3, 29, v15
	v_lshlrev_b64 v[2:3], v3, v[2:3]
	v_bfe_u32 v5, v8, 26, 5
	v_sub_u32_e32 v3, 30, v15
	v_and_b32_e32 v2, 3, v2
	v_cmp_eq_u32_e32 vcc, 0, v5
	v_cndmask_b32_e32 v3, v5, v3, vcc
	v_cndmask_b32_e32 v2, v4, v2, vcc
	v_and_b32_e32 v4, 0x80000000, v8
	v_lshl_add_u32 v3, v3, 23, v4
	v_lshl_or_b32 v2, v2, 21, v3
	v_add_u32_e32 v3, 0x38000000, v2
                                        ; implicit-def: $vgpr4
.LBB2_7682:                             ;   in Loop: Header=BB2_7586 Depth=3
	s_andn2_saveexec_b64 s[36:37], s[36:37]
; %bb.7683:                             ;   in Loop: Header=BB2_7586 Depth=3
	v_cmp_lt_i32_e32 vcc, -1, v8
	v_cndmask_b32_e32 v2, v7, v0, vcc
	v_cmp_eq_u32_e32 vcc, 0, v4
	v_cndmask_b32_e32 v3, v35, v2, vcc
; %bb.7684:                             ;   in Loop: Header=BB2_7586 Depth=3
	s_or_b64 exec, exec, s[36:37]
.LBB2_7685:                             ;   in Loop: Header=BB2_7586 Depth=3
	s_or_b64 exec, exec, s[42:43]
.LBB2_7686:                             ;   in Loop: Header=BB2_7586 Depth=3
	s_or_b64 exec, exec, s[40:41]
	v_mul_f32_e32 v2, v23, v3
	v_and_b32_e32 v3, 0x7f800000, v2
	v_mov_b32_e32 v4, v29
	v_cmp_ne_u64_e32 vcc, s[76:77], v[3:4]
	v_and_b32_e32 v28, 0x7fffff, v2
                                        ; implicit-def: $vgpr46
	s_and_saveexec_b64 s[40:41], vcc
	s_xor_b64 s[42:43], exec, s[40:41]
	s_cbranch_execz .LBB2_7700
; %bb.7687:                             ;   in Loop: Header=BB2_7586 Depth=3
	v_and_b32_e32 v3, 0x7fffffff, v2
	v_mov_b32_e32 v4, v29
	v_cmp_gt_u64_e32 vcc, s[78:79], v[3:4]
	v_and_b32_sdwa v5, v2, s96 dst_sel:DWORD dst_unused:UNUSED_PAD src0_sel:BYTE_3 src1_sel:DWORD
                                        ; implicit-def: $vgpr46
	s_and_saveexec_b64 s[40:41], vcc
	s_xor_b64 s[36:37], exec, s[40:41]
	s_cbranch_execz .LBB2_7697
; %bb.7688:                             ;   in Loop: Header=BB2_7586 Depth=3
	v_mov_b32_e32 v46, 0
	v_cmp_ne_u32_e32 vcc, 0, v2
	s_and_saveexec_b64 s[38:39], vcc
	s_cbranch_execz .LBB2_7696
; %bb.7689:                             ;   in Loop: Header=BB2_7586 Depth=3
	v_bfe_u32 v15, v2, 23, 8
	v_cmp_gt_u32_e64 s[40:41], s46, v15
	v_sub_u32_e32 v2, 0x71, v15
	v_cmp_eq_u32_e32 vcc, 0, v15
	v_cndmask_b32_e64 v2, 0, v2, s[40:41]
	v_mov_b32_e32 v4, 0x70
	v_cndmask_b32_e32 v32, v2, v4, vcc
	v_add_u32_e32 v4, 21, v32
	v_or_b32_e32 v3, 0x800000, v28
	v_lshlrev_b64 v[37:38], v4, -1
	v_cndmask_b32_e32 v2, v3, v28, vcc
	v_mov_b32_e32 v3, v29
	v_add_u32_e32 v4, 20, v32
	v_bfi_b32 v37, v37, 0, v2
	v_lshlrev_b64 v[53:54], v4, 1
	v_lshrrev_b64 v[2:3], v32, v[2:3]
	v_bfi_b32 v38, v38, 0, 0
	v_cmp_eq_u64_e64 s[40:41], v[37:38], v[53:54]
	v_mov_b32_e32 v4, v3
	v_mov_b32_e32 v3, v2
	s_and_saveexec_b64 s[48:49], s[40:41]
; %bb.7690:                             ;   in Loop: Header=BB2_7586 Depth=3
	v_bfe_u32 v3, v2, 21, 1
	v_add_co_u32_e64 v3, s[40:41], v2, v3
	v_add_co_u32_e64 v3, s[40:41], -1, v3
; %bb.7691:                             ;   in Loop: Header=BB2_7586 Depth=3
	s_or_b64 exec, exec, s[48:49]
	v_add_u32_e32 v4, 0xffffff81, v15
	v_cndmask_b32_e32 v4, v4, v1, vcc
	v_lshrrev_b32_e32 v15, 23, v2
	v_add3_u32 v32, v32, v4, v15
	v_add_u32_e32 v15, 14, v32
	v_and_b32_e32 v3, 0x1fffff, v3
	v_add_u32_e32 v28, v3, v2
	v_cmp_ne_u32_e32 vcc, 0, v15
                                        ; implicit-def: $vgpr2_vgpr3
                                        ; implicit-def: $vgpr4
	s_and_saveexec_b64 s[40:41], vcc
	s_xor_b64 s[40:41], exec, s[40:41]
; %bb.7692:                             ;   in Loop: Header=BB2_7586 Depth=3
	v_cmp_lt_u64_e32 vcc, s[88:89], v[28:29]
	v_add_u32_e32 v2, 15, v32
	v_cndmask_b32_e32 v4, v15, v2, vcc
	v_cndmask_b32_e64 v2, 0, 1, vcc
	v_lshrrev_b64 v[2:3], v2, v[28:29]
; %bb.7693:                             ;   in Loop: Header=BB2_7586 Depth=3
	s_andn2_saveexec_b64 s[40:41], s[40:41]
; %bb.7694:                             ;   in Loop: Header=BB2_7586 Depth=3
	v_mov_b32_e32 v2, v28
	v_mov_b32_e32 v3, v29
	v_bfe_u32 v4, v28, 23, 1
; %bb.7695:                             ;   in Loop: Header=BB2_7586 Depth=3
	s_or_b64 exec, exec, s[40:41]
	v_lshrrev_b64 v[2:3], 21, v[2:3]
	v_cmp_gt_i32_e32 vcc, 32, v4
	v_cndmask_b32_e32 v3, 0, v3, vcc
	v_cndmask_b32_e32 v2, 3, v2, vcc
	v_cmp_eq_u64_e64 s[40:41], 0, v[2:3]
	v_min_i32_e32 v3, 31, v4
	v_lshlrev_b32_e32 v3, 2, v3
	v_cmp_eq_u32_e32 vcc, 0, v4
	v_and_b32_e32 v3, 0xfc, v3
	v_and_or_b32 v2, v2, 3, v3
	s_and_b64 s[40:41], vcc, s[40:41]
	v_cndmask_b32_e64 v2, v2, 0, s[40:41]
	v_or_b32_e32 v46, v2, v5
.LBB2_7696:                             ;   in Loop: Header=BB2_7586 Depth=3
	s_or_b64 exec, exec, s[38:39]
                                        ; implicit-def: $vgpr5
.LBB2_7697:                             ;   in Loop: Header=BB2_7586 Depth=3
	s_andn2_saveexec_b64 s[40:41], s[36:37]
; %bb.7698:                             ;   in Loop: Header=BB2_7586 Depth=3
	v_or_b32_e32 v46, 0x7b, v5
; %bb.7699:                             ;   in Loop: Header=BB2_7586 Depth=3
	s_or_b64 exec, exec, s[40:41]
                                        ; implicit-def: $vgpr2
.LBB2_7700:                             ;   in Loop: Header=BB2_7586 Depth=3
	s_andn2_saveexec_b64 s[40:41], s[42:43]
	s_cbranch_execz .LBB2_7706
; %bb.7701:                             ;   in Loop: Header=BB2_7586 Depth=3
	v_cmp_ne_u64_e32 vcc, 0, v[28:29]
                                        ; implicit-def: $vgpr46
	s_and_saveexec_b64 s[42:43], vcc
	s_xor_b64 s[42:43], exec, s[42:43]
; %bb.7702:                             ;   in Loop: Header=BB2_7586 Depth=3
	v_or_b32_sdwa v46, v2, s47 dst_sel:DWORD dst_unused:UNUSED_PAD src0_sel:BYTE_3 src1_sel:DWORD
                                        ; implicit-def: $vgpr2
; %bb.7703:                             ;   in Loop: Header=BB2_7586 Depth=3
	s_andn2_saveexec_b64 s[42:43], s[42:43]
; %bb.7704:                             ;   in Loop: Header=BB2_7586 Depth=3
	v_cmp_lt_i32_e32 vcc, -1, v2
	v_cndmask_b32_e32 v46, v6, v22, vcc
; %bb.7705:                             ;   in Loop: Header=BB2_7586 Depth=3
	s_or_b64 exec, exec, s[42:43]
.LBB2_7706:                             ;   in Loop: Header=BB2_7586 Depth=3
	s_or_b64 exec, exec, s[40:41]
	v_mov_b32_e32 v28, v9
	v_cmp_ne_u16_sdwa s[42:43], v9, v29 src0_sel:BYTE_0 src1_sel:DWORD
	v_mov_b32_e32 v2, 0
	s_and_saveexec_b64 s[40:41], s[42:43]
	s_cbranch_execz .LBB2_7714
; %bb.7707:                             ;   in Loop: Header=BB2_7586 Depth=3
	v_cmp_ne_u16_sdwa vcc, v9, s96 src0_sel:BYTE_0 src1_sel:DWORD
	v_bfrev_b32_e32 v2, 1
	s_and_saveexec_b64 s[42:43], vcc
	s_cbranch_execz .LBB2_7713
; %bb.7708:                             ;   in Loop: Header=BB2_7586 Depth=3
	v_and_b32_e32 v2, 0x7c, v9
	v_and_b32_e32 v3, 3, v9
	v_cmp_ne_u32_e32 vcc, s85, v2
                                        ; implicit-def: $vgpr2
	s_and_saveexec_b64 s[36:37], vcc
	s_xor_b64 s[36:37], exec, s[36:37]
	s_cbranch_execz .LBB2_7710
; %bb.7709:                             ;   in Loop: Header=BB2_7586 Depth=3
	v_ffbh_u32_e32 v4, v3
	v_min_u32_e32 v15, 32, v4
	v_subrev_u32_e32 v4, 29, v15
	v_lshlrev_b64 v[4:5], v4, v[28:29]
	v_bfe_u32 v2, v9, 2, 5
	v_and_b32_e32 v4, 3, v4
	v_cmp_eq_u32_e32 vcc, 0, v2
	v_sub_u32_e32 v5, 30, v15
	v_cndmask_b32_e32 v3, v3, v4, vcc
	v_lshlrev_b32_e32 v4, 24, v9
	v_cndmask_b32_e32 v2, v2, v5, vcc
	v_and_b32_e32 v4, 0x80000000, v4
	v_lshl_add_u32 v2, v2, 23, v4
	v_lshl_or_b32 v2, v3, 21, v2
	v_add_u32_e32 v2, 0x38000000, v2
                                        ; implicit-def: $vgpr3
.LBB2_7710:                             ;   in Loop: Header=BB2_7586 Depth=3
	s_andn2_saveexec_b64 s[36:37], s[36:37]
; %bb.7711:                             ;   in Loop: Header=BB2_7586 Depth=3
	v_cmp_gt_i16_sdwa vcc, sext(v9), v48 src0_sel:BYTE_0 src1_sel:DWORD
	v_cndmask_b32_e32 v2, v7, v0, vcc
	v_cmp_eq_u32_e32 vcc, 0, v3
	v_cndmask_b32_e32 v2, v35, v2, vcc
; %bb.7712:                             ;   in Loop: Header=BB2_7586 Depth=3
	s_or_b64 exec, exec, s[36:37]
.LBB2_7713:                             ;   in Loop: Header=BB2_7586 Depth=3
	s_or_b64 exec, exec, s[42:43]
.LBB2_7714:                             ;   in Loop: Header=BB2_7586 Depth=3
	s_or_b64 exec, exec, s[40:41]
	v_mul_f32_e32 v4, v23, v2
	v_and_b32_e32 v37, 0x7f800000, v4
	v_mov_b32_e32 v38, v29
	v_cmp_ne_u64_e32 vcc, s[76:77], v[37:38]
	v_and_b32_e32 v2, 0x7fffff, v4
	v_mov_b32_e32 v3, v29
                                        ; implicit-def: $vgpr5
	s_and_saveexec_b64 s[40:41], vcc
	s_xor_b64 s[42:43], exec, s[40:41]
	s_cbranch_execz .LBB2_7728
; %bb.7715:                             ;   in Loop: Header=BB2_7586 Depth=3
	v_and_b32_e32 v37, 0x7fffffff, v4
	v_mov_b32_e32 v38, v29
	v_cmp_gt_u64_e32 vcc, s[78:79], v[37:38]
	v_and_b32_sdwa v15, v4, s96 dst_sel:DWORD dst_unused:UNUSED_PAD src0_sel:BYTE_3 src1_sel:DWORD
                                        ; implicit-def: $vgpr5
	s_and_saveexec_b64 s[40:41], vcc
	s_xor_b64 s[36:37], exec, s[40:41]
	s_cbranch_execz .LBB2_7725
; %bb.7716:                             ;   in Loop: Header=BB2_7586 Depth=3
	v_mov_b32_e32 v5, 0
	v_cmp_ne_u32_e32 vcc, 0, v4
	s_and_saveexec_b64 s[38:39], vcc
	s_cbranch_execz .LBB2_7724
; %bb.7717:                             ;   in Loop: Header=BB2_7586 Depth=3
	v_bfe_u32 v5, v4, 23, 8
	v_cmp_gt_u32_e64 s[40:41], s46, v5
	v_sub_u32_e32 v4, 0x71, v5
	v_cmp_eq_u32_e32 vcc, 0, v5
	v_cndmask_b32_e64 v4, 0, v4, s[40:41]
	v_mov_b32_e32 v32, 0x70
	v_cndmask_b32_e32 v32, v4, v32, vcc
	v_add_u32_e32 v4, 21, v32
	v_or_b32_e32 v30, 0x800000, v2
	v_lshlrev_b64 v[37:38], v4, -1
	v_cndmask_b32_e32 v2, v30, v2, vcc
	v_add_u32_e32 v4, 20, v32
	v_bfi_b32 v37, v37, 0, v2
	v_lshlrev_b64 v[53:54], v4, 1
	v_lshrrev_b64 v[2:3], v32, v[2:3]
	v_bfi_b32 v38, v38, 0, 0
	v_cmp_eq_u64_e64 s[40:41], v[37:38], v[53:54]
	v_mov_b32_e32 v4, v3
	v_mov_b32_e32 v3, v2
	s_and_saveexec_b64 s[48:49], s[40:41]
; %bb.7718:                             ;   in Loop: Header=BB2_7586 Depth=3
	v_bfe_u32 v3, v2, 21, 1
	v_add_co_u32_e64 v3, s[40:41], v2, v3
	v_add_co_u32_e64 v3, s[40:41], -1, v3
; %bb.7719:                             ;   in Loop: Header=BB2_7586 Depth=3
	s_or_b64 exec, exec, s[48:49]
	v_add_u32_e32 v4, 0xffffff81, v5
	v_cndmask_b32_e32 v4, v4, v1, vcc
	v_lshrrev_b32_e32 v5, 23, v2
	v_add3_u32 v32, v32, v4, v5
	v_add_u32_e32 v5, 14, v32
	v_and_b32_e32 v3, 0x1fffff, v3
	v_add_u32_e32 v2, v3, v2
	v_mov_b32_e32 v3, v29
	v_cmp_ne_u32_e32 vcc, 0, v5
                                        ; implicit-def: $vgpr4
	s_and_saveexec_b64 s[40:41], vcc
	s_xor_b64 s[40:41], exec, s[40:41]
; %bb.7720:                             ;   in Loop: Header=BB2_7586 Depth=3
	v_cmp_lt_u64_e32 vcc, s[88:89], v[2:3]
	v_add_u32_e32 v4, 15, v32
	v_cndmask_b32_e32 v4, v5, v4, vcc
	v_cndmask_b32_e64 v5, 0, 1, vcc
	v_lshrrev_b64 v[2:3], v5, v[2:3]
; %bb.7721:                             ;   in Loop: Header=BB2_7586 Depth=3
	s_andn2_saveexec_b64 s[40:41], s[40:41]
; %bb.7722:                             ;   in Loop: Header=BB2_7586 Depth=3
	v_bfe_u32 v4, v2, 23, 1
; %bb.7723:                             ;   in Loop: Header=BB2_7586 Depth=3
	s_or_b64 exec, exec, s[40:41]
	v_lshrrev_b64 v[2:3], 21, v[2:3]
	v_cmp_gt_i32_e32 vcc, 32, v4
	v_cndmask_b32_e32 v3, 0, v3, vcc
	v_cndmask_b32_e32 v2, 3, v2, vcc
	v_cmp_eq_u64_e64 s[40:41], 0, v[2:3]
	v_min_i32_e32 v3, 31, v4
	v_lshlrev_b32_e32 v3, 2, v3
	v_cmp_eq_u32_e32 vcc, 0, v4
	v_and_b32_e32 v3, 0xfc, v3
	v_and_or_b32 v2, v2, 3, v3
	s_and_b64 s[40:41], vcc, s[40:41]
	v_cndmask_b32_e64 v2, v2, 0, s[40:41]
	v_or_b32_e32 v5, v2, v15
.LBB2_7724:                             ;   in Loop: Header=BB2_7586 Depth=3
	s_or_b64 exec, exec, s[38:39]
                                        ; implicit-def: $vgpr15
.LBB2_7725:                             ;   in Loop: Header=BB2_7586 Depth=3
	s_andn2_saveexec_b64 s[40:41], s[36:37]
; %bb.7726:                             ;   in Loop: Header=BB2_7586 Depth=3
	v_or_b32_e32 v5, 0x7b, v15
; %bb.7727:                             ;   in Loop: Header=BB2_7586 Depth=3
	s_or_b64 exec, exec, s[40:41]
                                        ; implicit-def: $vgpr4
                                        ; implicit-def: $vgpr2_vgpr3
.LBB2_7728:                             ;   in Loop: Header=BB2_7586 Depth=3
	s_andn2_saveexec_b64 s[40:41], s[42:43]
	s_cbranch_execz .LBB2_7734
; %bb.7729:                             ;   in Loop: Header=BB2_7586 Depth=3
	v_cmp_ne_u64_e32 vcc, 0, v[2:3]
                                        ; implicit-def: $vgpr5
	s_and_saveexec_b64 s[42:43], vcc
	s_xor_b64 s[42:43], exec, s[42:43]
; %bb.7730:                             ;   in Loop: Header=BB2_7586 Depth=3
	v_or_b32_sdwa v5, v4, s47 dst_sel:DWORD dst_unused:UNUSED_PAD src0_sel:BYTE_3 src1_sel:DWORD
                                        ; implicit-def: $vgpr4
; %bb.7731:                             ;   in Loop: Header=BB2_7586 Depth=3
	s_andn2_saveexec_b64 s[42:43], s[42:43]
; %bb.7732:                             ;   in Loop: Header=BB2_7586 Depth=3
	v_cmp_lt_i32_e32 vcc, -1, v4
	v_cndmask_b32_e32 v5, v6, v22, vcc
; %bb.7733:                             ;   in Loop: Header=BB2_7586 Depth=3
	s_or_b64 exec, exec, s[42:43]
.LBB2_7734:                             ;   in Loop: Header=BB2_7586 Depth=3
	s_or_b64 exec, exec, s[40:41]
	v_lshrrev_b16_e32 v2, 8, v28
	v_cmp_ne_u16_e32 vcc, 0, v2
	v_mov_b32_e32 v3, 0
	s_and_saveexec_b64 s[40:41], vcc
	s_cbranch_execz .LBB2_7742
; %bb.7735:                             ;   in Loop: Header=BB2_7586 Depth=3
	v_cmp_ne_u16_e32 vcc, s96, v2
	v_bfrev_b32_e32 v3, 1
	s_and_saveexec_b64 s[42:43], vcc
	s_cbranch_execz .LBB2_7741
; %bb.7736:                             ;   in Loop: Header=BB2_7586 Depth=3
	v_and_b32_e32 v3, 0x7c, v2
	v_and_b32_e32 v4, 3, v2
	v_cmp_ne_u32_e32 vcc, s85, v3
                                        ; implicit-def: $vgpr3
	s_and_saveexec_b64 s[36:37], vcc
	s_xor_b64 s[36:37], exec, s[36:37]
	s_cbranch_execz .LBB2_7738
; %bb.7737:                             ;   in Loop: Header=BB2_7586 Depth=3
	v_ffbh_u32_e32 v30, v4
	v_min_u32_e32 v30, 32, v30
	v_mov_b32_e32 v3, v29
	v_subrev_u32_e32 v32, 29, v30
	v_bfe_u32 v15, v2, 2, 5
	v_lshlrev_b64 v[2:3], v32, v[2:3]
	v_cmp_eq_u32_e32 vcc, 0, v15
	v_and_b32_e32 v2, 3, v2
	v_sub_u32_e32 v3, 30, v30
	v_cndmask_b32_e32 v2, v4, v2, vcc
	v_lshlrev_b32_e32 v4, 16, v28
	v_cndmask_b32_e32 v3, v15, v3, vcc
	v_and_b32_e32 v4, 0x80000000, v4
	v_lshl_add_u32 v3, v3, 23, v4
	v_lshl_or_b32 v2, v2, 21, v3
	v_add_u32_e32 v3, 0x38000000, v2
                                        ; implicit-def: $vgpr4
.LBB2_7738:                             ;   in Loop: Header=BB2_7586 Depth=3
	s_andn2_saveexec_b64 s[36:37], s[36:37]
; %bb.7739:                             ;   in Loop: Header=BB2_7586 Depth=3
	v_cmp_lt_i16_e32 vcc, -1, v28
	v_cndmask_b32_e32 v2, v7, v0, vcc
	v_cmp_eq_u32_e32 vcc, 0, v4
	v_cndmask_b32_e32 v3, v35, v2, vcc
; %bb.7740:                             ;   in Loop: Header=BB2_7586 Depth=3
	s_or_b64 exec, exec, s[36:37]
.LBB2_7741:                             ;   in Loop: Header=BB2_7586 Depth=3
	s_or_b64 exec, exec, s[42:43]
.LBB2_7742:                             ;   in Loop: Header=BB2_7586 Depth=3
	s_or_b64 exec, exec, s[40:41]
	v_mul_f32_e32 v2, v23, v3
	v_and_b32_e32 v3, 0x7f800000, v2
	v_mov_b32_e32 v4, v29
	v_cmp_ne_u64_e32 vcc, s[76:77], v[3:4]
	v_and_b32_e32 v28, 0x7fffff, v2
                                        ; implicit-def: $vgpr15
	s_and_saveexec_b64 s[40:41], vcc
	s_xor_b64 s[42:43], exec, s[40:41]
	s_cbranch_execz .LBB2_7756
; %bb.7743:                             ;   in Loop: Header=BB2_7586 Depth=3
	v_and_b32_e32 v3, 0x7fffffff, v2
	v_mov_b32_e32 v4, v29
	v_cmp_gt_u64_e32 vcc, s[78:79], v[3:4]
	v_and_b32_sdwa v32, v2, s96 dst_sel:DWORD dst_unused:UNUSED_PAD src0_sel:BYTE_3 src1_sel:DWORD
                                        ; implicit-def: $vgpr15
	s_and_saveexec_b64 s[40:41], vcc
	s_xor_b64 s[36:37], exec, s[40:41]
	s_cbranch_execz .LBB2_7753
; %bb.7744:                             ;   in Loop: Header=BB2_7586 Depth=3
	v_mov_b32_e32 v15, 0
	v_cmp_ne_u32_e32 vcc, 0, v2
	s_and_saveexec_b64 s[38:39], vcc
	s_cbranch_execz .LBB2_7752
; %bb.7745:                             ;   in Loop: Header=BB2_7586 Depth=3
	v_bfe_u32 v15, v2, 23, 8
	v_cmp_gt_u32_e64 s[40:41], s46, v15
	v_sub_u32_e32 v2, 0x71, v15
	v_cmp_eq_u32_e32 vcc, 0, v15
	v_cndmask_b32_e64 v2, 0, v2, s[40:41]
	v_mov_b32_e32 v4, 0x70
	v_cndmask_b32_e32 v37, v2, v4, vcc
	v_add_u32_e32 v4, 21, v37
	v_or_b32_e32 v3, 0x800000, v28
	v_lshlrev_b64 v[38:39], v4, -1
	v_cndmask_b32_e32 v2, v3, v28, vcc
	v_mov_b32_e32 v3, v29
	v_add_u32_e32 v4, 20, v37
	v_bfi_b32 v38, v38, 0, v2
	v_lshlrev_b64 v[53:54], v4, 1
	v_lshrrev_b64 v[2:3], v37, v[2:3]
	v_bfi_b32 v39, v39, 0, 0
	v_cmp_eq_u64_e64 s[40:41], v[38:39], v[53:54]
	v_mov_b32_e32 v4, v3
	v_mov_b32_e32 v3, v2
	s_and_saveexec_b64 s[48:49], s[40:41]
; %bb.7746:                             ;   in Loop: Header=BB2_7586 Depth=3
	v_bfe_u32 v3, v2, 21, 1
	v_add_co_u32_e64 v3, s[40:41], v2, v3
	v_add_co_u32_e64 v3, s[40:41], -1, v3
; %bb.7747:                             ;   in Loop: Header=BB2_7586 Depth=3
	s_or_b64 exec, exec, s[48:49]
	v_add_u32_e32 v4, 0xffffff81, v15
	v_cndmask_b32_e32 v4, v4, v1, vcc
	v_lshrrev_b32_e32 v15, 23, v2
	v_add3_u32 v37, v37, v4, v15
	v_add_u32_e32 v15, 14, v37
	v_and_b32_e32 v3, 0x1fffff, v3
	v_add_u32_e32 v28, v3, v2
	v_cmp_ne_u32_e32 vcc, 0, v15
                                        ; implicit-def: $vgpr2_vgpr3
                                        ; implicit-def: $vgpr4
	s_and_saveexec_b64 s[40:41], vcc
	s_xor_b64 s[40:41], exec, s[40:41]
; %bb.7748:                             ;   in Loop: Header=BB2_7586 Depth=3
	v_cmp_lt_u64_e32 vcc, s[88:89], v[28:29]
	v_add_u32_e32 v2, 15, v37
	v_cndmask_b32_e32 v4, v15, v2, vcc
	v_cndmask_b32_e64 v2, 0, 1, vcc
	v_lshrrev_b64 v[2:3], v2, v[28:29]
; %bb.7749:                             ;   in Loop: Header=BB2_7586 Depth=3
	s_andn2_saveexec_b64 s[40:41], s[40:41]
; %bb.7750:                             ;   in Loop: Header=BB2_7586 Depth=3
	v_mov_b32_e32 v2, v28
	v_mov_b32_e32 v3, v29
	v_bfe_u32 v4, v28, 23, 1
; %bb.7751:                             ;   in Loop: Header=BB2_7586 Depth=3
	s_or_b64 exec, exec, s[40:41]
	v_lshrrev_b64 v[2:3], 21, v[2:3]
	v_cmp_gt_i32_e32 vcc, 32, v4
	v_cndmask_b32_e32 v3, 0, v3, vcc
	v_cndmask_b32_e32 v2, 3, v2, vcc
	v_cmp_eq_u64_e64 s[40:41], 0, v[2:3]
	v_min_i32_e32 v3, 31, v4
	v_lshlrev_b32_e32 v3, 2, v3
	v_cmp_eq_u32_e32 vcc, 0, v4
	v_and_b32_e32 v3, 0xfc, v3
	v_and_or_b32 v2, v2, 3, v3
	s_and_b64 s[40:41], vcc, s[40:41]
	v_cndmask_b32_e64 v2, v2, 0, s[40:41]
	v_or_b32_e32 v15, v2, v32
.LBB2_7752:                             ;   in Loop: Header=BB2_7586 Depth=3
	s_or_b64 exec, exec, s[38:39]
                                        ; implicit-def: $vgpr32
.LBB2_7753:                             ;   in Loop: Header=BB2_7586 Depth=3
	s_andn2_saveexec_b64 s[40:41], s[36:37]
; %bb.7754:                             ;   in Loop: Header=BB2_7586 Depth=3
	v_or_b32_e32 v15, 0x7b, v32
; %bb.7755:                             ;   in Loop: Header=BB2_7586 Depth=3
	s_or_b64 exec, exec, s[40:41]
                                        ; implicit-def: $vgpr2
.LBB2_7756:                             ;   in Loop: Header=BB2_7586 Depth=3
	s_andn2_saveexec_b64 s[40:41], s[42:43]
	s_cbranch_execz .LBB2_7762
; %bb.7757:                             ;   in Loop: Header=BB2_7586 Depth=3
	v_cmp_ne_u64_e32 vcc, 0, v[28:29]
                                        ; implicit-def: $vgpr15
	s_and_saveexec_b64 s[42:43], vcc
	s_xor_b64 s[42:43], exec, s[42:43]
; %bb.7758:                             ;   in Loop: Header=BB2_7586 Depth=3
	v_or_b32_sdwa v15, v2, s47 dst_sel:DWORD dst_unused:UNUSED_PAD src0_sel:BYTE_3 src1_sel:DWORD
                                        ; implicit-def: $vgpr2
; %bb.7759:                             ;   in Loop: Header=BB2_7586 Depth=3
	s_andn2_saveexec_b64 s[42:43], s[42:43]
; %bb.7760:                             ;   in Loop: Header=BB2_7586 Depth=3
	v_cmp_lt_i32_e32 vcc, -1, v2
	v_cndmask_b32_e32 v15, v6, v22, vcc
; %bb.7761:                             ;   in Loop: Header=BB2_7586 Depth=3
	s_or_b64 exec, exec, s[42:43]
.LBB2_7762:                             ;   in Loop: Header=BB2_7586 Depth=3
	s_or_b64 exec, exec, s[40:41]
	v_lshrrev_b32_e32 v2, 16, v9
	v_cmp_ne_u16_sdwa s[42:43], v2, v29 src0_sel:BYTE_0 src1_sel:DWORD
	v_mov_b32_e32 v3, 0
	s_and_saveexec_b64 s[40:41], s[42:43]
	s_cbranch_execz .LBB2_7770
; %bb.7763:                             ;   in Loop: Header=BB2_7586 Depth=3
	v_cmp_ne_u16_sdwa vcc, v2, s96 src0_sel:BYTE_0 src1_sel:DWORD
	v_bfrev_b32_e32 v3, 1
	s_and_saveexec_b64 s[42:43], vcc
	s_cbranch_execz .LBB2_7769
; %bb.7764:                             ;   in Loop: Header=BB2_7586 Depth=3
	v_and_b32_e32 v3, 0x7c0000, v9
	v_bfe_u32 v4, v9, 16, 2
	v_cmp_ne_u32_e32 vcc, s44, v3
                                        ; implicit-def: $vgpr3
	s_and_saveexec_b64 s[36:37], vcc
	s_xor_b64 s[36:37], exec, s[36:37]
	s_cbranch_execz .LBB2_7766
; %bb.7765:                             ;   in Loop: Header=BB2_7586 Depth=3
	v_ffbh_u32_e32 v3, v4
	v_min_u32_e32 v30, 32, v3
	v_subrev_u32_e32 v3, 29, v30
	v_lshlrev_b64 v[2:3], v3, v[2:3]
	v_bfe_u32 v28, v9, 18, 5
	v_and_b32_e32 v2, 3, v2
	v_cmp_eq_u32_e32 vcc, 0, v28
	v_sub_u32_e32 v3, 30, v30
	v_cndmask_b32_e32 v2, v4, v2, vcc
	v_lshlrev_b32_e32 v4, 8, v9
	v_cndmask_b32_e32 v3, v28, v3, vcc
	v_and_b32_e32 v4, 0x80000000, v4
	v_lshl_add_u32 v3, v3, 23, v4
	v_lshl_or_b32 v2, v2, 21, v3
	v_add_u32_e32 v3, 0x38000000, v2
                                        ; implicit-def: $vgpr4
                                        ; implicit-def: $vgpr2
.LBB2_7766:                             ;   in Loop: Header=BB2_7586 Depth=3
	s_andn2_saveexec_b64 s[36:37], s[36:37]
; %bb.7767:                             ;   in Loop: Header=BB2_7586 Depth=3
	v_cmp_gt_i16_sdwa vcc, sext(v2), v48 src0_sel:BYTE_0 src1_sel:DWORD
	v_cndmask_b32_e32 v2, v7, v0, vcc
	v_cmp_eq_u32_e32 vcc, 0, v4
	v_cndmask_b32_e32 v3, v35, v2, vcc
; %bb.7768:                             ;   in Loop: Header=BB2_7586 Depth=3
	s_or_b64 exec, exec, s[36:37]
.LBB2_7769:                             ;   in Loop: Header=BB2_7586 Depth=3
	s_or_b64 exec, exec, s[42:43]
.LBB2_7770:                             ;   in Loop: Header=BB2_7586 Depth=3
	s_or_b64 exec, exec, s[40:41]
	v_mul_f32_e32 v2, v23, v3
	v_and_b32_e32 v3, 0x7f800000, v2
	v_mov_b32_e32 v4, v29
	v_cmp_ne_u64_e32 vcc, s[76:77], v[3:4]
	v_and_b32_e32 v28, 0x7fffff, v2
                                        ; implicit-def: $vgpr57
	s_and_saveexec_b64 s[40:41], vcc
	s_xor_b64 s[42:43], exec, s[40:41]
	s_cbranch_execz .LBB2_7784
; %bb.7771:                             ;   in Loop: Header=BB2_7586 Depth=3
	v_and_b32_e32 v3, 0x7fffffff, v2
	v_mov_b32_e32 v4, v29
	v_cmp_gt_u64_e32 vcc, s[78:79], v[3:4]
	v_and_b32_sdwa v32, v2, s96 dst_sel:DWORD dst_unused:UNUSED_PAD src0_sel:BYTE_3 src1_sel:DWORD
                                        ; implicit-def: $vgpr57
	s_and_saveexec_b64 s[40:41], vcc
	s_xor_b64 s[36:37], exec, s[40:41]
	s_cbranch_execz .LBB2_7781
; %bb.7772:                             ;   in Loop: Header=BB2_7586 Depth=3
	v_mov_b32_e32 v57, 0
	v_cmp_ne_u32_e32 vcc, 0, v2
	s_and_saveexec_b64 s[38:39], vcc
	s_cbranch_execz .LBB2_7780
; %bb.7773:                             ;   in Loop: Header=BB2_7586 Depth=3
	v_bfe_u32 v37, v2, 23, 8
	v_cmp_gt_u32_e64 s[40:41], s46, v37
	v_sub_u32_e32 v2, 0x71, v37
	v_cmp_eq_u32_e32 vcc, 0, v37
	v_cndmask_b32_e64 v2, 0, v2, s[40:41]
	v_mov_b32_e32 v4, 0x70
	v_cndmask_b32_e32 v49, v2, v4, vcc
	v_add_u32_e32 v4, 21, v49
	v_or_b32_e32 v3, 0x800000, v28
	v_lshlrev_b64 v[38:39], v4, -1
	v_cndmask_b32_e32 v2, v3, v28, vcc
	v_mov_b32_e32 v3, v29
	v_add_u32_e32 v4, 20, v49
	v_bfi_b32 v38, v38, 0, v2
	v_lshlrev_b64 v[53:54], v4, 1
	v_lshrrev_b64 v[2:3], v49, v[2:3]
	v_bfi_b32 v39, v39, 0, 0
	v_cmp_eq_u64_e64 s[40:41], v[38:39], v[53:54]
	v_mov_b32_e32 v4, v3
	v_mov_b32_e32 v3, v2
	s_and_saveexec_b64 s[48:49], s[40:41]
; %bb.7774:                             ;   in Loop: Header=BB2_7586 Depth=3
	v_bfe_u32 v3, v2, 21, 1
	v_add_co_u32_e64 v3, s[40:41], v2, v3
	v_add_co_u32_e64 v3, s[40:41], -1, v3
; %bb.7775:                             ;   in Loop: Header=BB2_7586 Depth=3
	s_or_b64 exec, exec, s[48:49]
	v_add_u32_e32 v4, 0xffffff81, v37
	v_cndmask_b32_e32 v4, v4, v1, vcc
	v_lshrrev_b32_e32 v28, 23, v2
	v_add3_u32 v49, v49, v4, v28
	v_add_u32_e32 v37, 14, v49
	v_and_b32_e32 v3, 0x1fffff, v3
	v_add_u32_e32 v28, v3, v2
	v_cmp_ne_u32_e32 vcc, 0, v37
                                        ; implicit-def: $vgpr2_vgpr3
                                        ; implicit-def: $vgpr4
	s_and_saveexec_b64 s[40:41], vcc
	s_xor_b64 s[40:41], exec, s[40:41]
; %bb.7776:                             ;   in Loop: Header=BB2_7586 Depth=3
	v_cmp_lt_u64_e32 vcc, s[88:89], v[28:29]
	v_add_u32_e32 v2, 15, v49
	v_cndmask_b32_e32 v4, v37, v2, vcc
	v_cndmask_b32_e64 v2, 0, 1, vcc
	v_lshrrev_b64 v[2:3], v2, v[28:29]
; %bb.7777:                             ;   in Loop: Header=BB2_7586 Depth=3
	s_andn2_saveexec_b64 s[40:41], s[40:41]
; %bb.7778:                             ;   in Loop: Header=BB2_7586 Depth=3
	v_mov_b32_e32 v2, v28
	v_mov_b32_e32 v3, v29
	v_bfe_u32 v4, v28, 23, 1
; %bb.7779:                             ;   in Loop: Header=BB2_7586 Depth=3
	s_or_b64 exec, exec, s[40:41]
	v_lshrrev_b64 v[2:3], 21, v[2:3]
	v_cmp_gt_i32_e32 vcc, 32, v4
	v_cndmask_b32_e32 v3, 0, v3, vcc
	v_cndmask_b32_e32 v2, 3, v2, vcc
	v_cmp_eq_u64_e64 s[40:41], 0, v[2:3]
	v_min_i32_e32 v3, 31, v4
	v_lshlrev_b32_e32 v3, 2, v3
	v_cmp_eq_u32_e32 vcc, 0, v4
	v_and_b32_e32 v3, 0xfc, v3
	v_and_or_b32 v2, v2, 3, v3
	s_and_b64 s[40:41], vcc, s[40:41]
	v_cndmask_b32_e64 v2, v2, 0, s[40:41]
	v_or_b32_e32 v57, v2, v32
.LBB2_7780:                             ;   in Loop: Header=BB2_7586 Depth=3
	s_or_b64 exec, exec, s[38:39]
                                        ; implicit-def: $vgpr32
.LBB2_7781:                             ;   in Loop: Header=BB2_7586 Depth=3
	s_andn2_saveexec_b64 s[40:41], s[36:37]
; %bb.7782:                             ;   in Loop: Header=BB2_7586 Depth=3
	v_or_b32_e32 v57, 0x7b, v32
; %bb.7783:                             ;   in Loop: Header=BB2_7586 Depth=3
	s_or_b64 exec, exec, s[40:41]
                                        ; implicit-def: $vgpr2
.LBB2_7784:                             ;   in Loop: Header=BB2_7586 Depth=3
	s_andn2_saveexec_b64 s[40:41], s[42:43]
	s_cbranch_execz .LBB2_7790
; %bb.7785:                             ;   in Loop: Header=BB2_7586 Depth=3
	v_cmp_ne_u64_e32 vcc, 0, v[28:29]
                                        ; implicit-def: $vgpr57
	s_and_saveexec_b64 s[42:43], vcc
	s_xor_b64 s[42:43], exec, s[42:43]
; %bb.7786:                             ;   in Loop: Header=BB2_7586 Depth=3
	v_or_b32_sdwa v57, v2, s47 dst_sel:DWORD dst_unused:UNUSED_PAD src0_sel:BYTE_3 src1_sel:DWORD
                                        ; implicit-def: $vgpr2
; %bb.7787:                             ;   in Loop: Header=BB2_7586 Depth=3
	s_andn2_saveexec_b64 s[42:43], s[42:43]
; %bb.7788:                             ;   in Loop: Header=BB2_7586 Depth=3
	v_cmp_lt_i32_e32 vcc, -1, v2
	v_cndmask_b32_e32 v57, v6, v22, vcc
; %bb.7789:                             ;   in Loop: Header=BB2_7586 Depth=3
	s_or_b64 exec, exec, s[42:43]
.LBB2_7790:                             ;   in Loop: Header=BB2_7586 Depth=3
	s_or_b64 exec, exec, s[40:41]
	v_cmp_lt_u64_e32 vcc, s[56:57], v[8:9]
	v_mov_b32_e32 v3, 0
	s_and_saveexec_b64 s[40:41], vcc
	s_cbranch_execz .LBB2_7798
; %bb.7791:                             ;   in Loop: Header=BB2_7586 Depth=3
	v_lshrrev_b32_e32 v2, 24, v9
	v_cmp_ne_u32_e32 vcc, s96, v2
	v_bfrev_b32_e32 v3, 1
	s_and_saveexec_b64 s[42:43], vcc
	s_cbranch_execz .LBB2_7797
; %bb.7792:                             ;   in Loop: Header=BB2_7586 Depth=3
	v_and_b32_e32 v3, 0x7c000000, v9
	v_bfe_u32 v4, v9, 24, 2
	v_cmp_ne_u32_e32 vcc, s45, v3
                                        ; implicit-def: $vgpr3
	s_and_saveexec_b64 s[36:37], vcc
	s_xor_b64 s[36:37], exec, s[36:37]
	s_cbranch_execz .LBB2_7794
; %bb.7793:                             ;   in Loop: Header=BB2_7586 Depth=3
	v_ffbh_u32_e32 v3, v4
	v_min_u32_e32 v30, 32, v3
	v_subrev_u32_e32 v3, 29, v30
	v_lshlrev_b64 v[2:3], v3, v[2:3]
	v_bfe_u32 v28, v9, 26, 5
	v_sub_u32_e32 v3, 30, v30
	v_and_b32_e32 v2, 3, v2
	v_cmp_eq_u32_e32 vcc, 0, v28
	v_cndmask_b32_e32 v3, v28, v3, vcc
	v_cndmask_b32_e32 v2, v4, v2, vcc
	v_and_b32_e32 v4, 0x80000000, v9
	v_lshl_add_u32 v3, v3, 23, v4
	v_lshl_or_b32 v2, v2, 21, v3
	v_add_u32_e32 v3, 0x38000000, v2
                                        ; implicit-def: $vgpr4
.LBB2_7794:                             ;   in Loop: Header=BB2_7586 Depth=3
	s_andn2_saveexec_b64 s[36:37], s[36:37]
; %bb.7795:                             ;   in Loop: Header=BB2_7586 Depth=3
	v_cmp_lt_i64_e32 vcc, -1, v[8:9]
	v_cndmask_b32_e32 v2, v7, v0, vcc
	v_cmp_eq_u32_e32 vcc, 0, v4
	v_cndmask_b32_e32 v3, v35, v2, vcc
; %bb.7796:                             ;   in Loop: Header=BB2_7586 Depth=3
	s_or_b64 exec, exec, s[36:37]
.LBB2_7797:                             ;   in Loop: Header=BB2_7586 Depth=3
	s_or_b64 exec, exec, s[42:43]
.LBB2_7798:                             ;   in Loop: Header=BB2_7586 Depth=3
	s_or_b64 exec, exec, s[40:41]
	v_mul_f32_e32 v2, v23, v3
	v_and_b32_e32 v3, 0x7f800000, v2
	v_mov_b32_e32 v4, v29
	v_cmp_ne_u64_e32 vcc, s[76:77], v[3:4]
	v_and_b32_e32 v28, 0x7fffff, v2
                                        ; implicit-def: $vgpr58
	s_and_saveexec_b64 s[40:41], vcc
	s_xor_b64 s[42:43], exec, s[40:41]
	s_cbranch_execz .LBB2_7812
; %bb.7799:                             ;   in Loop: Header=BB2_7586 Depth=3
	v_and_b32_e32 v3, 0x7fffffff, v2
	v_mov_b32_e32 v4, v29
	v_cmp_gt_u64_e32 vcc, s[78:79], v[3:4]
	v_and_b32_sdwa v8, v2, s96 dst_sel:DWORD dst_unused:UNUSED_PAD src0_sel:BYTE_3 src1_sel:DWORD
                                        ; implicit-def: $vgpr58
	s_and_saveexec_b64 s[40:41], vcc
	s_xor_b64 s[36:37], exec, s[40:41]
	s_cbranch_execz .LBB2_7809
; %bb.7800:                             ;   in Loop: Header=BB2_7586 Depth=3
	v_mov_b32_e32 v58, 0
	v_cmp_ne_u32_e32 vcc, 0, v2
	s_and_saveexec_b64 s[38:39], vcc
	s_cbranch_execz .LBB2_7808
; %bb.7801:                             ;   in Loop: Header=BB2_7586 Depth=3
	v_bfe_u32 v9, v2, 23, 8
	v_cmp_gt_u32_e64 s[40:41], s46, v9
	v_sub_u32_e32 v2, 0x71, v9
	v_cmp_eq_u32_e32 vcc, 0, v9
	v_cndmask_b32_e64 v2, 0, v2, s[40:41]
	v_mov_b32_e32 v4, 0x70
	v_cndmask_b32_e32 v32, v2, v4, vcc
	v_add_u32_e32 v4, 21, v32
	v_or_b32_e32 v3, 0x800000, v28
	v_lshlrev_b64 v[37:38], v4, -1
	v_cndmask_b32_e32 v2, v3, v28, vcc
	v_mov_b32_e32 v3, v29
	v_add_u32_e32 v4, 20, v32
	v_bfi_b32 v37, v37, 0, v2
	v_lshlrev_b64 v[53:54], v4, 1
	v_lshrrev_b64 v[2:3], v32, v[2:3]
	v_bfi_b32 v38, v38, 0, 0
	v_cmp_eq_u64_e64 s[40:41], v[37:38], v[53:54]
	v_mov_b32_e32 v4, v3
	v_mov_b32_e32 v3, v2
	s_and_saveexec_b64 s[48:49], s[40:41]
; %bb.7802:                             ;   in Loop: Header=BB2_7586 Depth=3
	v_bfe_u32 v3, v2, 21, 1
	v_add_co_u32_e64 v3, s[40:41], v2, v3
	v_add_co_u32_e64 v3, s[40:41], -1, v3
; %bb.7803:                             ;   in Loop: Header=BB2_7586 Depth=3
	s_or_b64 exec, exec, s[48:49]
	v_add_u32_e32 v4, 0xffffff81, v9
	v_cndmask_b32_e32 v4, v4, v1, vcc
	v_lshrrev_b32_e32 v9, 23, v2
	v_add3_u32 v32, v32, v4, v9
	v_add_u32_e32 v9, 14, v32
	v_and_b32_e32 v3, 0x1fffff, v3
	v_add_u32_e32 v28, v3, v2
	v_cmp_ne_u32_e32 vcc, 0, v9
                                        ; implicit-def: $vgpr2_vgpr3
                                        ; implicit-def: $vgpr4
	s_and_saveexec_b64 s[40:41], vcc
	s_xor_b64 s[40:41], exec, s[40:41]
; %bb.7804:                             ;   in Loop: Header=BB2_7586 Depth=3
	v_cmp_lt_u64_e32 vcc, s[88:89], v[28:29]
	v_add_u32_e32 v2, 15, v32
	v_cndmask_b32_e32 v4, v9, v2, vcc
	v_cndmask_b32_e64 v2, 0, 1, vcc
	v_lshrrev_b64 v[2:3], v2, v[28:29]
; %bb.7805:                             ;   in Loop: Header=BB2_7586 Depth=3
	s_andn2_saveexec_b64 s[40:41], s[40:41]
; %bb.7806:                             ;   in Loop: Header=BB2_7586 Depth=3
	v_mov_b32_e32 v2, v28
	v_mov_b32_e32 v3, v29
	v_bfe_u32 v4, v28, 23, 1
; %bb.7807:                             ;   in Loop: Header=BB2_7586 Depth=3
	s_or_b64 exec, exec, s[40:41]
	v_lshrrev_b64 v[2:3], 21, v[2:3]
	v_cmp_gt_i32_e32 vcc, 32, v4
	v_cndmask_b32_e32 v3, 0, v3, vcc
	v_cndmask_b32_e32 v2, 3, v2, vcc
	v_cmp_eq_u64_e64 s[40:41], 0, v[2:3]
	v_min_i32_e32 v3, 31, v4
	v_lshlrev_b32_e32 v3, 2, v3
	v_cmp_eq_u32_e32 vcc, 0, v4
	v_and_b32_e32 v3, 0xfc, v3
	v_and_or_b32 v2, v2, 3, v3
	s_and_b64 s[40:41], vcc, s[40:41]
	v_cndmask_b32_e64 v2, v2, 0, s[40:41]
	v_or_b32_e32 v58, v2, v8
.LBB2_7808:                             ;   in Loop: Header=BB2_7586 Depth=3
	s_or_b64 exec, exec, s[38:39]
                                        ; implicit-def: $vgpr8
.LBB2_7809:                             ;   in Loop: Header=BB2_7586 Depth=3
	s_andn2_saveexec_b64 s[40:41], s[36:37]
; %bb.7810:                             ;   in Loop: Header=BB2_7586 Depth=3
	v_or_b32_e32 v58, 0x7b, v8
; %bb.7811:                             ;   in Loop: Header=BB2_7586 Depth=3
	s_or_b64 exec, exec, s[40:41]
                                        ; implicit-def: $vgpr2
.LBB2_7812:                             ;   in Loop: Header=BB2_7586 Depth=3
	s_andn2_saveexec_b64 s[40:41], s[42:43]
	s_cbranch_execz .LBB2_7818
; %bb.7813:                             ;   in Loop: Header=BB2_7586 Depth=3
	v_cmp_ne_u64_e32 vcc, 0, v[28:29]
                                        ; implicit-def: $vgpr58
	s_and_saveexec_b64 s[42:43], vcc
	s_xor_b64 s[42:43], exec, s[42:43]
; %bb.7814:                             ;   in Loop: Header=BB2_7586 Depth=3
	v_or_b32_sdwa v58, v2, s47 dst_sel:DWORD dst_unused:UNUSED_PAD src0_sel:BYTE_3 src1_sel:DWORD
                                        ; implicit-def: $vgpr2
; %bb.7815:                             ;   in Loop: Header=BB2_7586 Depth=3
	s_andn2_saveexec_b64 s[42:43], s[42:43]
; %bb.7816:                             ;   in Loop: Header=BB2_7586 Depth=3
	v_cmp_lt_i32_e32 vcc, -1, v2
	v_cndmask_b32_e32 v58, v6, v22, vcc
; %bb.7817:                             ;   in Loop: Header=BB2_7586 Depth=3
	s_or_b64 exec, exec, s[42:43]
.LBB2_7818:                             ;   in Loop: Header=BB2_7586 Depth=3
	s_or_b64 exec, exec, s[40:41]
	v_cmp_ne_u16_sdwa s[42:43], v10, v29 src0_sel:BYTE_0 src1_sel:DWORD
	v_mov_b32_e32 v2, 0
	s_and_saveexec_b64 s[40:41], s[42:43]
	s_cbranch_execz .LBB2_7826
; %bb.7819:                             ;   in Loop: Header=BB2_7586 Depth=3
	v_cmp_ne_u16_sdwa vcc, sext(v10), s97 src0_sel:BYTE_0 src1_sel:DWORD
	v_bfrev_b32_e32 v2, 1
	s_and_saveexec_b64 s[42:43], vcc
	s_cbranch_execz .LBB2_7825
; %bb.7820:                             ;   in Loop: Header=BB2_7586 Depth=3
	v_and_b32_e32 v2, 0x7c, v10
	v_and_b32_e32 v3, 3, v10
	v_cmp_ne_u32_e32 vcc, s85, v2
                                        ; implicit-def: $vgpr2
	s_and_saveexec_b64 s[36:37], vcc
	s_xor_b64 s[36:37], exec, s[36:37]
	s_cbranch_execz .LBB2_7822
; %bb.7821:                             ;   in Loop: Header=BB2_7586 Depth=3
	v_ffbh_u32_e32 v4, v3
	v_min_u32_e32 v4, 32, v4
	v_bfe_u32 v2, v10, 2, 5
	v_subrev_u32_e32 v8, 29, v4
	v_lshlrev_b64 v[8:9], v8, v[10:11]
	v_sub_u32_e32 v4, 30, v4
	v_cmp_eq_u32_e32 vcc, 0, v2
	v_cndmask_b32_e32 v2, v2, v4, vcc
	v_lshlrev_b32_e32 v4, 24, v10
	v_and_b32_e32 v8, 3, v8
	v_and_b32_e32 v4, 0x80000000, v4
	v_cndmask_b32_e32 v3, v3, v8, vcc
	v_lshl_add_u32 v2, v2, 23, v4
	v_lshl_or_b32 v2, v3, 21, v2
	v_add_u32_e32 v2, 0x38000000, v2
                                        ; implicit-def: $vgpr3
.LBB2_7822:                             ;   in Loop: Header=BB2_7586 Depth=3
	s_andn2_saveexec_b64 s[36:37], s[36:37]
; %bb.7823:                             ;   in Loop: Header=BB2_7586 Depth=3
	v_cmp_gt_i16_sdwa vcc, sext(v10), v48 src0_sel:BYTE_0 src1_sel:DWORD
	v_cndmask_b32_e32 v2, v7, v0, vcc
	v_cmp_eq_u32_e32 vcc, 0, v3
	v_cndmask_b32_e32 v2, v35, v2, vcc
; %bb.7824:                             ;   in Loop: Header=BB2_7586 Depth=3
	s_or_b64 exec, exec, s[36:37]
.LBB2_7825:                             ;   in Loop: Header=BB2_7586 Depth=3
	s_or_b64 exec, exec, s[42:43]
.LBB2_7826:                             ;   in Loop: Header=BB2_7586 Depth=3
	s_or_b64 exec, exec, s[40:41]
	v_mul_f32_e32 v2, v23, v2
	v_and_b32_e32 v3, 0x7f800000, v2
	v_mov_b32_e32 v4, v29
	v_cmp_ne_u64_e32 vcc, s[76:77], v[3:4]
	v_and_b32_e32 v28, 0x7fffff, v2
                                        ; implicit-def: $vgpr37
	s_and_saveexec_b64 s[40:41], vcc
	s_xor_b64 s[42:43], exec, s[40:41]
	s_cbranch_execz .LBB2_7840
; %bb.7827:                             ;   in Loop: Header=BB2_7586 Depth=3
	v_and_b32_e32 v3, 0x7fffffff, v2
	v_mov_b32_e32 v4, v29
	v_cmp_gt_u64_e32 vcc, s[78:79], v[3:4]
	v_and_b32_sdwa v8, v2, s96 dst_sel:DWORD dst_unused:UNUSED_PAD src0_sel:BYTE_3 src1_sel:DWORD
                                        ; implicit-def: $vgpr37
	s_and_saveexec_b64 s[40:41], vcc
	s_xor_b64 s[36:37], exec, s[40:41]
	s_cbranch_execz .LBB2_7837
; %bb.7828:                             ;   in Loop: Header=BB2_7586 Depth=3
	v_mov_b32_e32 v37, 0
	v_cmp_ne_u32_e32 vcc, 0, v2
	s_and_saveexec_b64 s[38:39], vcc
	s_cbranch_execz .LBB2_7836
; %bb.7829:                             ;   in Loop: Header=BB2_7586 Depth=3
	v_bfe_u32 v9, v2, 23, 8
	v_cmp_gt_u32_e64 s[40:41], s46, v9
	v_sub_u32_e32 v2, 0x71, v9
	v_cmp_eq_u32_e32 vcc, 0, v9
	v_cndmask_b32_e64 v2, 0, v2, s[40:41]
	v_mov_b32_e32 v4, 0x70
	v_cndmask_b32_e32 v32, v2, v4, vcc
	v_add_u32_e32 v4, 21, v32
	v_or_b32_e32 v3, 0x800000, v28
	v_lshlrev_b64 v[37:38], v4, -1
	v_cndmask_b32_e32 v2, v3, v28, vcc
	v_mov_b32_e32 v3, v29
	v_add_u32_e32 v4, 20, v32
	v_bfi_b32 v37, v37, 0, v2
	v_lshlrev_b64 v[53:54], v4, 1
	v_lshrrev_b64 v[2:3], v32, v[2:3]
	v_bfi_b32 v38, v38, 0, 0
	v_cmp_eq_u64_e64 s[40:41], v[37:38], v[53:54]
	v_mov_b32_e32 v4, v3
	v_mov_b32_e32 v3, v2
	s_and_saveexec_b64 s[48:49], s[40:41]
; %bb.7830:                             ;   in Loop: Header=BB2_7586 Depth=3
	v_bfe_u32 v3, v2, 21, 1
	v_add_co_u32_e64 v3, s[40:41], v2, v3
	v_add_co_u32_e64 v3, s[40:41], -1, v3
; %bb.7831:                             ;   in Loop: Header=BB2_7586 Depth=3
	s_or_b64 exec, exec, s[48:49]
	v_add_u32_e32 v4, 0xffffff81, v9
	v_cndmask_b32_e32 v4, v4, v1, vcc
	v_lshrrev_b32_e32 v9, 23, v2
	v_add3_u32 v32, v32, v4, v9
	v_add_u32_e32 v9, 14, v32
	v_and_b32_e32 v3, 0x1fffff, v3
	v_add_u32_e32 v28, v3, v2
	v_cmp_ne_u32_e32 vcc, 0, v9
                                        ; implicit-def: $vgpr2_vgpr3
                                        ; implicit-def: $vgpr4
	s_and_saveexec_b64 s[40:41], vcc
	s_xor_b64 s[40:41], exec, s[40:41]
; %bb.7832:                             ;   in Loop: Header=BB2_7586 Depth=3
	v_cmp_lt_u64_e32 vcc, s[88:89], v[28:29]
	v_add_u32_e32 v2, 15, v32
	v_cndmask_b32_e32 v4, v9, v2, vcc
	v_cndmask_b32_e64 v2, 0, 1, vcc
	v_lshrrev_b64 v[2:3], v2, v[28:29]
; %bb.7833:                             ;   in Loop: Header=BB2_7586 Depth=3
	s_andn2_saveexec_b64 s[40:41], s[40:41]
; %bb.7834:                             ;   in Loop: Header=BB2_7586 Depth=3
	v_mov_b32_e32 v2, v28
	v_mov_b32_e32 v3, v29
	v_bfe_u32 v4, v28, 23, 1
; %bb.7835:                             ;   in Loop: Header=BB2_7586 Depth=3
	s_or_b64 exec, exec, s[40:41]
	v_lshrrev_b64 v[2:3], 21, v[2:3]
	v_cmp_gt_i32_e32 vcc, 32, v4
	v_cndmask_b32_e32 v3, 0, v3, vcc
	v_cndmask_b32_e32 v2, 3, v2, vcc
	v_cmp_eq_u64_e64 s[40:41], 0, v[2:3]
	v_min_i32_e32 v3, 31, v4
	v_lshlrev_b32_e32 v3, 2, v3
	v_cmp_eq_u32_e32 vcc, 0, v4
	v_and_b32_e32 v3, 0xfc, v3
	v_and_or_b32 v2, v2, 3, v3
	s_and_b64 s[40:41], vcc, s[40:41]
	v_cndmask_b32_e64 v2, v2, 0, s[40:41]
	v_or_b32_e32 v37, v2, v8
.LBB2_7836:                             ;   in Loop: Header=BB2_7586 Depth=3
	s_or_b64 exec, exec, s[38:39]
                                        ; implicit-def: $vgpr8
.LBB2_7837:                             ;   in Loop: Header=BB2_7586 Depth=3
	s_andn2_saveexec_b64 s[40:41], s[36:37]
; %bb.7838:                             ;   in Loop: Header=BB2_7586 Depth=3
	v_or_b32_e32 v37, 0x7b, v8
; %bb.7839:                             ;   in Loop: Header=BB2_7586 Depth=3
	s_or_b64 exec, exec, s[40:41]
                                        ; implicit-def: $vgpr2
.LBB2_7840:                             ;   in Loop: Header=BB2_7586 Depth=3
	s_andn2_saveexec_b64 s[40:41], s[42:43]
	s_cbranch_execz .LBB2_7846
; %bb.7841:                             ;   in Loop: Header=BB2_7586 Depth=3
	v_cmp_ne_u64_e32 vcc, 0, v[28:29]
                                        ; implicit-def: $vgpr37
	s_and_saveexec_b64 s[42:43], vcc
	s_xor_b64 s[42:43], exec, s[42:43]
; %bb.7842:                             ;   in Loop: Header=BB2_7586 Depth=3
	v_or_b32_sdwa v37, v2, s47 dst_sel:DWORD dst_unused:UNUSED_PAD src0_sel:BYTE_3 src1_sel:DWORD
                                        ; implicit-def: $vgpr2
; %bb.7843:                             ;   in Loop: Header=BB2_7586 Depth=3
	s_andn2_saveexec_b64 s[42:43], s[42:43]
; %bb.7844:                             ;   in Loop: Header=BB2_7586 Depth=3
	v_cmp_lt_i32_e32 vcc, -1, v2
	v_cndmask_b32_e32 v37, v6, v22, vcc
; %bb.7845:                             ;   in Loop: Header=BB2_7586 Depth=3
	s_or_b64 exec, exec, s[42:43]
.LBB2_7846:                             ;   in Loop: Header=BB2_7586 Depth=3
	s_or_b64 exec, exec, s[40:41]
	v_lshrrev_b16_e32 v2, 8, v10
	v_cmp_ne_u16_e32 vcc, 0, v2
	v_mov_b32_e32 v3, 0
	s_and_saveexec_b64 s[40:41], vcc
	s_cbranch_execz .LBB2_7854
; %bb.7847:                             ;   in Loop: Header=BB2_7586 Depth=3
	v_cmp_ne_u16_e32 vcc, s96, v2
	v_bfrev_b32_e32 v3, 1
	s_and_saveexec_b64 s[42:43], vcc
	s_cbranch_execz .LBB2_7853
; %bb.7848:                             ;   in Loop: Header=BB2_7586 Depth=3
	v_and_b32_e32 v3, 0x7c, v2
	v_and_b32_e32 v4, 3, v2
	v_cmp_ne_u32_e32 vcc, s85, v3
                                        ; implicit-def: $vgpr3
	s_and_saveexec_b64 s[36:37], vcc
	s_xor_b64 s[36:37], exec, s[36:37]
	s_cbranch_execz .LBB2_7850
; %bb.7849:                             ;   in Loop: Header=BB2_7586 Depth=3
	v_ffbh_u32_e32 v9, v4
	v_min_u32_e32 v9, 32, v9
	v_mov_b32_e32 v3, v29
	v_subrev_u32_e32 v28, 29, v9
	v_bfe_u32 v8, v2, 2, 5
	v_lshlrev_b64 v[2:3], v28, v[2:3]
	v_cmp_eq_u32_e32 vcc, 0, v8
	v_and_b32_e32 v2, 3, v2
	v_sub_u32_e32 v3, 30, v9
	v_cndmask_b32_e32 v2, v4, v2, vcc
	v_lshlrev_b32_e32 v4, 16, v10
	v_cndmask_b32_e32 v3, v8, v3, vcc
	v_and_b32_e32 v4, 0x80000000, v4
	v_lshl_add_u32 v3, v3, 23, v4
	v_lshl_or_b32 v2, v2, 21, v3
	v_add_u32_e32 v3, 0x38000000, v2
                                        ; implicit-def: $vgpr4
.LBB2_7850:                             ;   in Loop: Header=BB2_7586 Depth=3
	s_andn2_saveexec_b64 s[36:37], s[36:37]
; %bb.7851:                             ;   in Loop: Header=BB2_7586 Depth=3
	v_cmp_lt_i16_e32 vcc, -1, v10
	v_cndmask_b32_e32 v2, v7, v0, vcc
	v_cmp_eq_u32_e32 vcc, 0, v4
	v_cndmask_b32_e32 v3, v35, v2, vcc
; %bb.7852:                             ;   in Loop: Header=BB2_7586 Depth=3
	s_or_b64 exec, exec, s[36:37]
.LBB2_7853:                             ;   in Loop: Header=BB2_7586 Depth=3
	s_or_b64 exec, exec, s[42:43]
.LBB2_7854:                             ;   in Loop: Header=BB2_7586 Depth=3
	s_or_b64 exec, exec, s[40:41]
	v_mul_f32_e32 v2, v23, v3
	v_and_b32_e32 v3, 0x7f800000, v2
	v_mov_b32_e32 v4, v29
	v_cmp_ne_u64_e32 vcc, s[76:77], v[3:4]
	v_and_b32_e32 v28, 0x7fffff, v2
                                        ; implicit-def: $vgpr54
	s_and_saveexec_b64 s[40:41], vcc
	s_xor_b64 s[42:43], exec, s[40:41]
	s_cbranch_execz .LBB2_7868
; %bb.7855:                             ;   in Loop: Header=BB2_7586 Depth=3
	v_and_b32_e32 v3, 0x7fffffff, v2
	v_mov_b32_e32 v4, v29
	v_cmp_gt_u64_e32 vcc, s[78:79], v[3:4]
	v_and_b32_sdwa v8, v2, s96 dst_sel:DWORD dst_unused:UNUSED_PAD src0_sel:BYTE_3 src1_sel:DWORD
                                        ; implicit-def: $vgpr54
	s_and_saveexec_b64 s[40:41], vcc
	s_xor_b64 s[36:37], exec, s[40:41]
	s_cbranch_execz .LBB2_7865
; %bb.7856:                             ;   in Loop: Header=BB2_7586 Depth=3
	v_mov_b32_e32 v54, 0
	v_cmp_ne_u32_e32 vcc, 0, v2
	s_and_saveexec_b64 s[38:39], vcc
	s_cbranch_execz .LBB2_7864
; %bb.7857:                             ;   in Loop: Header=BB2_7586 Depth=3
	v_bfe_u32 v9, v2, 23, 8
	v_cmp_gt_u32_e64 s[40:41], s46, v9
	v_sub_u32_e32 v2, 0x71, v9
	v_cmp_eq_u32_e32 vcc, 0, v9
	v_cndmask_b32_e64 v2, 0, v2, s[40:41]
	v_mov_b32_e32 v4, 0x70
	v_cndmask_b32_e32 v32, v2, v4, vcc
	v_add_u32_e32 v4, 21, v32
	v_or_b32_e32 v3, 0x800000, v28
	v_lshlrev_b64 v[38:39], v4, -1
	v_cndmask_b32_e32 v2, v3, v28, vcc
	v_mov_b32_e32 v3, v29
	v_add_u32_e32 v4, 20, v32
	v_bfi_b32 v38, v38, 0, v2
	v_lshlrev_b64 v[53:54], v4, 1
	v_lshrrev_b64 v[2:3], v32, v[2:3]
	v_bfi_b32 v39, v39, 0, 0
	v_cmp_eq_u64_e64 s[40:41], v[38:39], v[53:54]
	v_mov_b32_e32 v4, v3
	v_mov_b32_e32 v3, v2
	s_and_saveexec_b64 s[48:49], s[40:41]
; %bb.7858:                             ;   in Loop: Header=BB2_7586 Depth=3
	v_bfe_u32 v3, v2, 21, 1
	v_add_co_u32_e64 v3, s[40:41], v2, v3
	v_add_co_u32_e64 v3, s[40:41], -1, v3
; %bb.7859:                             ;   in Loop: Header=BB2_7586 Depth=3
	s_or_b64 exec, exec, s[48:49]
	v_add_u32_e32 v4, 0xffffff81, v9
	v_cndmask_b32_e32 v4, v4, v1, vcc
	v_lshrrev_b32_e32 v9, 23, v2
	v_add3_u32 v32, v32, v4, v9
	v_add_u32_e32 v9, 14, v32
	v_and_b32_e32 v3, 0x1fffff, v3
	v_add_u32_e32 v28, v3, v2
	v_cmp_ne_u32_e32 vcc, 0, v9
                                        ; implicit-def: $vgpr2_vgpr3
                                        ; implicit-def: $vgpr4
	s_and_saveexec_b64 s[40:41], vcc
	s_xor_b64 s[40:41], exec, s[40:41]
; %bb.7860:                             ;   in Loop: Header=BB2_7586 Depth=3
	v_cmp_lt_u64_e32 vcc, s[88:89], v[28:29]
	v_add_u32_e32 v2, 15, v32
	v_cndmask_b32_e32 v4, v9, v2, vcc
	v_cndmask_b32_e64 v2, 0, 1, vcc
	v_lshrrev_b64 v[2:3], v2, v[28:29]
; %bb.7861:                             ;   in Loop: Header=BB2_7586 Depth=3
	s_andn2_saveexec_b64 s[40:41], s[40:41]
; %bb.7862:                             ;   in Loop: Header=BB2_7586 Depth=3
	v_mov_b32_e32 v2, v28
	v_mov_b32_e32 v3, v29
	v_bfe_u32 v4, v28, 23, 1
; %bb.7863:                             ;   in Loop: Header=BB2_7586 Depth=3
	s_or_b64 exec, exec, s[40:41]
	v_lshrrev_b64 v[2:3], 21, v[2:3]
	v_cmp_gt_i32_e32 vcc, 32, v4
	v_cndmask_b32_e32 v3, 0, v3, vcc
	v_cndmask_b32_e32 v2, 3, v2, vcc
	v_cmp_eq_u64_e64 s[40:41], 0, v[2:3]
	v_min_i32_e32 v3, 31, v4
	v_lshlrev_b32_e32 v3, 2, v3
	v_cmp_eq_u32_e32 vcc, 0, v4
	v_and_b32_e32 v3, 0xfc, v3
	v_and_or_b32 v2, v2, 3, v3
	s_and_b64 s[40:41], vcc, s[40:41]
	v_cndmask_b32_e64 v2, v2, 0, s[40:41]
	v_or_b32_e32 v54, v2, v8
.LBB2_7864:                             ;   in Loop: Header=BB2_7586 Depth=3
	s_or_b64 exec, exec, s[38:39]
                                        ; implicit-def: $vgpr8
.LBB2_7865:                             ;   in Loop: Header=BB2_7586 Depth=3
	s_andn2_saveexec_b64 s[40:41], s[36:37]
; %bb.7866:                             ;   in Loop: Header=BB2_7586 Depth=3
	v_or_b32_e32 v54, 0x7b, v8
; %bb.7867:                             ;   in Loop: Header=BB2_7586 Depth=3
	s_or_b64 exec, exec, s[40:41]
                                        ; implicit-def: $vgpr2
.LBB2_7868:                             ;   in Loop: Header=BB2_7586 Depth=3
	s_andn2_saveexec_b64 s[40:41], s[42:43]
	s_cbranch_execz .LBB2_7874
; %bb.7869:                             ;   in Loop: Header=BB2_7586 Depth=3
	v_cmp_ne_u64_e32 vcc, 0, v[28:29]
                                        ; implicit-def: $vgpr54
	s_and_saveexec_b64 s[42:43], vcc
	s_xor_b64 s[42:43], exec, s[42:43]
; %bb.7870:                             ;   in Loop: Header=BB2_7586 Depth=3
	v_or_b32_sdwa v54, v2, s47 dst_sel:DWORD dst_unused:UNUSED_PAD src0_sel:BYTE_3 src1_sel:DWORD
                                        ; implicit-def: $vgpr2
; %bb.7871:                             ;   in Loop: Header=BB2_7586 Depth=3
	s_andn2_saveexec_b64 s[42:43], s[42:43]
; %bb.7872:                             ;   in Loop: Header=BB2_7586 Depth=3
	v_cmp_lt_i32_e32 vcc, -1, v2
	v_cndmask_b32_e32 v54, v6, v22, vcc
; %bb.7873:                             ;   in Loop: Header=BB2_7586 Depth=3
	s_or_b64 exec, exec, s[42:43]
.LBB2_7874:                             ;   in Loop: Header=BB2_7586 Depth=3
	s_or_b64 exec, exec, s[40:41]
	v_lshrrev_b32_e32 v2, 16, v10
	v_cmp_ne_u16_sdwa s[42:43], v2, v29 src0_sel:BYTE_0 src1_sel:DWORD
	v_mov_b32_e32 v3, 0
	s_and_saveexec_b64 s[40:41], s[42:43]
	s_cbranch_execz .LBB2_7882
; %bb.7875:                             ;   in Loop: Header=BB2_7586 Depth=3
	v_cmp_ne_u16_sdwa vcc, v2, s96 src0_sel:BYTE_0 src1_sel:DWORD
	v_bfrev_b32_e32 v3, 1
	s_and_saveexec_b64 s[42:43], vcc
	s_cbranch_execz .LBB2_7881
; %bb.7876:                             ;   in Loop: Header=BB2_7586 Depth=3
	v_and_b32_e32 v3, 0x7c0000, v10
	v_bfe_u32 v4, v10, 16, 2
	v_cmp_ne_u32_e32 vcc, s44, v3
                                        ; implicit-def: $vgpr3
	s_and_saveexec_b64 s[36:37], vcc
	s_xor_b64 s[36:37], exec, s[36:37]
	s_cbranch_execz .LBB2_7878
; %bb.7877:                             ;   in Loop: Header=BB2_7586 Depth=3
	v_ffbh_u32_e32 v3, v4
	v_min_u32_e32 v9, 32, v3
	v_subrev_u32_e32 v3, 29, v9
	v_lshlrev_b64 v[2:3], v3, v[2:3]
	v_bfe_u32 v8, v10, 18, 5
	v_and_b32_e32 v2, 3, v2
	v_cmp_eq_u32_e32 vcc, 0, v8
	v_sub_u32_e32 v3, 30, v9
	v_cndmask_b32_e32 v2, v4, v2, vcc
	v_lshlrev_b32_e32 v4, 8, v10
	v_cndmask_b32_e32 v3, v8, v3, vcc
	v_and_b32_e32 v4, 0x80000000, v4
	v_lshl_add_u32 v3, v3, 23, v4
	v_lshl_or_b32 v2, v2, 21, v3
	v_add_u32_e32 v3, 0x38000000, v2
                                        ; implicit-def: $vgpr4
                                        ; implicit-def: $vgpr2
.LBB2_7878:                             ;   in Loop: Header=BB2_7586 Depth=3
	s_andn2_saveexec_b64 s[36:37], s[36:37]
; %bb.7879:                             ;   in Loop: Header=BB2_7586 Depth=3
	v_cmp_gt_i16_sdwa vcc, sext(v2), v48 src0_sel:BYTE_0 src1_sel:DWORD
	v_cndmask_b32_e32 v2, v7, v0, vcc
	v_cmp_eq_u32_e32 vcc, 0, v4
	v_cndmask_b32_e32 v3, v35, v2, vcc
; %bb.7880:                             ;   in Loop: Header=BB2_7586 Depth=3
	s_or_b64 exec, exec, s[36:37]
.LBB2_7881:                             ;   in Loop: Header=BB2_7586 Depth=3
	s_or_b64 exec, exec, s[42:43]
.LBB2_7882:                             ;   in Loop: Header=BB2_7586 Depth=3
	s_or_b64 exec, exec, s[40:41]
	v_mul_f32_e32 v2, v23, v3
	v_and_b32_e32 v3, 0x7f800000, v2
	v_mov_b32_e32 v4, v29
	v_cmp_ne_u64_e32 vcc, s[76:77], v[3:4]
	v_and_b32_e32 v28, 0x7fffff, v2
                                        ; implicit-def: $vgpr47
	s_and_saveexec_b64 s[40:41], vcc
	s_xor_b64 s[42:43], exec, s[40:41]
	s_cbranch_execz .LBB2_7896
; %bb.7883:                             ;   in Loop: Header=BB2_7586 Depth=3
	v_and_b32_e32 v3, 0x7fffffff, v2
	v_mov_b32_e32 v4, v29
	v_cmp_gt_u64_e32 vcc, s[78:79], v[3:4]
	v_and_b32_sdwa v8, v2, s96 dst_sel:DWORD dst_unused:UNUSED_PAD src0_sel:BYTE_3 src1_sel:DWORD
                                        ; implicit-def: $vgpr47
	s_and_saveexec_b64 s[40:41], vcc
	s_xor_b64 s[36:37], exec, s[40:41]
	s_cbranch_execz .LBB2_7893
; %bb.7884:                             ;   in Loop: Header=BB2_7586 Depth=3
	v_mov_b32_e32 v47, 0
	v_cmp_ne_u32_e32 vcc, 0, v2
	s_and_saveexec_b64 s[38:39], vcc
	s_cbranch_execz .LBB2_7892
; %bb.7885:                             ;   in Loop: Header=BB2_7586 Depth=3
	v_bfe_u32 v9, v2, 23, 8
	v_cmp_gt_u32_e64 s[40:41], s46, v9
	v_sub_u32_e32 v2, 0x71, v9
	v_cmp_eq_u32_e32 vcc, 0, v9
	v_cndmask_b32_e64 v2, 0, v2, s[40:41]
	v_mov_b32_e32 v4, 0x70
	v_cndmask_b32_e32 v32, v2, v4, vcc
	v_add_u32_e32 v4, 21, v32
	v_or_b32_e32 v3, 0x800000, v28
	v_lshlrev_b64 v[38:39], v4, -1
	v_cndmask_b32_e32 v2, v3, v28, vcc
	v_mov_b32_e32 v3, v29
	v_add_u32_e32 v4, 20, v32
	v_bfi_b32 v38, v38, 0, v2
	v_lshlrev_b64 v[55:56], v4, 1
	v_lshrrev_b64 v[2:3], v32, v[2:3]
	v_bfi_b32 v39, v39, 0, 0
	v_cmp_eq_u64_e64 s[40:41], v[38:39], v[55:56]
	v_mov_b32_e32 v4, v3
	v_mov_b32_e32 v3, v2
	s_and_saveexec_b64 s[48:49], s[40:41]
; %bb.7886:                             ;   in Loop: Header=BB2_7586 Depth=3
	v_bfe_u32 v3, v2, 21, 1
	v_add_co_u32_e64 v3, s[40:41], v2, v3
	v_add_co_u32_e64 v3, s[40:41], -1, v3
; %bb.7887:                             ;   in Loop: Header=BB2_7586 Depth=3
	s_or_b64 exec, exec, s[48:49]
	v_add_u32_e32 v4, 0xffffff81, v9
	v_cndmask_b32_e32 v4, v4, v1, vcc
	v_lshrrev_b32_e32 v9, 23, v2
	v_add3_u32 v32, v32, v4, v9
	v_add_u32_e32 v9, 14, v32
	v_and_b32_e32 v3, 0x1fffff, v3
	v_add_u32_e32 v28, v3, v2
	v_cmp_ne_u32_e32 vcc, 0, v9
                                        ; implicit-def: $vgpr2_vgpr3
                                        ; implicit-def: $vgpr4
	s_and_saveexec_b64 s[40:41], vcc
	s_xor_b64 s[40:41], exec, s[40:41]
; %bb.7888:                             ;   in Loop: Header=BB2_7586 Depth=3
	v_cmp_lt_u64_e32 vcc, s[88:89], v[28:29]
	v_add_u32_e32 v2, 15, v32
	v_cndmask_b32_e32 v4, v9, v2, vcc
	v_cndmask_b32_e64 v2, 0, 1, vcc
	v_lshrrev_b64 v[2:3], v2, v[28:29]
; %bb.7889:                             ;   in Loop: Header=BB2_7586 Depth=3
	s_andn2_saveexec_b64 s[40:41], s[40:41]
; %bb.7890:                             ;   in Loop: Header=BB2_7586 Depth=3
	v_mov_b32_e32 v2, v28
	v_mov_b32_e32 v3, v29
	v_bfe_u32 v4, v28, 23, 1
; %bb.7891:                             ;   in Loop: Header=BB2_7586 Depth=3
	s_or_b64 exec, exec, s[40:41]
	v_lshrrev_b64 v[2:3], 21, v[2:3]
	v_cmp_gt_i32_e32 vcc, 32, v4
	v_cndmask_b32_e32 v3, 0, v3, vcc
	v_cndmask_b32_e32 v2, 3, v2, vcc
	v_cmp_eq_u64_e64 s[40:41], 0, v[2:3]
	v_min_i32_e32 v3, 31, v4
	v_lshlrev_b32_e32 v3, 2, v3
	v_cmp_eq_u32_e32 vcc, 0, v4
	v_and_b32_e32 v3, 0xfc, v3
	v_and_or_b32 v2, v2, 3, v3
	s_and_b64 s[40:41], vcc, s[40:41]
	v_cndmask_b32_e64 v2, v2, 0, s[40:41]
	v_or_b32_e32 v47, v2, v8
.LBB2_7892:                             ;   in Loop: Header=BB2_7586 Depth=3
	s_or_b64 exec, exec, s[38:39]
                                        ; implicit-def: $vgpr8
.LBB2_7893:                             ;   in Loop: Header=BB2_7586 Depth=3
	s_andn2_saveexec_b64 s[40:41], s[36:37]
; %bb.7894:                             ;   in Loop: Header=BB2_7586 Depth=3
	v_or_b32_e32 v47, 0x7b, v8
; %bb.7895:                             ;   in Loop: Header=BB2_7586 Depth=3
	s_or_b64 exec, exec, s[40:41]
                                        ; implicit-def: $vgpr2
.LBB2_7896:                             ;   in Loop: Header=BB2_7586 Depth=3
	s_andn2_saveexec_b64 s[40:41], s[42:43]
	s_cbranch_execz .LBB2_7902
; %bb.7897:                             ;   in Loop: Header=BB2_7586 Depth=3
	v_cmp_ne_u64_e32 vcc, 0, v[28:29]
                                        ; implicit-def: $vgpr47
	s_and_saveexec_b64 s[42:43], vcc
	s_xor_b64 s[42:43], exec, s[42:43]
; %bb.7898:                             ;   in Loop: Header=BB2_7586 Depth=3
	v_or_b32_sdwa v47, v2, s47 dst_sel:DWORD dst_unused:UNUSED_PAD src0_sel:BYTE_3 src1_sel:DWORD
                                        ; implicit-def: $vgpr2
; %bb.7899:                             ;   in Loop: Header=BB2_7586 Depth=3
	s_andn2_saveexec_b64 s[42:43], s[42:43]
; %bb.7900:                             ;   in Loop: Header=BB2_7586 Depth=3
	v_cmp_lt_i32_e32 vcc, -1, v2
	v_cndmask_b32_e32 v47, v6, v22, vcc
; %bb.7901:                             ;   in Loop: Header=BB2_7586 Depth=3
	s_or_b64 exec, exec, s[42:43]
.LBB2_7902:                             ;   in Loop: Header=BB2_7586 Depth=3
	s_or_b64 exec, exec, s[40:41]
	v_cmp_lt_u32_e32 vcc, s57, v10
	v_mov_b32_e32 v3, 0
	s_and_saveexec_b64 s[40:41], vcc
	s_cbranch_execz .LBB2_7910
; %bb.7903:                             ;   in Loop: Header=BB2_7586 Depth=3
	v_lshrrev_b32_e32 v2, 24, v10
	v_cmp_ne_u32_e32 vcc, s96, v2
	v_bfrev_b32_e32 v3, 1
	s_and_saveexec_b64 s[42:43], vcc
	s_cbranch_execz .LBB2_7909
; %bb.7904:                             ;   in Loop: Header=BB2_7586 Depth=3
	v_and_b32_e32 v3, 0x7c000000, v10
	v_bfe_u32 v4, v10, 24, 2
	v_cmp_ne_u32_e32 vcc, s45, v3
                                        ; implicit-def: $vgpr3
	s_and_saveexec_b64 s[36:37], vcc
	s_xor_b64 s[36:37], exec, s[36:37]
	s_cbranch_execz .LBB2_7906
; %bb.7905:                             ;   in Loop: Header=BB2_7586 Depth=3
	v_ffbh_u32_e32 v3, v4
	v_min_u32_e32 v9, 32, v3
	v_subrev_u32_e32 v3, 29, v9
	v_lshlrev_b64 v[2:3], v3, v[2:3]
	v_bfe_u32 v8, v10, 26, 5
	v_sub_u32_e32 v3, 30, v9
	v_and_b32_e32 v2, 3, v2
	v_cmp_eq_u32_e32 vcc, 0, v8
	v_cndmask_b32_e32 v3, v8, v3, vcc
	v_cndmask_b32_e32 v2, v4, v2, vcc
	v_and_b32_e32 v4, 0x80000000, v10
	v_lshl_add_u32 v3, v3, 23, v4
	v_lshl_or_b32 v2, v2, 21, v3
	v_add_u32_e32 v3, 0x38000000, v2
                                        ; implicit-def: $vgpr4
.LBB2_7906:                             ;   in Loop: Header=BB2_7586 Depth=3
	s_andn2_saveexec_b64 s[36:37], s[36:37]
; %bb.7907:                             ;   in Loop: Header=BB2_7586 Depth=3
	v_cmp_lt_i32_e32 vcc, -1, v10
	v_cndmask_b32_e32 v2, v7, v0, vcc
	v_cmp_eq_u32_e32 vcc, 0, v4
	v_cndmask_b32_e32 v3, v35, v2, vcc
; %bb.7908:                             ;   in Loop: Header=BB2_7586 Depth=3
	s_or_b64 exec, exec, s[36:37]
.LBB2_7909:                             ;   in Loop: Header=BB2_7586 Depth=3
	s_or_b64 exec, exec, s[42:43]
.LBB2_7910:                             ;   in Loop: Header=BB2_7586 Depth=3
	s_or_b64 exec, exec, s[40:41]
	v_mul_f32_e32 v2, v23, v3
	v_and_b32_e32 v3, 0x7f800000, v2
	v_mov_b32_e32 v4, v29
	v_cmp_ne_u64_e32 vcc, s[76:77], v[3:4]
	v_and_b32_e32 v28, 0x7fffff, v2
                                        ; implicit-def: $vgpr56
	s_and_saveexec_b64 s[40:41], vcc
	s_xor_b64 s[42:43], exec, s[40:41]
	s_cbranch_execz .LBB2_7924
; %bb.7911:                             ;   in Loop: Header=BB2_7586 Depth=3
	v_and_b32_e32 v3, 0x7fffffff, v2
	v_mov_b32_e32 v4, v29
	v_cmp_gt_u64_e32 vcc, s[78:79], v[3:4]
	v_and_b32_sdwa v8, v2, s96 dst_sel:DWORD dst_unused:UNUSED_PAD src0_sel:BYTE_3 src1_sel:DWORD
                                        ; implicit-def: $vgpr56
	s_and_saveexec_b64 s[40:41], vcc
	s_xor_b64 s[36:37], exec, s[40:41]
	s_cbranch_execz .LBB2_7921
; %bb.7912:                             ;   in Loop: Header=BB2_7586 Depth=3
	v_mov_b32_e32 v56, 0
	v_cmp_ne_u32_e32 vcc, 0, v2
	s_and_saveexec_b64 s[38:39], vcc
	s_cbranch_execz .LBB2_7920
; %bb.7913:                             ;   in Loop: Header=BB2_7586 Depth=3
	v_bfe_u32 v9, v2, 23, 8
	v_cmp_gt_u32_e64 s[40:41], s46, v9
	v_sub_u32_e32 v2, 0x71, v9
	v_cmp_eq_u32_e32 vcc, 0, v9
	v_cndmask_b32_e64 v2, 0, v2, s[40:41]
	v_mov_b32_e32 v4, 0x70
	v_cndmask_b32_e32 v32, v2, v4, vcc
	v_add_u32_e32 v4, 21, v32
	v_or_b32_e32 v3, 0x800000, v28
	v_lshlrev_b64 v[38:39], v4, -1
	v_cndmask_b32_e32 v2, v3, v28, vcc
	v_mov_b32_e32 v3, v29
	v_add_u32_e32 v4, 20, v32
	v_bfi_b32 v38, v38, 0, v2
	v_lshlrev_b64 v[55:56], v4, 1
	v_lshrrev_b64 v[2:3], v32, v[2:3]
	v_bfi_b32 v39, v39, 0, 0
	v_cmp_eq_u64_e64 s[40:41], v[38:39], v[55:56]
	v_mov_b32_e32 v4, v3
	v_mov_b32_e32 v3, v2
	s_and_saveexec_b64 s[48:49], s[40:41]
; %bb.7914:                             ;   in Loop: Header=BB2_7586 Depth=3
	v_bfe_u32 v3, v2, 21, 1
	v_add_co_u32_e64 v3, s[40:41], v2, v3
	v_add_co_u32_e64 v3, s[40:41], -1, v3
; %bb.7915:                             ;   in Loop: Header=BB2_7586 Depth=3
	s_or_b64 exec, exec, s[48:49]
	v_add_u32_e32 v4, 0xffffff81, v9
	v_cndmask_b32_e32 v4, v4, v1, vcc
	v_lshrrev_b32_e32 v9, 23, v2
	v_add3_u32 v32, v32, v4, v9
	v_add_u32_e32 v9, 14, v32
	v_and_b32_e32 v3, 0x1fffff, v3
	v_add_u32_e32 v28, v3, v2
	v_cmp_ne_u32_e32 vcc, 0, v9
                                        ; implicit-def: $vgpr2_vgpr3
                                        ; implicit-def: $vgpr4
	s_and_saveexec_b64 s[40:41], vcc
	s_xor_b64 s[40:41], exec, s[40:41]
; %bb.7916:                             ;   in Loop: Header=BB2_7586 Depth=3
	v_cmp_lt_u64_e32 vcc, s[88:89], v[28:29]
	v_add_u32_e32 v2, 15, v32
	v_cndmask_b32_e32 v4, v9, v2, vcc
	v_cndmask_b32_e64 v2, 0, 1, vcc
	v_lshrrev_b64 v[2:3], v2, v[28:29]
; %bb.7917:                             ;   in Loop: Header=BB2_7586 Depth=3
	s_andn2_saveexec_b64 s[40:41], s[40:41]
; %bb.7918:                             ;   in Loop: Header=BB2_7586 Depth=3
	v_mov_b32_e32 v2, v28
	v_mov_b32_e32 v3, v29
	v_bfe_u32 v4, v28, 23, 1
; %bb.7919:                             ;   in Loop: Header=BB2_7586 Depth=3
	s_or_b64 exec, exec, s[40:41]
	v_lshrrev_b64 v[2:3], 21, v[2:3]
	v_cmp_gt_i32_e32 vcc, 32, v4
	v_cndmask_b32_e32 v3, 0, v3, vcc
	v_cndmask_b32_e32 v2, 3, v2, vcc
	v_cmp_eq_u64_e64 s[40:41], 0, v[2:3]
	v_min_i32_e32 v3, 31, v4
	v_lshlrev_b32_e32 v3, 2, v3
	v_cmp_eq_u32_e32 vcc, 0, v4
	v_and_b32_e32 v3, 0xfc, v3
	v_and_or_b32 v2, v2, 3, v3
	s_and_b64 s[40:41], vcc, s[40:41]
	v_cndmask_b32_e64 v2, v2, 0, s[40:41]
	v_or_b32_e32 v56, v2, v8
.LBB2_7920:                             ;   in Loop: Header=BB2_7586 Depth=3
	s_or_b64 exec, exec, s[38:39]
                                        ; implicit-def: $vgpr8
.LBB2_7921:                             ;   in Loop: Header=BB2_7586 Depth=3
	s_andn2_saveexec_b64 s[40:41], s[36:37]
; %bb.7922:                             ;   in Loop: Header=BB2_7586 Depth=3
	v_or_b32_e32 v56, 0x7b, v8
; %bb.7923:                             ;   in Loop: Header=BB2_7586 Depth=3
	s_or_b64 exec, exec, s[40:41]
                                        ; implicit-def: $vgpr2
.LBB2_7924:                             ;   in Loop: Header=BB2_7586 Depth=3
	s_andn2_saveexec_b64 s[40:41], s[42:43]
	s_cbranch_execz .LBB2_7930
; %bb.7925:                             ;   in Loop: Header=BB2_7586 Depth=3
	v_cmp_ne_u64_e32 vcc, 0, v[28:29]
                                        ; implicit-def: $vgpr56
	s_and_saveexec_b64 s[42:43], vcc
	s_xor_b64 s[42:43], exec, s[42:43]
; %bb.7926:                             ;   in Loop: Header=BB2_7586 Depth=3
	v_or_b32_sdwa v56, v2, s47 dst_sel:DWORD dst_unused:UNUSED_PAD src0_sel:BYTE_3 src1_sel:DWORD
                                        ; implicit-def: $vgpr2
; %bb.7927:                             ;   in Loop: Header=BB2_7586 Depth=3
	s_andn2_saveexec_b64 s[42:43], s[42:43]
; %bb.7928:                             ;   in Loop: Header=BB2_7586 Depth=3
	v_cmp_lt_i32_e32 vcc, -1, v2
	v_cndmask_b32_e32 v56, v6, v22, vcc
; %bb.7929:                             ;   in Loop: Header=BB2_7586 Depth=3
	s_or_b64 exec, exec, s[42:43]
.LBB2_7930:                             ;   in Loop: Header=BB2_7586 Depth=3
	s_or_b64 exec, exec, s[40:41]
	v_mov_b32_e32 v28, v11
	v_cmp_ne_u16_sdwa s[42:43], v11, v29 src0_sel:BYTE_0 src1_sel:DWORD
	v_mov_b32_e32 v2, 0
	s_and_saveexec_b64 s[40:41], s[42:43]
	s_cbranch_execz .LBB2_7938
; %bb.7931:                             ;   in Loop: Header=BB2_7586 Depth=3
	v_cmp_ne_u16_sdwa vcc, v11, s96 src0_sel:BYTE_0 src1_sel:DWORD
	v_bfrev_b32_e32 v2, 1
	s_and_saveexec_b64 s[42:43], vcc
	s_cbranch_execz .LBB2_7937
; %bb.7932:                             ;   in Loop: Header=BB2_7586 Depth=3
	v_and_b32_e32 v2, 0x7c, v11
	v_and_b32_e32 v3, 3, v11
	v_cmp_ne_u32_e32 vcc, s85, v2
                                        ; implicit-def: $vgpr2
	s_and_saveexec_b64 s[36:37], vcc
	s_xor_b64 s[36:37], exec, s[36:37]
	s_cbranch_execz .LBB2_7934
; %bb.7933:                             ;   in Loop: Header=BB2_7586 Depth=3
	v_ffbh_u32_e32 v4, v3
	v_min_u32_e32 v4, 32, v4
	v_bfe_u32 v2, v11, 2, 5
	v_subrev_u32_e32 v8, 29, v4
	v_lshlrev_b64 v[8:9], v8, v[28:29]
	v_sub_u32_e32 v4, 30, v4
	v_cmp_eq_u32_e32 vcc, 0, v2
	v_cndmask_b32_e32 v2, v2, v4, vcc
	v_lshlrev_b32_e32 v4, 24, v11
	v_and_b32_e32 v8, 3, v8
	v_and_b32_e32 v4, 0x80000000, v4
	v_cndmask_b32_e32 v3, v3, v8, vcc
	v_lshl_add_u32 v2, v2, 23, v4
	v_lshl_or_b32 v2, v3, 21, v2
	v_add_u32_e32 v2, 0x38000000, v2
                                        ; implicit-def: $vgpr3
.LBB2_7934:                             ;   in Loop: Header=BB2_7586 Depth=3
	s_andn2_saveexec_b64 s[36:37], s[36:37]
; %bb.7935:                             ;   in Loop: Header=BB2_7586 Depth=3
	v_cmp_gt_i16_sdwa vcc, sext(v11), v48 src0_sel:BYTE_0 src1_sel:DWORD
	v_cndmask_b32_e32 v2, v7, v0, vcc
	v_cmp_eq_u32_e32 vcc, 0, v3
	v_cndmask_b32_e32 v2, v35, v2, vcc
; %bb.7936:                             ;   in Loop: Header=BB2_7586 Depth=3
	s_or_b64 exec, exec, s[36:37]
.LBB2_7937:                             ;   in Loop: Header=BB2_7586 Depth=3
	s_or_b64 exec, exec, s[42:43]
.LBB2_7938:                             ;   in Loop: Header=BB2_7586 Depth=3
	s_or_b64 exec, exec, s[40:41]
	v_mul_f32_e32 v4, v23, v2
	v_and_b32_e32 v8, 0x7f800000, v4
	v_mov_b32_e32 v9, v29
	v_cmp_ne_u64_e32 vcc, s[76:77], v[8:9]
	v_and_b32_e32 v2, 0x7fffff, v4
	v_mov_b32_e32 v3, v29
                                        ; implicit-def: $vgpr32
	s_and_saveexec_b64 s[40:41], vcc
	s_xor_b64 s[42:43], exec, s[40:41]
	s_cbranch_execz .LBB2_7952
; %bb.7939:                             ;   in Loop: Header=BB2_7586 Depth=3
	v_and_b32_e32 v8, 0x7fffffff, v4
	v_mov_b32_e32 v9, v29
	v_cmp_gt_u64_e32 vcc, s[78:79], v[8:9]
	v_and_b32_sdwa v8, v4, s96 dst_sel:DWORD dst_unused:UNUSED_PAD src0_sel:BYTE_3 src1_sel:DWORD
                                        ; implicit-def: $vgpr32
	s_and_saveexec_b64 s[40:41], vcc
	s_xor_b64 s[36:37], exec, s[40:41]
	s_cbranch_execz .LBB2_7949
; %bb.7940:                             ;   in Loop: Header=BB2_7586 Depth=3
	v_mov_b32_e32 v32, 0
	v_cmp_ne_u32_e32 vcc, 0, v4
	s_and_saveexec_b64 s[38:39], vcc
	s_cbranch_execz .LBB2_7948
; %bb.7941:                             ;   in Loop: Header=BB2_7586 Depth=3
	v_bfe_u32 v9, v4, 23, 8
	v_cmp_gt_u32_e64 s[40:41], s46, v9
	v_sub_u32_e32 v4, 0x71, v9
	v_cmp_eq_u32_e32 vcc, 0, v9
	v_cndmask_b32_e64 v4, 0, v4, s[40:41]
	v_mov_b32_e32 v32, 0x70
	v_cndmask_b32_e32 v32, v4, v32, vcc
	v_add_u32_e32 v4, 21, v32
	v_or_b32_e32 v30, 0x800000, v2
	v_lshlrev_b64 v[38:39], v4, -1
	v_cndmask_b32_e32 v2, v30, v2, vcc
	v_add_u32_e32 v4, 20, v32
	v_bfi_b32 v38, v38, 0, v2
	v_lshlrev_b64 v[59:60], v4, 1
	v_lshrrev_b64 v[2:3], v32, v[2:3]
	v_bfi_b32 v39, v39, 0, 0
	v_cmp_eq_u64_e64 s[40:41], v[38:39], v[59:60]
	v_mov_b32_e32 v4, v3
	v_mov_b32_e32 v3, v2
	s_and_saveexec_b64 s[48:49], s[40:41]
; %bb.7942:                             ;   in Loop: Header=BB2_7586 Depth=3
	v_bfe_u32 v3, v2, 21, 1
	v_add_co_u32_e64 v3, s[40:41], v2, v3
	v_add_co_u32_e64 v3, s[40:41], -1, v3
; %bb.7943:                             ;   in Loop: Header=BB2_7586 Depth=3
	s_or_b64 exec, exec, s[48:49]
	v_add_u32_e32 v4, 0xffffff81, v9
	v_cndmask_b32_e32 v4, v4, v1, vcc
	v_lshrrev_b32_e32 v9, 23, v2
	v_add3_u32 v32, v32, v4, v9
	v_add_u32_e32 v9, 14, v32
	v_and_b32_e32 v3, 0x1fffff, v3
	v_add_u32_e32 v2, v3, v2
	v_mov_b32_e32 v3, v29
	v_cmp_ne_u32_e32 vcc, 0, v9
                                        ; implicit-def: $vgpr4
	s_and_saveexec_b64 s[40:41], vcc
	s_xor_b64 s[40:41], exec, s[40:41]
; %bb.7944:                             ;   in Loop: Header=BB2_7586 Depth=3
	v_cmp_lt_u64_e32 vcc, s[88:89], v[2:3]
	v_add_u32_e32 v4, 15, v32
	v_cndmask_b32_e32 v4, v9, v4, vcc
	v_cndmask_b32_e64 v9, 0, 1, vcc
	v_lshrrev_b64 v[2:3], v9, v[2:3]
; %bb.7945:                             ;   in Loop: Header=BB2_7586 Depth=3
	s_andn2_saveexec_b64 s[40:41], s[40:41]
; %bb.7946:                             ;   in Loop: Header=BB2_7586 Depth=3
	v_bfe_u32 v4, v2, 23, 1
; %bb.7947:                             ;   in Loop: Header=BB2_7586 Depth=3
	s_or_b64 exec, exec, s[40:41]
	v_lshrrev_b64 v[2:3], 21, v[2:3]
	v_cmp_gt_i32_e32 vcc, 32, v4
	v_cndmask_b32_e32 v3, 0, v3, vcc
	v_cndmask_b32_e32 v2, 3, v2, vcc
	v_cmp_eq_u64_e64 s[40:41], 0, v[2:3]
	v_min_i32_e32 v3, 31, v4
	v_lshlrev_b32_e32 v3, 2, v3
	v_cmp_eq_u32_e32 vcc, 0, v4
	v_and_b32_e32 v3, 0xfc, v3
	v_and_or_b32 v2, v2, 3, v3
	s_and_b64 s[40:41], vcc, s[40:41]
	v_cndmask_b32_e64 v2, v2, 0, s[40:41]
	v_or_b32_e32 v32, v2, v8
.LBB2_7948:                             ;   in Loop: Header=BB2_7586 Depth=3
	s_or_b64 exec, exec, s[38:39]
                                        ; implicit-def: $vgpr8
.LBB2_7949:                             ;   in Loop: Header=BB2_7586 Depth=3
	s_andn2_saveexec_b64 s[40:41], s[36:37]
; %bb.7950:                             ;   in Loop: Header=BB2_7586 Depth=3
	v_or_b32_e32 v32, 0x7b, v8
; %bb.7951:                             ;   in Loop: Header=BB2_7586 Depth=3
	s_or_b64 exec, exec, s[40:41]
                                        ; implicit-def: $vgpr4
                                        ; implicit-def: $vgpr2_vgpr3
.LBB2_7952:                             ;   in Loop: Header=BB2_7586 Depth=3
	s_andn2_saveexec_b64 s[40:41], s[42:43]
	s_cbranch_execz .LBB2_7958
; %bb.7953:                             ;   in Loop: Header=BB2_7586 Depth=3
	v_cmp_ne_u64_e32 vcc, 0, v[2:3]
                                        ; implicit-def: $vgpr32
	s_and_saveexec_b64 s[42:43], vcc
	s_xor_b64 s[42:43], exec, s[42:43]
; %bb.7954:                             ;   in Loop: Header=BB2_7586 Depth=3
	v_or_b32_sdwa v32, v4, s47 dst_sel:DWORD dst_unused:UNUSED_PAD src0_sel:BYTE_3 src1_sel:DWORD
                                        ; implicit-def: $vgpr4
; %bb.7955:                             ;   in Loop: Header=BB2_7586 Depth=3
	s_andn2_saveexec_b64 s[42:43], s[42:43]
; %bb.7956:                             ;   in Loop: Header=BB2_7586 Depth=3
	v_cmp_lt_i32_e32 vcc, -1, v4
	v_cndmask_b32_e32 v32, v6, v22, vcc
; %bb.7957:                             ;   in Loop: Header=BB2_7586 Depth=3
	s_or_b64 exec, exec, s[42:43]
.LBB2_7958:                             ;   in Loop: Header=BB2_7586 Depth=3
	s_or_b64 exec, exec, s[40:41]
	v_lshrrev_b16_e32 v2, 8, v28
	v_cmp_ne_u16_e32 vcc, 0, v2
	v_mov_b32_e32 v3, 0
	s_and_saveexec_b64 s[40:41], vcc
	s_cbranch_execz .LBB2_7966
; %bb.7959:                             ;   in Loop: Header=BB2_7586 Depth=3
	v_cmp_ne_u16_e32 vcc, s96, v2
	v_bfrev_b32_e32 v3, 1
	s_and_saveexec_b64 s[42:43], vcc
	s_cbranch_execz .LBB2_7965
; %bb.7960:                             ;   in Loop: Header=BB2_7586 Depth=3
	v_and_b32_e32 v3, 0x7c, v2
	v_and_b32_e32 v4, 3, v2
	v_cmp_ne_u32_e32 vcc, s85, v3
                                        ; implicit-def: $vgpr3
	s_and_saveexec_b64 s[36:37], vcc
	s_xor_b64 s[36:37], exec, s[36:37]
	s_cbranch_execz .LBB2_7962
; %bb.7961:                             ;   in Loop: Header=BB2_7586 Depth=3
	v_ffbh_u32_e32 v9, v4
	v_min_u32_e32 v9, 32, v9
	v_mov_b32_e32 v3, v29
	v_subrev_u32_e32 v30, 29, v9
	v_bfe_u32 v8, v2, 2, 5
	v_lshlrev_b64 v[2:3], v30, v[2:3]
	v_cmp_eq_u32_e32 vcc, 0, v8
	v_and_b32_e32 v2, 3, v2
	v_sub_u32_e32 v3, 30, v9
	v_cndmask_b32_e32 v2, v4, v2, vcc
	v_lshlrev_b32_e32 v4, 16, v28
	v_cndmask_b32_e32 v3, v8, v3, vcc
	v_and_b32_e32 v4, 0x80000000, v4
	v_lshl_add_u32 v3, v3, 23, v4
	v_lshl_or_b32 v2, v2, 21, v3
	v_add_u32_e32 v3, 0x38000000, v2
                                        ; implicit-def: $vgpr4
.LBB2_7962:                             ;   in Loop: Header=BB2_7586 Depth=3
	s_andn2_saveexec_b64 s[36:37], s[36:37]
; %bb.7963:                             ;   in Loop: Header=BB2_7586 Depth=3
	v_cmp_lt_i16_e32 vcc, -1, v28
	v_cndmask_b32_e32 v2, v7, v0, vcc
	v_cmp_eq_u32_e32 vcc, 0, v4
	v_cndmask_b32_e32 v3, v35, v2, vcc
; %bb.7964:                             ;   in Loop: Header=BB2_7586 Depth=3
	s_or_b64 exec, exec, s[36:37]
.LBB2_7965:                             ;   in Loop: Header=BB2_7586 Depth=3
	s_or_b64 exec, exec, s[42:43]
.LBB2_7966:                             ;   in Loop: Header=BB2_7586 Depth=3
	s_or_b64 exec, exec, s[40:41]
	v_mul_f32_e32 v2, v23, v3
	v_and_b32_e32 v3, 0x7f800000, v2
	v_mov_b32_e32 v4, v29
	v_cmp_ne_u64_e32 vcc, s[76:77], v[3:4]
	v_and_b32_e32 v28, 0x7fffff, v2
                                        ; implicit-def: $vgpr51
	s_and_saveexec_b64 s[40:41], vcc
	s_xor_b64 s[42:43], exec, s[40:41]
	s_cbranch_execz .LBB2_7980
; %bb.7967:                             ;   in Loop: Header=BB2_7586 Depth=3
	v_and_b32_e32 v3, 0x7fffffff, v2
	v_mov_b32_e32 v4, v29
	v_cmp_gt_u64_e32 vcc, s[78:79], v[3:4]
	v_and_b32_sdwa v8, v2, s96 dst_sel:DWORD dst_unused:UNUSED_PAD src0_sel:BYTE_3 src1_sel:DWORD
                                        ; implicit-def: $vgpr51
	s_and_saveexec_b64 s[40:41], vcc
	s_xor_b64 s[36:37], exec, s[40:41]
	s_cbranch_execz .LBB2_7977
; %bb.7968:                             ;   in Loop: Header=BB2_7586 Depth=3
	v_mov_b32_e32 v51, 0
	v_cmp_ne_u32_e32 vcc, 0, v2
	s_and_saveexec_b64 s[38:39], vcc
	s_cbranch_execz .LBB2_7976
; %bb.7969:                             ;   in Loop: Header=BB2_7586 Depth=3
	v_bfe_u32 v9, v2, 23, 8
	v_cmp_gt_u32_e64 s[40:41], s46, v9
	v_sub_u32_e32 v2, 0x71, v9
	v_cmp_eq_u32_e32 vcc, 0, v9
	v_cndmask_b32_e64 v2, 0, v2, s[40:41]
	v_mov_b32_e32 v4, 0x70
	v_cndmask_b32_e32 v49, v2, v4, vcc
	v_add_u32_e32 v4, 21, v49
	v_or_b32_e32 v3, 0x800000, v28
	v_lshlrev_b64 v[38:39], v4, -1
	v_cndmask_b32_e32 v2, v3, v28, vcc
	v_mov_b32_e32 v3, v29
	v_add_u32_e32 v4, 20, v49
	v_bfi_b32 v38, v38, 0, v2
	v_lshlrev_b64 v[59:60], v4, 1
	v_lshrrev_b64 v[2:3], v49, v[2:3]
	v_bfi_b32 v39, v39, 0, 0
	v_cmp_eq_u64_e64 s[40:41], v[38:39], v[59:60]
	v_mov_b32_e32 v4, v3
	v_mov_b32_e32 v3, v2
	s_and_saveexec_b64 s[48:49], s[40:41]
; %bb.7970:                             ;   in Loop: Header=BB2_7586 Depth=3
	v_bfe_u32 v3, v2, 21, 1
	v_add_co_u32_e64 v3, s[40:41], v2, v3
	v_add_co_u32_e64 v3, s[40:41], -1, v3
; %bb.7971:                             ;   in Loop: Header=BB2_7586 Depth=3
	s_or_b64 exec, exec, s[48:49]
	v_add_u32_e32 v4, 0xffffff81, v9
	v_cndmask_b32_e32 v4, v4, v1, vcc
	v_lshrrev_b32_e32 v9, 23, v2
	v_add3_u32 v49, v49, v4, v9
	v_add_u32_e32 v9, 14, v49
	v_and_b32_e32 v3, 0x1fffff, v3
	v_add_u32_e32 v28, v3, v2
	v_cmp_ne_u32_e32 vcc, 0, v9
                                        ; implicit-def: $vgpr2_vgpr3
                                        ; implicit-def: $vgpr4
	s_and_saveexec_b64 s[40:41], vcc
	s_xor_b64 s[40:41], exec, s[40:41]
; %bb.7972:                             ;   in Loop: Header=BB2_7586 Depth=3
	v_cmp_lt_u64_e32 vcc, s[88:89], v[28:29]
	v_add_u32_e32 v2, 15, v49
	v_cndmask_b32_e32 v4, v9, v2, vcc
	v_cndmask_b32_e64 v2, 0, 1, vcc
	v_lshrrev_b64 v[2:3], v2, v[28:29]
; %bb.7973:                             ;   in Loop: Header=BB2_7586 Depth=3
	s_andn2_saveexec_b64 s[40:41], s[40:41]
; %bb.7974:                             ;   in Loop: Header=BB2_7586 Depth=3
	v_mov_b32_e32 v2, v28
	v_mov_b32_e32 v3, v29
	v_bfe_u32 v4, v28, 23, 1
; %bb.7975:                             ;   in Loop: Header=BB2_7586 Depth=3
	s_or_b64 exec, exec, s[40:41]
	v_lshrrev_b64 v[2:3], 21, v[2:3]
	v_cmp_gt_i32_e32 vcc, 32, v4
	v_cndmask_b32_e32 v3, 0, v3, vcc
	v_cndmask_b32_e32 v2, 3, v2, vcc
	v_cmp_eq_u64_e64 s[40:41], 0, v[2:3]
	v_min_i32_e32 v3, 31, v4
	v_lshlrev_b32_e32 v3, 2, v3
	v_cmp_eq_u32_e32 vcc, 0, v4
	v_and_b32_e32 v3, 0xfc, v3
	v_and_or_b32 v2, v2, 3, v3
	s_and_b64 s[40:41], vcc, s[40:41]
	v_cndmask_b32_e64 v2, v2, 0, s[40:41]
	v_or_b32_e32 v51, v2, v8
.LBB2_7976:                             ;   in Loop: Header=BB2_7586 Depth=3
	s_or_b64 exec, exec, s[38:39]
                                        ; implicit-def: $vgpr8
.LBB2_7977:                             ;   in Loop: Header=BB2_7586 Depth=3
	s_andn2_saveexec_b64 s[40:41], s[36:37]
; %bb.7978:                             ;   in Loop: Header=BB2_7586 Depth=3
	v_or_b32_e32 v51, 0x7b, v8
; %bb.7979:                             ;   in Loop: Header=BB2_7586 Depth=3
	s_or_b64 exec, exec, s[40:41]
                                        ; implicit-def: $vgpr2
.LBB2_7980:                             ;   in Loop: Header=BB2_7586 Depth=3
	s_andn2_saveexec_b64 s[40:41], s[42:43]
	s_cbranch_execz .LBB2_7986
; %bb.7981:                             ;   in Loop: Header=BB2_7586 Depth=3
	v_cmp_ne_u64_e32 vcc, 0, v[28:29]
                                        ; implicit-def: $vgpr51
	s_and_saveexec_b64 s[42:43], vcc
	s_xor_b64 s[42:43], exec, s[42:43]
; %bb.7982:                             ;   in Loop: Header=BB2_7586 Depth=3
	v_or_b32_sdwa v51, v2, s47 dst_sel:DWORD dst_unused:UNUSED_PAD src0_sel:BYTE_3 src1_sel:DWORD
                                        ; implicit-def: $vgpr2
; %bb.7983:                             ;   in Loop: Header=BB2_7586 Depth=3
	s_andn2_saveexec_b64 s[42:43], s[42:43]
; %bb.7984:                             ;   in Loop: Header=BB2_7586 Depth=3
	v_cmp_lt_i32_e32 vcc, -1, v2
	v_cndmask_b32_e32 v51, v6, v22, vcc
; %bb.7985:                             ;   in Loop: Header=BB2_7586 Depth=3
	s_or_b64 exec, exec, s[42:43]
.LBB2_7986:                             ;   in Loop: Header=BB2_7586 Depth=3
	s_or_b64 exec, exec, s[40:41]
	v_lshrrev_b32_e32 v2, 16, v11
	v_cmp_ne_u16_sdwa s[42:43], v2, v29 src0_sel:BYTE_0 src1_sel:DWORD
	v_mov_b32_e32 v3, 0
	s_and_saveexec_b64 s[40:41], s[42:43]
	s_cbranch_execz .LBB2_7994
; %bb.7987:                             ;   in Loop: Header=BB2_7586 Depth=3
	v_cmp_ne_u16_sdwa vcc, v2, s96 src0_sel:BYTE_0 src1_sel:DWORD
	v_bfrev_b32_e32 v3, 1
	s_and_saveexec_b64 s[42:43], vcc
	s_cbranch_execz .LBB2_7993
; %bb.7988:                             ;   in Loop: Header=BB2_7586 Depth=3
	v_and_b32_e32 v3, 0x7c0000, v11
	v_bfe_u32 v4, v11, 16, 2
	v_cmp_ne_u32_e32 vcc, s44, v3
                                        ; implicit-def: $vgpr3
	s_and_saveexec_b64 s[36:37], vcc
	s_xor_b64 s[36:37], exec, s[36:37]
	s_cbranch_execz .LBB2_7990
; %bb.7989:                             ;   in Loop: Header=BB2_7586 Depth=3
	v_ffbh_u32_e32 v3, v4
	v_min_u32_e32 v9, 32, v3
	v_subrev_u32_e32 v3, 29, v9
	v_lshlrev_b64 v[2:3], v3, v[2:3]
	v_bfe_u32 v8, v11, 18, 5
	v_and_b32_e32 v2, 3, v2
	v_cmp_eq_u32_e32 vcc, 0, v8
	v_sub_u32_e32 v3, 30, v9
	v_cndmask_b32_e32 v2, v4, v2, vcc
	v_lshlrev_b32_e32 v4, 8, v11
	v_cndmask_b32_e32 v3, v8, v3, vcc
	v_and_b32_e32 v4, 0x80000000, v4
	v_lshl_add_u32 v3, v3, 23, v4
	v_lshl_or_b32 v2, v2, 21, v3
	v_add_u32_e32 v3, 0x38000000, v2
                                        ; implicit-def: $vgpr4
                                        ; implicit-def: $vgpr2
.LBB2_7990:                             ;   in Loop: Header=BB2_7586 Depth=3
	s_andn2_saveexec_b64 s[36:37], s[36:37]
; %bb.7991:                             ;   in Loop: Header=BB2_7586 Depth=3
	v_cmp_gt_i16_sdwa vcc, sext(v2), v48 src0_sel:BYTE_0 src1_sel:DWORD
	v_cndmask_b32_e32 v2, v7, v0, vcc
	v_cmp_eq_u32_e32 vcc, 0, v4
	v_cndmask_b32_e32 v3, v35, v2, vcc
; %bb.7992:                             ;   in Loop: Header=BB2_7586 Depth=3
	s_or_b64 exec, exec, s[36:37]
.LBB2_7993:                             ;   in Loop: Header=BB2_7586 Depth=3
	s_or_b64 exec, exec, s[42:43]
.LBB2_7994:                             ;   in Loop: Header=BB2_7586 Depth=3
	s_or_b64 exec, exec, s[40:41]
	v_mul_f32_e32 v2, v23, v3
	v_and_b32_e32 v3, 0x7f800000, v2
	v_mov_b32_e32 v4, v29
	v_cmp_ne_u64_e32 vcc, s[76:77], v[3:4]
	v_and_b32_e32 v28, 0x7fffff, v2
                                        ; implicit-def: $vgpr53
	s_and_saveexec_b64 s[40:41], vcc
	s_xor_b64 s[42:43], exec, s[40:41]
	s_cbranch_execz .LBB2_8008
; %bb.7995:                             ;   in Loop: Header=BB2_7586 Depth=3
	v_and_b32_e32 v3, 0x7fffffff, v2
	v_mov_b32_e32 v4, v29
	v_cmp_gt_u64_e32 vcc, s[78:79], v[3:4]
	v_and_b32_sdwa v8, v2, s96 dst_sel:DWORD dst_unused:UNUSED_PAD src0_sel:BYTE_3 src1_sel:DWORD
                                        ; implicit-def: $vgpr53
	s_and_saveexec_b64 s[40:41], vcc
	s_xor_b64 s[36:37], exec, s[40:41]
	s_cbranch_execz .LBB2_8005
; %bb.7996:                             ;   in Loop: Header=BB2_7586 Depth=3
	v_mov_b32_e32 v53, 0
	v_cmp_ne_u32_e32 vcc, 0, v2
	s_and_saveexec_b64 s[38:39], vcc
	s_cbranch_execz .LBB2_8004
; %bb.7997:                             ;   in Loop: Header=BB2_7586 Depth=3
	v_bfe_u32 v9, v2, 23, 8
	v_cmp_gt_u32_e64 s[40:41], s46, v9
	v_sub_u32_e32 v2, 0x71, v9
	v_cmp_eq_u32_e32 vcc, 0, v9
	v_cndmask_b32_e64 v2, 0, v2, s[40:41]
	v_mov_b32_e32 v4, 0x70
	v_cndmask_b32_e32 v49, v2, v4, vcc
	v_add_u32_e32 v4, 21, v49
	v_or_b32_e32 v3, 0x800000, v28
	v_lshlrev_b64 v[38:39], v4, -1
	v_cndmask_b32_e32 v2, v3, v28, vcc
	v_mov_b32_e32 v3, v29
	v_add_u32_e32 v4, 20, v49
	v_bfi_b32 v38, v38, 0, v2
	v_lshlrev_b64 v[59:60], v4, 1
	v_lshrrev_b64 v[2:3], v49, v[2:3]
	v_bfi_b32 v39, v39, 0, 0
	v_cmp_eq_u64_e64 s[40:41], v[38:39], v[59:60]
	v_mov_b32_e32 v4, v3
	v_mov_b32_e32 v3, v2
	s_and_saveexec_b64 s[48:49], s[40:41]
; %bb.7998:                             ;   in Loop: Header=BB2_7586 Depth=3
	v_bfe_u32 v3, v2, 21, 1
	v_add_co_u32_e64 v3, s[40:41], v2, v3
	v_add_co_u32_e64 v3, s[40:41], -1, v3
; %bb.7999:                             ;   in Loop: Header=BB2_7586 Depth=3
	s_or_b64 exec, exec, s[48:49]
	v_add_u32_e32 v4, 0xffffff81, v9
	v_cndmask_b32_e32 v4, v4, v1, vcc
	v_lshrrev_b32_e32 v9, 23, v2
	v_add3_u32 v49, v49, v4, v9
	v_add_u32_e32 v9, 14, v49
	v_and_b32_e32 v3, 0x1fffff, v3
	v_add_u32_e32 v28, v3, v2
	v_cmp_ne_u32_e32 vcc, 0, v9
                                        ; implicit-def: $vgpr2_vgpr3
                                        ; implicit-def: $vgpr4
	s_and_saveexec_b64 s[40:41], vcc
	s_xor_b64 s[40:41], exec, s[40:41]
; %bb.8000:                             ;   in Loop: Header=BB2_7586 Depth=3
	v_cmp_lt_u64_e32 vcc, s[88:89], v[28:29]
	v_add_u32_e32 v2, 15, v49
	v_cndmask_b32_e32 v4, v9, v2, vcc
	v_cndmask_b32_e64 v2, 0, 1, vcc
	v_lshrrev_b64 v[2:3], v2, v[28:29]
; %bb.8001:                             ;   in Loop: Header=BB2_7586 Depth=3
	s_andn2_saveexec_b64 s[40:41], s[40:41]
; %bb.8002:                             ;   in Loop: Header=BB2_7586 Depth=3
	v_mov_b32_e32 v2, v28
	v_mov_b32_e32 v3, v29
	v_bfe_u32 v4, v28, 23, 1
; %bb.8003:                             ;   in Loop: Header=BB2_7586 Depth=3
	s_or_b64 exec, exec, s[40:41]
	v_lshrrev_b64 v[2:3], 21, v[2:3]
	v_cmp_gt_i32_e32 vcc, 32, v4
	v_cndmask_b32_e32 v3, 0, v3, vcc
	v_cndmask_b32_e32 v2, 3, v2, vcc
	v_cmp_eq_u64_e64 s[40:41], 0, v[2:3]
	v_min_i32_e32 v3, 31, v4
	v_lshlrev_b32_e32 v3, 2, v3
	v_cmp_eq_u32_e32 vcc, 0, v4
	v_and_b32_e32 v3, 0xfc, v3
	v_and_or_b32 v2, v2, 3, v3
	s_and_b64 s[40:41], vcc, s[40:41]
	v_cndmask_b32_e64 v2, v2, 0, s[40:41]
	v_or_b32_e32 v53, v2, v8
.LBB2_8004:                             ;   in Loop: Header=BB2_7586 Depth=3
	s_or_b64 exec, exec, s[38:39]
                                        ; implicit-def: $vgpr8
.LBB2_8005:                             ;   in Loop: Header=BB2_7586 Depth=3
	s_andn2_saveexec_b64 s[40:41], s[36:37]
; %bb.8006:                             ;   in Loop: Header=BB2_7586 Depth=3
	v_or_b32_e32 v53, 0x7b, v8
; %bb.8007:                             ;   in Loop: Header=BB2_7586 Depth=3
	s_or_b64 exec, exec, s[40:41]
                                        ; implicit-def: $vgpr2
.LBB2_8008:                             ;   in Loop: Header=BB2_7586 Depth=3
	s_andn2_saveexec_b64 s[40:41], s[42:43]
	s_cbranch_execz .LBB2_8014
; %bb.8009:                             ;   in Loop: Header=BB2_7586 Depth=3
	v_cmp_ne_u64_e32 vcc, 0, v[28:29]
                                        ; implicit-def: $vgpr53
	s_and_saveexec_b64 s[42:43], vcc
	s_xor_b64 s[42:43], exec, s[42:43]
; %bb.8010:                             ;   in Loop: Header=BB2_7586 Depth=3
	v_or_b32_sdwa v53, v2, s47 dst_sel:DWORD dst_unused:UNUSED_PAD src0_sel:BYTE_3 src1_sel:DWORD
                                        ; implicit-def: $vgpr2
; %bb.8011:                             ;   in Loop: Header=BB2_7586 Depth=3
	s_andn2_saveexec_b64 s[42:43], s[42:43]
; %bb.8012:                             ;   in Loop: Header=BB2_7586 Depth=3
	v_cmp_lt_i32_e32 vcc, -1, v2
	v_cndmask_b32_e32 v53, v6, v22, vcc
; %bb.8013:                             ;   in Loop: Header=BB2_7586 Depth=3
	s_or_b64 exec, exec, s[42:43]
.LBB2_8014:                             ;   in Loop: Header=BB2_7586 Depth=3
	s_or_b64 exec, exec, s[40:41]
	v_cmp_lt_u64_e32 vcc, s[56:57], v[10:11]
	v_mov_b32_e32 v3, 0
	s_and_saveexec_b64 s[40:41], vcc
	s_cbranch_execz .LBB2_8022
; %bb.8015:                             ;   in Loop: Header=BB2_7586 Depth=3
	v_lshrrev_b32_e32 v2, 24, v11
	v_cmp_ne_u32_e32 vcc, s96, v2
	v_bfrev_b32_e32 v3, 1
	s_and_saveexec_b64 s[42:43], vcc
	s_cbranch_execz .LBB2_8021
; %bb.8016:                             ;   in Loop: Header=BB2_7586 Depth=3
	v_and_b32_e32 v3, 0x7c000000, v11
	v_bfe_u32 v4, v11, 24, 2
	v_cmp_ne_u32_e32 vcc, s45, v3
                                        ; implicit-def: $vgpr3
	s_and_saveexec_b64 s[36:37], vcc
	s_xor_b64 s[36:37], exec, s[36:37]
	s_cbranch_execz .LBB2_8018
; %bb.8017:                             ;   in Loop: Header=BB2_7586 Depth=3
	v_ffbh_u32_e32 v3, v4
	v_min_u32_e32 v9, 32, v3
	v_subrev_u32_e32 v3, 29, v9
	v_lshlrev_b64 v[2:3], v3, v[2:3]
	v_bfe_u32 v8, v11, 26, 5
	v_sub_u32_e32 v3, 30, v9
	v_and_b32_e32 v2, 3, v2
	v_cmp_eq_u32_e32 vcc, 0, v8
	v_cndmask_b32_e32 v3, v8, v3, vcc
	v_cndmask_b32_e32 v2, v4, v2, vcc
	v_and_b32_e32 v4, 0x80000000, v11
	v_lshl_add_u32 v3, v3, 23, v4
	v_lshl_or_b32 v2, v2, 21, v3
	v_add_u32_e32 v3, 0x38000000, v2
                                        ; implicit-def: $vgpr4
                                        ; implicit-def: $vgpr10_vgpr11
.LBB2_8018:                             ;   in Loop: Header=BB2_7586 Depth=3
	s_andn2_saveexec_b64 s[36:37], s[36:37]
; %bb.8019:                             ;   in Loop: Header=BB2_7586 Depth=3
	v_cmp_lt_i64_e32 vcc, -1, v[10:11]
	v_cndmask_b32_e32 v2, v7, v0, vcc
	v_cmp_eq_u32_e32 vcc, 0, v4
	v_cndmask_b32_e32 v3, v35, v2, vcc
; %bb.8020:                             ;   in Loop: Header=BB2_7586 Depth=3
	s_or_b64 exec, exec, s[36:37]
.LBB2_8021:                             ;   in Loop: Header=BB2_7586 Depth=3
	s_or_b64 exec, exec, s[42:43]
.LBB2_8022:                             ;   in Loop: Header=BB2_7586 Depth=3
	s_or_b64 exec, exec, s[40:41]
	v_mul_f32_e32 v2, v23, v3
	v_and_b32_e32 v3, 0x7f800000, v2
	v_mov_b32_e32 v4, v29
	v_cmp_ne_u64_e32 vcc, s[76:77], v[3:4]
	v_and_b32_e32 v28, 0x7fffff, v2
                                        ; implicit-def: $vgpr55
	s_and_saveexec_b64 s[40:41], vcc
	s_xor_b64 s[42:43], exec, s[40:41]
	s_cbranch_execz .LBB2_8036
; %bb.8023:                             ;   in Loop: Header=BB2_7586 Depth=3
	v_and_b32_e32 v3, 0x7fffffff, v2
	v_mov_b32_e32 v4, v29
	v_cmp_gt_u64_e32 vcc, s[78:79], v[3:4]
	v_and_b32_sdwa v8, v2, s96 dst_sel:DWORD dst_unused:UNUSED_PAD src0_sel:BYTE_3 src1_sel:DWORD
                                        ; implicit-def: $vgpr55
	s_and_saveexec_b64 s[40:41], vcc
	s_xor_b64 s[36:37], exec, s[40:41]
	s_cbranch_execz .LBB2_8033
; %bb.8024:                             ;   in Loop: Header=BB2_7586 Depth=3
	v_mov_b32_e32 v55, 0
	v_cmp_ne_u32_e32 vcc, 0, v2
	s_and_saveexec_b64 s[38:39], vcc
	s_cbranch_execz .LBB2_8032
; %bb.8025:                             ;   in Loop: Header=BB2_7586 Depth=3
	v_bfe_u32 v9, v2, 23, 8
	v_cmp_gt_u32_e64 s[40:41], s46, v9
	v_sub_u32_e32 v2, 0x71, v9
	v_cmp_eq_u32_e32 vcc, 0, v9
	v_cndmask_b32_e64 v2, 0, v2, s[40:41]
	v_mov_b32_e32 v4, 0x70
	v_cndmask_b32_e32 v10, v2, v4, vcc
	v_add_u32_e32 v4, 21, v10
	v_or_b32_e32 v3, 0x800000, v28
	v_lshlrev_b64 v[38:39], v4, -1
	v_cndmask_b32_e32 v2, v3, v28, vcc
	v_mov_b32_e32 v3, v29
	v_add_u32_e32 v4, 20, v10
	v_bfi_b32 v38, v38, 0, v2
	v_lshlrev_b64 v[59:60], v4, 1
	v_lshrrev_b64 v[2:3], v10, v[2:3]
	v_bfi_b32 v39, v39, 0, 0
	v_cmp_eq_u64_e64 s[40:41], v[38:39], v[59:60]
	v_mov_b32_e32 v4, v3
	v_mov_b32_e32 v3, v2
	s_and_saveexec_b64 s[48:49], s[40:41]
; %bb.8026:                             ;   in Loop: Header=BB2_7586 Depth=3
	v_bfe_u32 v3, v2, 21, 1
	v_add_co_u32_e64 v3, s[40:41], v2, v3
	v_add_co_u32_e64 v3, s[40:41], -1, v3
; %bb.8027:                             ;   in Loop: Header=BB2_7586 Depth=3
	s_or_b64 exec, exec, s[48:49]
	v_add_u32_e32 v4, 0xffffff81, v9
	v_cndmask_b32_e32 v4, v4, v1, vcc
	v_lshrrev_b32_e32 v9, 23, v2
	v_add3_u32 v10, v10, v4, v9
	v_add_u32_e32 v9, 14, v10
	v_and_b32_e32 v3, 0x1fffff, v3
	v_add_u32_e32 v28, v3, v2
	v_cmp_ne_u32_e32 vcc, 0, v9
                                        ; implicit-def: $vgpr2_vgpr3
                                        ; implicit-def: $vgpr4
	s_and_saveexec_b64 s[40:41], vcc
	s_xor_b64 s[40:41], exec, s[40:41]
; %bb.8028:                             ;   in Loop: Header=BB2_7586 Depth=3
	v_cmp_lt_u64_e32 vcc, s[88:89], v[28:29]
	v_add_u32_e32 v2, 15, v10
	v_cndmask_b32_e32 v4, v9, v2, vcc
	v_cndmask_b32_e64 v2, 0, 1, vcc
	v_lshrrev_b64 v[2:3], v2, v[28:29]
; %bb.8029:                             ;   in Loop: Header=BB2_7586 Depth=3
	s_andn2_saveexec_b64 s[40:41], s[40:41]
; %bb.8030:                             ;   in Loop: Header=BB2_7586 Depth=3
	v_mov_b32_e32 v2, v28
	v_mov_b32_e32 v3, v29
	v_bfe_u32 v4, v28, 23, 1
; %bb.8031:                             ;   in Loop: Header=BB2_7586 Depth=3
	s_or_b64 exec, exec, s[40:41]
	v_lshrrev_b64 v[2:3], 21, v[2:3]
	v_cmp_gt_i32_e32 vcc, 32, v4
	v_cndmask_b32_e32 v3, 0, v3, vcc
	v_cndmask_b32_e32 v2, 3, v2, vcc
	v_cmp_eq_u64_e64 s[40:41], 0, v[2:3]
	v_min_i32_e32 v3, 31, v4
	v_lshlrev_b32_e32 v3, 2, v3
	v_cmp_eq_u32_e32 vcc, 0, v4
	v_and_b32_e32 v3, 0xfc, v3
	v_and_or_b32 v2, v2, 3, v3
	s_and_b64 s[40:41], vcc, s[40:41]
	v_cndmask_b32_e64 v2, v2, 0, s[40:41]
	v_or_b32_e32 v55, v2, v8
.LBB2_8032:                             ;   in Loop: Header=BB2_7586 Depth=3
	s_or_b64 exec, exec, s[38:39]
                                        ; implicit-def: $vgpr8
.LBB2_8033:                             ;   in Loop: Header=BB2_7586 Depth=3
	s_andn2_saveexec_b64 s[40:41], s[36:37]
; %bb.8034:                             ;   in Loop: Header=BB2_7586 Depth=3
	v_or_b32_e32 v55, 0x7b, v8
; %bb.8035:                             ;   in Loop: Header=BB2_7586 Depth=3
	s_or_b64 exec, exec, s[40:41]
                                        ; implicit-def: $vgpr2
.LBB2_8036:                             ;   in Loop: Header=BB2_7586 Depth=3
	s_andn2_saveexec_b64 s[40:41], s[42:43]
	s_cbranch_execz .LBB2_8042
; %bb.8037:                             ;   in Loop: Header=BB2_7586 Depth=3
	v_cmp_ne_u64_e32 vcc, 0, v[28:29]
                                        ; implicit-def: $vgpr55
	s_and_saveexec_b64 s[42:43], vcc
	s_xor_b64 s[42:43], exec, s[42:43]
; %bb.8038:                             ;   in Loop: Header=BB2_7586 Depth=3
	v_or_b32_sdwa v55, v2, s47 dst_sel:DWORD dst_unused:UNUSED_PAD src0_sel:BYTE_3 src1_sel:DWORD
                                        ; implicit-def: $vgpr2
; %bb.8039:                             ;   in Loop: Header=BB2_7586 Depth=3
	s_andn2_saveexec_b64 s[42:43], s[42:43]
; %bb.8040:                             ;   in Loop: Header=BB2_7586 Depth=3
	v_cmp_lt_i32_e32 vcc, -1, v2
	v_cndmask_b32_e32 v55, v6, v22, vcc
; %bb.8041:                             ;   in Loop: Header=BB2_7586 Depth=3
	s_or_b64 exec, exec, s[42:43]
.LBB2_8042:                             ;   in Loop: Header=BB2_7586 Depth=3
	s_or_b64 exec, exec, s[40:41]
	global_load_dwordx4 v[8:11], v[42:43], off glc slc
	v_lshl_or_b32 v33, v33, 8, v14
	v_lshlrev_b32_e32 v2, 16, v52
	v_lshlrev_b32_e32 v3, 24, v46
	v_or3_b32 v28, v2, v3, v33
	v_cmp_ne_u32_e32 vcc, 0, v14
	v_mov_b32_e32 v2, 0
	s_and_saveexec_b64 s[42:43], vcc
	s_cbranch_execz .LBB2_8050
; %bb.8043:                             ;   in Loop: Header=BB2_7586 Depth=3
	v_cmp_ne_u32_e32 vcc, s96, v14
	v_bfrev_b32_e32 v2, 1
	s_and_saveexec_b64 s[36:37], vcc
	s_cbranch_execz .LBB2_8049
; %bb.8044:                             ;   in Loop: Header=BB2_7586 Depth=3
	v_and_b32_e32 v2, 0x7c, v14
	v_and_b32_e32 v3, 3, v14
	v_cmp_ne_u32_e32 vcc, s85, v2
                                        ; implicit-def: $vgpr2
	s_and_saveexec_b64 s[40:41], vcc
	s_xor_b64 s[40:41], exec, s[40:41]
	s_cbranch_execz .LBB2_8046
; %bb.8045:                             ;   in Loop: Header=BB2_7586 Depth=3
	v_ffbh_u32_e32 v4, v3
	v_min_u32_e32 v4, 32, v4
	v_bfe_u32 v2, v14, 2, 5
	v_subrev_u32_e32 v23, 29, v4
	v_lshlrev_b64 v[38:39], v23, v[28:29]
	v_sub_u32_e32 v4, 30, v4
	v_cmp_eq_u32_e32 vcc, 0, v2
	v_cndmask_b32_e32 v2, v2, v4, vcc
	v_lshlrev_b32_e32 v4, 24, v14
	v_and_b32_e32 v23, 3, v38
	v_and_b32_e32 v4, 0x80000000, v4
	v_cndmask_b32_e32 v3, v3, v23, vcc
	v_lshl_add_u32 v2, v2, 23, v4
	v_lshl_or_b32 v2, v3, 21, v2
	v_add_u32_e32 v2, 0x38000000, v2
                                        ; implicit-def: $vgpr3
                                        ; implicit-def: $vgpr14
.LBB2_8046:                             ;   in Loop: Header=BB2_7586 Depth=3
	s_andn2_saveexec_b64 s[38:39], s[40:41]
; %bb.8047:                             ;   in Loop: Header=BB2_7586 Depth=3
	v_and_b32_e32 v2, 0x80, v14
	v_cmp_eq_u32_e64 s[40:41], 0, v2
	v_cmp_eq_u32_e32 vcc, 0, v3
	v_cndmask_b32_e64 v2, v7, v0, s[40:41]
	v_cndmask_b32_e32 v2, v35, v2, vcc
; %bb.8048:                             ;   in Loop: Header=BB2_7586 Depth=3
	s_or_b64 exec, exec, s[38:39]
.LBB2_8049:                             ;   in Loop: Header=BB2_7586 Depth=3
	s_or_b64 exec, exec, s[36:37]
.LBB2_8050:                             ;   in Loop: Header=BB2_7586 Depth=3
	s_or_b64 exec, exec, s[42:43]
	s_waitcnt vmcnt(0)
	v_cmp_gt_i16_sdwa s[42:43], v8, s47 src0_sel:BYTE_0 src1_sel:DWORD
	s_mov_b64 s[40:41], 0
	s_and_saveexec_b64 vcc, s[42:43]
	s_xor_b64 s[42:43], exec, vcc
	s_cbranch_execz .LBB2_8565
; %bb.8051:                             ;   in Loop: Header=BB2_7586 Depth=3
	v_cmp_eq_u16_sdwa s[36:37], v8, s96 src0_sel:BYTE_0 src1_sel:DWORD
	s_mov_b64 s[40:41], -1
	s_and_saveexec_b64 vcc, s[36:37]
; %bb.8052:                             ;   in Loop: Header=BB2_7586 Depth=3
	s_xor_b64 s[40:41], exec, -1
; %bb.8053:                             ;   in Loop: Header=BB2_7586 Depth=3
	s_or_b64 exec, exec, vcc
	s_and_b64 s[40:41], s[40:41], exec
	s_or_saveexec_b64 s[42:43], s[42:43]
	v_bfrev_b32_e32 v3, 1
	s_xor_b64 exec, exec, s[42:43]
	s_cbranch_execnz .LBB2_8566
.LBB2_8054:                             ;   in Loop: Header=BB2_7586 Depth=3
	s_or_b64 exec, exec, s[42:43]
	s_and_saveexec_b64 s[36:37], s[40:41]
	s_cbranch_execz .LBB2_8056
.LBB2_8055:                             ;   in Loop: Header=BB2_7586 Depth=3
	v_and_b32_e32 v14, 3, v8
	v_and_b32_e32 v3, 0x7c, v8
	v_cmp_eq_u32_e32 vcc, s85, v3
	v_ffbh_u32_e32 v3, v14
	v_min_u32_e32 v30, 32, v3
	v_subrev_u32_e32 v3, 29, v30
	v_bfe_u32 v23, v8, 2, 5
	v_lshlrev_b64 v[3:4], v3, v[8:9]
	v_cmp_eq_u32_e64 s[40:41], 0, v23
	v_sub_u32_e32 v4, 30, v30
	v_cndmask_b32_e64 v4, v23, v4, s[40:41]
	v_lshlrev_b32_e32 v23, 24, v8
	v_and_b32_e32 v3, 3, v3
	v_and_b32_e32 v23, 0x80000000, v23
	v_cndmask_b32_e64 v3, v14, v3, s[40:41]
	v_lshl_add_u32 v4, v4, 23, v23
	v_cmp_gt_i16_sdwa s[42:43], sext(v8), v48 src0_sel:BYTE_0 src1_sel:DWORD
	v_lshl_or_b32 v3, v3, 21, v4
	v_cmp_eq_u32_e64 s[40:41], 0, v14
	v_cndmask_b32_e64 v4, v7, v0, s[42:43]
	v_add_u32_e32 v3, 0x38000000, v3
	v_cndmask_b32_e64 v4, v35, v4, s[40:41]
	v_cndmask_b32_e32 v3, v3, v4, vcc
.LBB2_8056:                             ;   in Loop: Header=BB2_7586 Depth=3
	s_or_b64 exec, exec, s[36:37]
	v_add_f32_e32 v4, v2, v3
	v_and_b32_e32 v38, 0x7f800000, v4
	v_mov_b32_e32 v39, v29
	v_cmp_ne_u64_e32 vcc, s[76:77], v[38:39]
	v_and_b32_e32 v2, 0x7fffff, v4
	v_mov_b32_e32 v3, v29
                                        ; implicit-def: $vgpr23
	s_and_saveexec_b64 s[40:41], vcc
	s_xor_b64 s[42:43], exec, s[40:41]
	s_cbranch_execz .LBB2_8070
; %bb.8057:                             ;   in Loop: Header=BB2_7586 Depth=3
	v_and_b32_e32 v38, 0x7fffffff, v4
	v_mov_b32_e32 v39, v29
	v_cmp_gt_u64_e32 vcc, s[78:79], v[38:39]
	v_and_b32_sdwa v14, v4, s96 dst_sel:DWORD dst_unused:UNUSED_PAD src0_sel:BYTE_3 src1_sel:DWORD
                                        ; implicit-def: $vgpr23
	s_and_saveexec_b64 s[40:41], vcc
	s_xor_b64 s[36:37], exec, s[40:41]
	s_cbranch_execz .LBB2_8067
; %bb.8058:                             ;   in Loop: Header=BB2_7586 Depth=3
	v_mov_b32_e32 v23, 0
	v_cmp_ne_u32_e32 vcc, 0, v4
	s_and_saveexec_b64 s[38:39], vcc
	s_cbranch_execz .LBB2_8066
; %bb.8059:                             ;   in Loop: Header=BB2_7586 Depth=3
	v_bfe_u32 v23, v4, 23, 8
	v_cmp_gt_u32_e64 s[40:41], s46, v23
	v_sub_u32_e32 v4, 0x71, v23
	v_cmp_eq_u32_e32 vcc, 0, v23
	v_cndmask_b32_e64 v4, 0, v4, s[40:41]
	v_mov_b32_e32 v38, 0x70
	v_cndmask_b32_e32 v49, v4, v38, vcc
	v_add_u32_e32 v4, 21, v49
	v_or_b32_e32 v30, 0x800000, v2
	v_lshlrev_b64 v[38:39], v4, -1
	v_cndmask_b32_e32 v2, v30, v2, vcc
	v_add_u32_e32 v4, 20, v49
	v_bfi_b32 v38, v38, 0, v2
	v_lshlrev_b64 v[59:60], v4, 1
	v_lshrrev_b64 v[2:3], v49, v[2:3]
	v_bfi_b32 v39, v39, 0, 0
	v_cmp_eq_u64_e64 s[40:41], v[38:39], v[59:60]
	v_mov_b32_e32 v4, v3
	v_mov_b32_e32 v3, v2
	s_and_saveexec_b64 s[48:49], s[40:41]
; %bb.8060:                             ;   in Loop: Header=BB2_7586 Depth=3
	v_bfe_u32 v3, v2, 21, 1
	v_add_co_u32_e64 v3, s[40:41], v2, v3
	v_add_co_u32_e64 v3, s[40:41], -1, v3
; %bb.8061:                             ;   in Loop: Header=BB2_7586 Depth=3
	s_or_b64 exec, exec, s[48:49]
	v_add_u32_e32 v4, 0xffffff81, v23
	v_cndmask_b32_e32 v4, v4, v1, vcc
	v_lshrrev_b32_e32 v23, 23, v2
	v_add3_u32 v49, v49, v4, v23
	v_add_u32_e32 v23, 14, v49
	v_and_b32_e32 v3, 0x1fffff, v3
	v_add_u32_e32 v2, v3, v2
	v_mov_b32_e32 v3, v29
	v_cmp_ne_u32_e32 vcc, 0, v23
                                        ; implicit-def: $vgpr4
	s_and_saveexec_b64 s[40:41], vcc
	s_xor_b64 s[40:41], exec, s[40:41]
; %bb.8062:                             ;   in Loop: Header=BB2_7586 Depth=3
	v_cmp_lt_u64_e32 vcc, s[88:89], v[2:3]
	v_add_u32_e32 v4, 15, v49
	v_cndmask_b32_e32 v4, v23, v4, vcc
	v_cndmask_b32_e64 v23, 0, 1, vcc
	v_lshrrev_b64 v[2:3], v23, v[2:3]
; %bb.8063:                             ;   in Loop: Header=BB2_7586 Depth=3
	s_andn2_saveexec_b64 s[40:41], s[40:41]
; %bb.8064:                             ;   in Loop: Header=BB2_7586 Depth=3
	v_bfe_u32 v4, v2, 23, 1
; %bb.8065:                             ;   in Loop: Header=BB2_7586 Depth=3
	s_or_b64 exec, exec, s[40:41]
	v_lshrrev_b64 v[2:3], 21, v[2:3]
	v_cmp_gt_i32_e32 vcc, 32, v4
	v_cndmask_b32_e32 v3, 0, v3, vcc
	v_cndmask_b32_e32 v2, 3, v2, vcc
	v_cmp_eq_u64_e64 s[40:41], 0, v[2:3]
	v_min_i32_e32 v3, 31, v4
	v_lshlrev_b32_e32 v3, 2, v3
	v_cmp_eq_u32_e32 vcc, 0, v4
	v_and_b32_e32 v3, 0xfc, v3
	v_and_or_b32 v2, v2, 3, v3
	s_and_b64 s[40:41], vcc, s[40:41]
	v_cndmask_b32_e64 v2, v2, 0, s[40:41]
	v_or_b32_e32 v23, v2, v14
.LBB2_8066:                             ;   in Loop: Header=BB2_7586 Depth=3
	s_or_b64 exec, exec, s[38:39]
                                        ; implicit-def: $vgpr14
.LBB2_8067:                             ;   in Loop: Header=BB2_7586 Depth=3
	s_andn2_saveexec_b64 s[40:41], s[36:37]
; %bb.8068:                             ;   in Loop: Header=BB2_7586 Depth=3
	v_or_b32_e32 v23, 0x7b, v14
; %bb.8069:                             ;   in Loop: Header=BB2_7586 Depth=3
	s_or_b64 exec, exec, s[40:41]
                                        ; implicit-def: $vgpr4
                                        ; implicit-def: $vgpr2_vgpr3
.LBB2_8070:                             ;   in Loop: Header=BB2_7586 Depth=3
	s_andn2_saveexec_b64 s[40:41], s[42:43]
	s_cbranch_execz .LBB2_8076
; %bb.8071:                             ;   in Loop: Header=BB2_7586 Depth=3
	v_cmp_ne_u64_e32 vcc, 0, v[2:3]
                                        ; implicit-def: $vgpr23
	s_and_saveexec_b64 s[42:43], vcc
	s_xor_b64 s[42:43], exec, s[42:43]
; %bb.8072:                             ;   in Loop: Header=BB2_7586 Depth=3
	v_or_b32_sdwa v23, v4, s47 dst_sel:DWORD dst_unused:UNUSED_PAD src0_sel:BYTE_3 src1_sel:DWORD
                                        ; implicit-def: $vgpr4
; %bb.8073:                             ;   in Loop: Header=BB2_7586 Depth=3
	s_andn2_saveexec_b64 s[42:43], s[42:43]
; %bb.8074:                             ;   in Loop: Header=BB2_7586 Depth=3
	v_cmp_lt_i32_e32 vcc, -1, v4
	v_cndmask_b32_e32 v23, v6, v22, vcc
; %bb.8075:                             ;   in Loop: Header=BB2_7586 Depth=3
	s_or_b64 exec, exec, s[42:43]
.LBB2_8076:                             ;   in Loop: Header=BB2_7586 Depth=3
	s_or_b64 exec, exec, s[40:41]
	v_lshrrev_b16_e32 v2, 8, v33
	v_cmp_ne_u16_e32 vcc, 0, v2
	v_mov_b32_e32 v4, 0
	s_and_saveexec_b64 s[40:41], vcc
	s_cbranch_execz .LBB2_8084
; %bb.8077:                             ;   in Loop: Header=BB2_7586 Depth=3
	v_cmp_ne_u16_e32 vcc, s96, v2
	v_bfrev_b32_e32 v4, 1
	s_and_saveexec_b64 s[42:43], vcc
	s_cbranch_execz .LBB2_8083
; %bb.8078:                             ;   in Loop: Header=BB2_7586 Depth=3
	v_and_b32_e32 v3, 0x7c, v2
	v_and_b32_e32 v14, 3, v2
	v_cmp_ne_u32_e32 vcc, s85, v3
                                        ; implicit-def: $vgpr4
	s_and_saveexec_b64 s[36:37], vcc
	s_xor_b64 s[36:37], exec, s[36:37]
	s_cbranch_execz .LBB2_8080
; %bb.8079:                             ;   in Loop: Header=BB2_7586 Depth=3
	v_ffbh_u32_e32 v30, v14
	v_min_u32_e32 v30, 32, v30
	v_mov_b32_e32 v3, v29
	v_subrev_u32_e32 v38, 29, v30
	v_bfe_u32 v4, v2, 2, 5
	v_lshlrev_b64 v[2:3], v38, v[2:3]
	v_sub_u32_e32 v3, 30, v30
	v_cmp_eq_u32_e32 vcc, 0, v4
	v_cndmask_b32_e32 v3, v4, v3, vcc
	v_lshlrev_b32_e32 v4, 16, v33
	v_and_b32_e32 v2, 3, v2
	v_and_b32_e32 v4, 0x80000000, v4
	v_cndmask_b32_e32 v2, v14, v2, vcc
	v_lshl_add_u32 v3, v3, 23, v4
	v_lshl_or_b32 v2, v2, 21, v3
	v_add_u32_e32 v4, 0x38000000, v2
                                        ; implicit-def: $vgpr14
                                        ; implicit-def: $vgpr33
.LBB2_8080:                             ;   in Loop: Header=BB2_7586 Depth=3
	s_andn2_saveexec_b64 s[36:37], s[36:37]
; %bb.8081:                             ;   in Loop: Header=BB2_7586 Depth=3
	v_cmp_lt_i16_e32 vcc, -1, v33
	v_cndmask_b32_e32 v2, v7, v0, vcc
	v_cmp_eq_u32_e32 vcc, 0, v14
	v_cndmask_b32_e32 v4, v35, v2, vcc
; %bb.8082:                             ;   in Loop: Header=BB2_7586 Depth=3
	s_or_b64 exec, exec, s[36:37]
.LBB2_8083:                             ;   in Loop: Header=BB2_7586 Depth=3
	s_or_b64 exec, exec, s[42:43]
.LBB2_8084:                             ;   in Loop: Header=BB2_7586 Depth=3
	s_or_b64 exec, exec, s[40:41]
	v_lshrrev_b16_e32 v2, 8, v8
	v_cmp_lt_i16_e32 vcc, s47, v2
	s_mov_b64 s[40:41], 0
	s_and_saveexec_b64 s[42:43], vcc
	s_xor_b64 s[42:43], exec, s[42:43]
	s_cbranch_execz .LBB2_8567
; %bb.8085:                             ;   in Loop: Header=BB2_7586 Depth=3
	v_cmp_eq_u16_e32 vcc, s96, v2
	s_mov_b64 s[40:41], -1
	s_and_saveexec_b64 s[36:37], vcc
; %bb.8086:                             ;   in Loop: Header=BB2_7586 Depth=3
	s_xor_b64 s[40:41], exec, -1
; %bb.8087:                             ;   in Loop: Header=BB2_7586 Depth=3
	s_or_b64 exec, exec, s[36:37]
	s_and_b64 s[40:41], s[40:41], exec
	s_or_saveexec_b64 s[42:43], s[42:43]
	v_bfrev_b32_e32 v3, 1
	s_xor_b64 exec, exec, s[42:43]
	s_cbranch_execnz .LBB2_8568
.LBB2_8088:                             ;   in Loop: Header=BB2_7586 Depth=3
	s_or_b64 exec, exec, s[42:43]
	s_and_saveexec_b64 s[36:37], s[40:41]
	s_cbranch_execz .LBB2_8090
.LBB2_8089:                             ;   in Loop: Header=BB2_7586 Depth=3
	v_and_b32_e32 v14, 3, v2
	v_and_b32_e32 v33, 0x7c, v2
	v_cmp_eq_u32_e32 vcc, s85, v33
	v_ffbh_u32_e32 v33, v14
	v_min_u32_e32 v33, 32, v33
	v_mov_b32_e32 v3, v29
	v_subrev_u32_e32 v38, 29, v33
	v_bfe_u32 v30, v2, 2, 5
	v_lshlrev_b64 v[38:39], v38, v[2:3]
	v_cmp_eq_u32_e64 s[40:41], 0, v30
	v_sub_u32_e32 v3, 30, v33
	v_lshlrev_b32_e32 v2, 24, v2
	v_and_b32_e32 v33, 3, v38
	v_cndmask_b32_e64 v3, v30, v3, s[40:41]
	v_and_b32_e32 v2, 0x80000000, v2
	v_cndmask_b32_e64 v30, v14, v33, s[40:41]
	v_lshl_add_u32 v2, v3, 23, v2
	v_cmp_lt_i16_e64 s[42:43], -1, v8
	v_lshl_or_b32 v2, v30, 21, v2
	v_cmp_eq_u32_e64 s[40:41], 0, v14
	v_cndmask_b32_e64 v3, v7, v0, s[42:43]
	v_add_u32_e32 v2, 0x38000000, v2
	v_cndmask_b32_e64 v3, v35, v3, s[40:41]
	v_cndmask_b32_e32 v3, v2, v3, vcc
.LBB2_8090:                             ;   in Loop: Header=BB2_7586 Depth=3
	s_or_b64 exec, exec, s[36:37]
	v_add_f32_e32 v4, v4, v3
	v_and_b32_e32 v38, 0x7f800000, v4
	v_mov_b32_e32 v39, v29
	v_cmp_ne_u64_e32 vcc, s[76:77], v[38:39]
	v_and_b32_e32 v2, 0x7fffff, v4
	v_mov_b32_e32 v3, v29
                                        ; implicit-def: $vgpr33
	s_and_saveexec_b64 s[40:41], vcc
	s_xor_b64 s[42:43], exec, s[40:41]
	s_cbranch_execz .LBB2_8104
; %bb.8091:                             ;   in Loop: Header=BB2_7586 Depth=3
	v_and_b32_e32 v38, 0x7fffffff, v4
	v_mov_b32_e32 v39, v29
	v_cmp_gt_u64_e32 vcc, s[78:79], v[38:39]
	v_and_b32_sdwa v14, v4, s96 dst_sel:DWORD dst_unused:UNUSED_PAD src0_sel:BYTE_3 src1_sel:DWORD
                                        ; implicit-def: $vgpr33
	s_and_saveexec_b64 s[40:41], vcc
	s_xor_b64 s[36:37], exec, s[40:41]
	s_cbranch_execz .LBB2_8101
; %bb.8092:                             ;   in Loop: Header=BB2_7586 Depth=3
	v_mov_b32_e32 v33, 0
	v_cmp_ne_u32_e32 vcc, 0, v4
	s_and_saveexec_b64 s[38:39], vcc
	s_cbranch_execz .LBB2_8100
; %bb.8093:                             ;   in Loop: Header=BB2_7586 Depth=3
	v_bfe_u32 v33, v4, 23, 8
	v_cmp_gt_u32_e64 s[40:41], s46, v33
	v_sub_u32_e32 v4, 0x71, v33
	v_cmp_eq_u32_e32 vcc, 0, v33
	v_cndmask_b32_e64 v4, 0, v4, s[40:41]
	v_mov_b32_e32 v38, 0x70
	v_cndmask_b32_e32 v49, v4, v38, vcc
	v_add_u32_e32 v4, 21, v49
	v_or_b32_e32 v30, 0x800000, v2
	v_lshlrev_b64 v[38:39], v4, -1
	v_cndmask_b32_e32 v2, v30, v2, vcc
	v_add_u32_e32 v4, 20, v49
	v_bfi_b32 v38, v38, 0, v2
	v_lshlrev_b64 v[59:60], v4, 1
	v_lshrrev_b64 v[2:3], v49, v[2:3]
	v_bfi_b32 v39, v39, 0, 0
	v_cmp_eq_u64_e64 s[40:41], v[38:39], v[59:60]
	v_mov_b32_e32 v4, v3
	v_mov_b32_e32 v3, v2
	s_and_saveexec_b64 s[48:49], s[40:41]
; %bb.8094:                             ;   in Loop: Header=BB2_7586 Depth=3
	v_bfe_u32 v3, v2, 21, 1
	v_add_co_u32_e64 v3, s[40:41], v2, v3
	v_add_co_u32_e64 v3, s[40:41], -1, v3
; %bb.8095:                             ;   in Loop: Header=BB2_7586 Depth=3
	s_or_b64 exec, exec, s[48:49]
	v_add_u32_e32 v4, 0xffffff81, v33
	v_cndmask_b32_e32 v4, v4, v1, vcc
	v_lshrrev_b32_e32 v30, 23, v2
	v_add3_u32 v49, v49, v4, v30
	v_add_u32_e32 v33, 14, v49
	v_and_b32_e32 v3, 0x1fffff, v3
	v_add_u32_e32 v2, v3, v2
	v_mov_b32_e32 v3, v29
	v_cmp_ne_u32_e32 vcc, 0, v33
                                        ; implicit-def: $vgpr4
	s_and_saveexec_b64 s[40:41], vcc
	s_xor_b64 s[40:41], exec, s[40:41]
; %bb.8096:                             ;   in Loop: Header=BB2_7586 Depth=3
	v_cmp_lt_u64_e32 vcc, s[88:89], v[2:3]
	v_add_u32_e32 v4, 15, v49
	v_cndmask_b32_e64 v30, 0, 1, vcc
	v_cndmask_b32_e32 v4, v33, v4, vcc
	v_lshrrev_b64 v[2:3], v30, v[2:3]
; %bb.8097:                             ;   in Loop: Header=BB2_7586 Depth=3
	s_andn2_saveexec_b64 s[40:41], s[40:41]
; %bb.8098:                             ;   in Loop: Header=BB2_7586 Depth=3
	v_bfe_u32 v4, v2, 23, 1
; %bb.8099:                             ;   in Loop: Header=BB2_7586 Depth=3
	s_or_b64 exec, exec, s[40:41]
	v_lshrrev_b64 v[2:3], 21, v[2:3]
	v_cmp_gt_i32_e32 vcc, 32, v4
	v_cndmask_b32_e32 v3, 0, v3, vcc
	v_cndmask_b32_e32 v2, 3, v2, vcc
	v_cmp_eq_u64_e64 s[40:41], 0, v[2:3]
	v_min_i32_e32 v3, 31, v4
	v_lshlrev_b32_e32 v3, 2, v3
	v_cmp_eq_u32_e32 vcc, 0, v4
	v_and_b32_e32 v3, 0xfc, v3
	v_and_or_b32 v2, v2, 3, v3
	s_and_b64 s[40:41], vcc, s[40:41]
	v_cndmask_b32_e64 v2, v2, 0, s[40:41]
	v_or_b32_e32 v33, v2, v14
.LBB2_8100:                             ;   in Loop: Header=BB2_7586 Depth=3
	s_or_b64 exec, exec, s[38:39]
                                        ; implicit-def: $vgpr14
.LBB2_8101:                             ;   in Loop: Header=BB2_7586 Depth=3
	s_andn2_saveexec_b64 s[40:41], s[36:37]
; %bb.8102:                             ;   in Loop: Header=BB2_7586 Depth=3
	v_or_b32_e32 v33, 0x7b, v14
; %bb.8103:                             ;   in Loop: Header=BB2_7586 Depth=3
	s_or_b64 exec, exec, s[40:41]
                                        ; implicit-def: $vgpr4
                                        ; implicit-def: $vgpr2_vgpr3
.LBB2_8104:                             ;   in Loop: Header=BB2_7586 Depth=3
	s_andn2_saveexec_b64 s[40:41], s[42:43]
	s_cbranch_execz .LBB2_8110
; %bb.8105:                             ;   in Loop: Header=BB2_7586 Depth=3
	v_cmp_ne_u64_e32 vcc, 0, v[2:3]
                                        ; implicit-def: $vgpr33
	s_and_saveexec_b64 s[42:43], vcc
	s_xor_b64 s[42:43], exec, s[42:43]
; %bb.8106:                             ;   in Loop: Header=BB2_7586 Depth=3
	v_or_b32_sdwa v33, v4, s47 dst_sel:DWORD dst_unused:UNUSED_PAD src0_sel:BYTE_3 src1_sel:DWORD
                                        ; implicit-def: $vgpr4
; %bb.8107:                             ;   in Loop: Header=BB2_7586 Depth=3
	s_andn2_saveexec_b64 s[42:43], s[42:43]
; %bb.8108:                             ;   in Loop: Header=BB2_7586 Depth=3
	v_cmp_lt_i32_e32 vcc, -1, v4
	v_cndmask_b32_e32 v33, v6, v22, vcc
; %bb.8109:                             ;   in Loop: Header=BB2_7586 Depth=3
	s_or_b64 exec, exec, s[42:43]
.LBB2_8110:                             ;   in Loop: Header=BB2_7586 Depth=3
	s_or_b64 exec, exec, s[40:41]
	v_and_b32_sdwa v4, v28, s87 dst_sel:DWORD dst_unused:UNUSED_PAD src0_sel:WORD_1 src1_sel:DWORD
	v_lshrrev_b32_e32 v2, 16, v28
	v_cmp_ne_u16_e32 vcc, 0, v4
	v_mov_b32_e32 v3, 0
	s_and_saveexec_b64 s[40:41], vcc
	s_cbranch_execz .LBB2_8118
; %bb.8111:                             ;   in Loop: Header=BB2_7586 Depth=3
	v_cmp_ne_u16_e32 vcc, s96, v4
	v_bfrev_b32_e32 v3, 1
	s_and_saveexec_b64 s[42:43], vcc
	s_cbranch_execz .LBB2_8117
; %bb.8112:                             ;   in Loop: Header=BB2_7586 Depth=3
	v_and_b32_e32 v3, 0x7c0000, v28
	v_bfe_u32 v4, v28, 16, 2
	v_cmp_ne_u32_e32 vcc, s44, v3
                                        ; implicit-def: $vgpr3
	s_and_saveexec_b64 s[36:37], vcc
	s_xor_b64 s[36:37], exec, s[36:37]
	s_cbranch_execz .LBB2_8114
; %bb.8113:                             ;   in Loop: Header=BB2_7586 Depth=3
	v_ffbh_u32_e32 v3, v4
	v_min_u32_e32 v30, 32, v3
	v_lshrrev_b32_e32 v2, 16, v28
	v_subrev_u32_e32 v3, 29, v30
	v_lshlrev_b64 v[2:3], v3, v[2:3]
	v_bfe_u32 v14, v28, 18, 5
	v_and_b32_e32 v2, 3, v2
	v_cmp_eq_u32_e32 vcc, 0, v14
	v_sub_u32_e32 v3, 30, v30
	v_cndmask_b32_e32 v2, v4, v2, vcc
	v_lshlrev_b32_e32 v4, 8, v28
	v_cndmask_b32_e32 v3, v14, v3, vcc
	v_and_b32_e32 v4, 0x80000000, v4
	v_lshl_add_u32 v3, v3, 23, v4
	v_lshl_or_b32 v2, v2, 21, v3
	v_add_u32_e32 v3, 0x38000000, v2
                                        ; implicit-def: $vgpr4
                                        ; implicit-def: $vgpr2
.LBB2_8114:                             ;   in Loop: Header=BB2_7586 Depth=3
	s_andn2_saveexec_b64 s[36:37], s[36:37]
; %bb.8115:                             ;   in Loop: Header=BB2_7586 Depth=3
	v_cmp_gt_i16_sdwa vcc, sext(v2), v48 src0_sel:BYTE_0 src1_sel:DWORD
	v_cndmask_b32_e32 v2, v7, v0, vcc
	v_cmp_eq_u32_e32 vcc, 0, v4
	v_cndmask_b32_e32 v3, v35, v2, vcc
; %bb.8116:                             ;   in Loop: Header=BB2_7586 Depth=3
	s_or_b64 exec, exec, s[36:37]
.LBB2_8117:                             ;   in Loop: Header=BB2_7586 Depth=3
	s_or_b64 exec, exec, s[42:43]
.LBB2_8118:                             ;   in Loop: Header=BB2_7586 Depth=3
	s_or_b64 exec, exec, s[40:41]
	v_lshrrev_b32_e32 v2, 16, v8
	v_cmp_gt_i16_sdwa s[42:43], v2, s47 src0_sel:BYTE_0 src1_sel:DWORD
	s_mov_b64 s[40:41], 0
	s_and_saveexec_b64 vcc, s[42:43]
	s_xor_b64 s[42:43], exec, vcc
	s_cbranch_execz .LBB2_8569
; %bb.8119:                             ;   in Loop: Header=BB2_7586 Depth=3
	v_cmp_eq_u16_sdwa s[36:37], v2, s96 src0_sel:BYTE_0 src1_sel:DWORD
	s_mov_b64 s[40:41], -1
	s_and_saveexec_b64 vcc, s[36:37]
; %bb.8120:                             ;   in Loop: Header=BB2_7586 Depth=3
	s_xor_b64 s[40:41], exec, -1
; %bb.8121:                             ;   in Loop: Header=BB2_7586 Depth=3
	s_or_b64 exec, exec, vcc
	s_and_b64 s[40:41], s[40:41], exec
	s_or_saveexec_b64 s[42:43], s[42:43]
	v_bfrev_b32_e32 v4, 1
	s_xor_b64 exec, exec, s[42:43]
	s_cbranch_execnz .LBB2_8570
.LBB2_8122:                             ;   in Loop: Header=BB2_7586 Depth=3
	s_or_b64 exec, exec, s[42:43]
	s_and_saveexec_b64 s[36:37], s[40:41]
	s_cbranch_execz .LBB2_8124
.LBB2_8123:                             ;   in Loop: Header=BB2_7586 Depth=3
	v_and_b32_e32 v4, 3, v2
	v_and_b32_e32 v30, 0x7c0000, v8
	v_cmp_eq_u32_e32 vcc, s44, v30
	v_ffbh_u32_e32 v30, v4
	v_min_u32_e32 v30, 32, v30
	v_subrev_u32_e32 v38, 29, v30
	v_lshlrev_b64 v[38:39], v38, v[2:3]
	v_bfe_u32 v14, v8, 18, 5
	v_cmp_eq_u32_e64 s[40:41], 0, v14
	v_sub_u32_e32 v30, 30, v30
	v_and_b32_e32 v38, 3, v38
	v_cndmask_b32_e64 v14, v14, v30, s[40:41]
	v_cndmask_b32_e64 v30, v4, v38, s[40:41]
	v_lshlrev_b32_e32 v38, 24, v2
	v_and_b32_e32 v38, 0x80000000, v38
	v_lshl_add_u32 v14, v14, 23, v38
	v_cmp_gt_i16_sdwa s[42:43], sext(v2), v48 src0_sel:BYTE_0 src1_sel:DWORD
	v_lshl_or_b32 v14, v30, 21, v14
	v_cmp_eq_u32_e64 s[40:41], 0, v4
	v_cndmask_b32_e64 v2, v7, v0, s[42:43]
	v_add_u32_e32 v14, 0x38000000, v14
	v_cndmask_b32_e64 v2, v35, v2, s[40:41]
	v_cndmask_b32_e32 v4, v14, v2, vcc
.LBB2_8124:                             ;   in Loop: Header=BB2_7586 Depth=3
	s_or_b64 exec, exec, s[36:37]
	v_add_f32_e32 v4, v3, v4
	v_and_b32_e32 v38, 0x7f800000, v4
	v_mov_b32_e32 v39, v29
	v_cmp_ne_u64_e32 vcc, s[76:77], v[38:39]
	v_and_b32_e32 v2, 0x7fffff, v4
	v_mov_b32_e32 v3, v29
                                        ; implicit-def: $vgpr52
	s_and_saveexec_b64 s[40:41], vcc
	s_xor_b64 s[42:43], exec, s[40:41]
	s_cbranch_execz .LBB2_8138
; %bb.8125:                             ;   in Loop: Header=BB2_7586 Depth=3
	v_and_b32_e32 v38, 0x7fffffff, v4
	v_mov_b32_e32 v39, v29
	v_cmp_gt_u64_e32 vcc, s[78:79], v[38:39]
	v_and_b32_sdwa v14, v4, s96 dst_sel:DWORD dst_unused:UNUSED_PAD src0_sel:BYTE_3 src1_sel:DWORD
                                        ; implicit-def: $vgpr52
	s_and_saveexec_b64 s[40:41], vcc
	s_xor_b64 s[36:37], exec, s[40:41]
	s_cbranch_execz .LBB2_8135
; %bb.8126:                             ;   in Loop: Header=BB2_7586 Depth=3
	v_mov_b32_e32 v52, 0
	v_cmp_ne_u32_e32 vcc, 0, v4
	s_and_saveexec_b64 s[38:39], vcc
	s_cbranch_execz .LBB2_8134
; %bb.8127:                             ;   in Loop: Header=BB2_7586 Depth=3
	v_bfe_u32 v49, v4, 23, 8
	v_cmp_gt_u32_e64 s[40:41], s46, v49
	v_sub_u32_e32 v4, 0x71, v49
	v_cmp_eq_u32_e32 vcc, 0, v49
	v_cndmask_b32_e64 v4, 0, v4, s[40:41]
	v_mov_b32_e32 v38, 0x70
	v_cndmask_b32_e32 v52, v4, v38, vcc
	v_add_u32_e32 v4, 21, v52
	v_or_b32_e32 v30, 0x800000, v2
	v_lshlrev_b64 v[38:39], v4, -1
	v_cndmask_b32_e32 v2, v30, v2, vcc
	v_add_u32_e32 v4, 20, v52
	v_bfi_b32 v38, v38, 0, v2
	v_lshlrev_b64 v[59:60], v4, 1
	v_lshrrev_b64 v[2:3], v52, v[2:3]
	v_bfi_b32 v39, v39, 0, 0
	v_cmp_eq_u64_e64 s[40:41], v[38:39], v[59:60]
	v_mov_b32_e32 v4, v3
	v_mov_b32_e32 v3, v2
	s_and_saveexec_b64 s[48:49], s[40:41]
; %bb.8128:                             ;   in Loop: Header=BB2_7586 Depth=3
	v_bfe_u32 v3, v2, 21, 1
	v_add_co_u32_e64 v3, s[40:41], v2, v3
	v_add_co_u32_e64 v3, s[40:41], -1, v3
; %bb.8129:                             ;   in Loop: Header=BB2_7586 Depth=3
	s_or_b64 exec, exec, s[48:49]
	v_add_u32_e32 v4, 0xffffff81, v49
	v_cndmask_b32_e32 v4, v4, v1, vcc
	v_lshrrev_b32_e32 v30, 23, v2
	v_add3_u32 v52, v52, v4, v30
	v_add_u32_e32 v49, 14, v52
	v_and_b32_e32 v3, 0x1fffff, v3
	v_add_u32_e32 v2, v3, v2
	v_mov_b32_e32 v3, v29
	v_cmp_ne_u32_e32 vcc, 0, v49
                                        ; implicit-def: $vgpr4
	s_and_saveexec_b64 s[40:41], vcc
	s_xor_b64 s[40:41], exec, s[40:41]
; %bb.8130:                             ;   in Loop: Header=BB2_7586 Depth=3
	v_cmp_lt_u64_e32 vcc, s[88:89], v[2:3]
	v_add_u32_e32 v4, 15, v52
	v_cndmask_b32_e64 v30, 0, 1, vcc
	v_cndmask_b32_e32 v4, v49, v4, vcc
	v_lshrrev_b64 v[2:3], v30, v[2:3]
; %bb.8131:                             ;   in Loop: Header=BB2_7586 Depth=3
	s_andn2_saveexec_b64 s[40:41], s[40:41]
; %bb.8132:                             ;   in Loop: Header=BB2_7586 Depth=3
	v_bfe_u32 v4, v2, 23, 1
; %bb.8133:                             ;   in Loop: Header=BB2_7586 Depth=3
	s_or_b64 exec, exec, s[40:41]
	v_lshrrev_b64 v[2:3], 21, v[2:3]
	v_cmp_gt_i32_e32 vcc, 32, v4
	v_cndmask_b32_e32 v3, 0, v3, vcc
	v_cndmask_b32_e32 v2, 3, v2, vcc
	v_cmp_eq_u64_e64 s[40:41], 0, v[2:3]
	v_min_i32_e32 v3, 31, v4
	v_lshlrev_b32_e32 v3, 2, v3
	v_cmp_eq_u32_e32 vcc, 0, v4
	v_and_b32_e32 v3, 0xfc, v3
	v_and_or_b32 v2, v2, 3, v3
	s_and_b64 s[40:41], vcc, s[40:41]
	v_cndmask_b32_e64 v2, v2, 0, s[40:41]
	v_or_b32_e32 v52, v2, v14
.LBB2_8134:                             ;   in Loop: Header=BB2_7586 Depth=3
	s_or_b64 exec, exec, s[38:39]
                                        ; implicit-def: $vgpr14
.LBB2_8135:                             ;   in Loop: Header=BB2_7586 Depth=3
	s_andn2_saveexec_b64 s[40:41], s[36:37]
; %bb.8136:                             ;   in Loop: Header=BB2_7586 Depth=3
	v_or_b32_e32 v52, 0x7b, v14
; %bb.8137:                             ;   in Loop: Header=BB2_7586 Depth=3
	s_or_b64 exec, exec, s[40:41]
                                        ; implicit-def: $vgpr4
                                        ; implicit-def: $vgpr2_vgpr3
.LBB2_8138:                             ;   in Loop: Header=BB2_7586 Depth=3
	s_andn2_saveexec_b64 s[40:41], s[42:43]
	s_cbranch_execz .LBB2_8144
; %bb.8139:                             ;   in Loop: Header=BB2_7586 Depth=3
	v_cmp_ne_u64_e32 vcc, 0, v[2:3]
                                        ; implicit-def: $vgpr52
	s_and_saveexec_b64 s[42:43], vcc
	s_xor_b64 s[42:43], exec, s[42:43]
; %bb.8140:                             ;   in Loop: Header=BB2_7586 Depth=3
	v_or_b32_sdwa v52, v4, s47 dst_sel:DWORD dst_unused:UNUSED_PAD src0_sel:BYTE_3 src1_sel:DWORD
                                        ; implicit-def: $vgpr4
; %bb.8141:                             ;   in Loop: Header=BB2_7586 Depth=3
	s_andn2_saveexec_b64 s[42:43], s[42:43]
; %bb.8142:                             ;   in Loop: Header=BB2_7586 Depth=3
	v_cmp_lt_i32_e32 vcc, -1, v4
	v_cndmask_b32_e32 v52, v6, v22, vcc
; %bb.8143:                             ;   in Loop: Header=BB2_7586 Depth=3
	s_or_b64 exec, exec, s[42:43]
.LBB2_8144:                             ;   in Loop: Header=BB2_7586 Depth=3
	s_or_b64 exec, exec, s[40:41]
	v_cmp_lt_u32_e32 vcc, s57, v28
	v_mov_b32_e32 v3, 0
	s_and_saveexec_b64 s[40:41], vcc
	s_cbranch_execz .LBB2_8152
; %bb.8145:                             ;   in Loop: Header=BB2_7586 Depth=3
	v_lshrrev_b32_e32 v2, 24, v28
	v_cmp_ne_u32_e32 vcc, s96, v2
	v_bfrev_b32_e32 v3, 1
	s_and_saveexec_b64 s[42:43], vcc
	s_cbranch_execz .LBB2_8151
; %bb.8146:                             ;   in Loop: Header=BB2_7586 Depth=3
	v_and_b32_e32 v3, 0x7c000000, v28
	v_bfe_u32 v4, v28, 24, 2
	v_cmp_ne_u32_e32 vcc, s45, v3
                                        ; implicit-def: $vgpr3
	s_and_saveexec_b64 s[36:37], vcc
	s_xor_b64 s[36:37], exec, s[36:37]
	s_cbranch_execz .LBB2_8148
; %bb.8147:                             ;   in Loop: Header=BB2_7586 Depth=3
	v_ffbh_u32_e32 v3, v4
	v_min_u32_e32 v30, 32, v3
	v_subrev_u32_e32 v3, 29, v30
	v_lshlrev_b64 v[2:3], v3, v[2:3]
	v_bfe_u32 v14, v28, 26, 5
	v_sub_u32_e32 v3, 30, v30
	v_and_b32_e32 v2, 3, v2
	v_cmp_eq_u32_e32 vcc, 0, v14
	v_cndmask_b32_e32 v3, v14, v3, vcc
	v_cndmask_b32_e32 v2, v4, v2, vcc
	v_and_b32_e32 v4, 0x80000000, v28
	v_lshl_add_u32 v3, v3, 23, v4
	v_lshl_or_b32 v2, v2, 21, v3
	v_add_u32_e32 v3, 0x38000000, v2
                                        ; implicit-def: $vgpr4
.LBB2_8148:                             ;   in Loop: Header=BB2_7586 Depth=3
	s_andn2_saveexec_b64 s[36:37], s[36:37]
; %bb.8149:                             ;   in Loop: Header=BB2_7586 Depth=3
	v_cmp_lt_i32_e32 vcc, -1, v28
	v_cndmask_b32_e32 v2, v7, v0, vcc
	v_cmp_eq_u32_e32 vcc, 0, v4
	v_cndmask_b32_e32 v3, v35, v2, vcc
; %bb.8150:                             ;   in Loop: Header=BB2_7586 Depth=3
	s_or_b64 exec, exec, s[36:37]
.LBB2_8151:                             ;   in Loop: Header=BB2_7586 Depth=3
	s_or_b64 exec, exec, s[42:43]
.LBB2_8152:                             ;   in Loop: Header=BB2_7586 Depth=3
	s_or_b64 exec, exec, s[40:41]
	v_bfe_u32 v4, v8, 24, 2
	v_and_b32_e32 v28, 0x7c000000, v8
	v_cmp_eq_u32_e32 vcc, s45, v28
	v_ffbh_u32_e32 v28, v4
	v_min_u32_e32 v28, 32, v28
	v_lshrrev_b32_e32 v2, 24, v8
	v_subrev_u32_e32 v30, 29, v28
	v_lshlrev_b64 v[38:39], v30, v[2:3]
	v_bfe_u32 v14, v8, 26, 5
	v_cmp_eq_u32_e64 s[40:41], 0, v14
	v_sub_u32_e32 v28, 30, v28
	v_and_b32_e32 v30, 3, v38
	v_cndmask_b32_e64 v14, v14, v28, s[40:41]
	v_cndmask_b32_e64 v28, v4, v30, s[40:41]
	v_and_b32_e32 v30, 0x80000000, v8
	v_lshl_add_u32 v14, v14, 23, v30
	v_cmp_lt_i32_e64 s[42:43], -1, v8
	v_lshl_or_b32 v14, v28, 21, v14
	v_cmp_eq_u32_e64 s[40:41], 0, v4
	v_cndmask_b32_e64 v4, v7, v0, s[42:43]
	v_add_u32_e32 v14, 0x38000000, v14
	v_cndmask_b32_e64 v4, v35, v4, s[40:41]
	v_cndmask_b32_e32 v4, v14, v4, vcc
	v_cmp_ne_u32_e32 vcc, s96, v2
	v_bfrev_b32_e32 v2, 1
	v_cndmask_b32_e32 v2, v2, v4, vcc
	v_cmp_lt_u32_e32 vcc, s57, v8
	v_cndmask_b32_e32 v2, 0, v2, vcc
	v_add_f32_e32 v2, v2, v3
	v_and_b32_e32 v3, 0x7f800000, v2
	v_mov_b32_e32 v4, v29
	v_cmp_ne_u64_e32 vcc, s[76:77], v[3:4]
	v_and_b32_e32 v28, 0x7fffff, v2
                                        ; implicit-def: $vgpr46
	s_and_saveexec_b64 s[40:41], vcc
	s_xor_b64 s[42:43], exec, s[40:41]
	s_cbranch_execz .LBB2_8166
; %bb.8153:                             ;   in Loop: Header=BB2_7586 Depth=3
	v_and_b32_e32 v3, 0x7fffffff, v2
	v_mov_b32_e32 v4, v29
	v_cmp_gt_u64_e32 vcc, s[78:79], v[3:4]
	v_and_b32_sdwa v14, v2, s96 dst_sel:DWORD dst_unused:UNUSED_PAD src0_sel:BYTE_3 src1_sel:DWORD
                                        ; implicit-def: $vgpr46
	s_and_saveexec_b64 s[40:41], vcc
	s_xor_b64 s[36:37], exec, s[40:41]
	s_cbranch_execz .LBB2_8163
; %bb.8154:                             ;   in Loop: Header=BB2_7586 Depth=3
	v_mov_b32_e32 v46, 0
	v_cmp_ne_u32_e32 vcc, 0, v2
	s_and_saveexec_b64 s[38:39], vcc
	s_cbranch_execz .LBB2_8162
; %bb.8155:                             ;   in Loop: Header=BB2_7586 Depth=3
	v_bfe_u32 v49, v2, 23, 8
	v_cmp_gt_u32_e64 s[40:41], s46, v49
	v_sub_u32_e32 v2, 0x71, v49
	v_cmp_eq_u32_e32 vcc, 0, v49
	v_cndmask_b32_e64 v2, 0, v2, s[40:41]
	v_mov_b32_e32 v4, 0x70
	v_cndmask_b32_e32 v46, v2, v4, vcc
	v_add_u32_e32 v4, 21, v46
	v_or_b32_e32 v3, 0x800000, v28
	v_lshlrev_b64 v[38:39], v4, -1
	v_cndmask_b32_e32 v2, v3, v28, vcc
	v_mov_b32_e32 v3, v29
	v_add_u32_e32 v4, 20, v46
	v_bfi_b32 v38, v38, 0, v2
	v_lshlrev_b64 v[59:60], v4, 1
	v_lshrrev_b64 v[2:3], v46, v[2:3]
	v_bfi_b32 v39, v39, 0, 0
	v_cmp_eq_u64_e64 s[40:41], v[38:39], v[59:60]
	v_mov_b32_e32 v4, v3
	v_mov_b32_e32 v3, v2
	s_and_saveexec_b64 s[48:49], s[40:41]
; %bb.8156:                             ;   in Loop: Header=BB2_7586 Depth=3
	v_bfe_u32 v3, v2, 21, 1
	v_add_co_u32_e64 v3, s[40:41], v2, v3
	v_add_co_u32_e64 v3, s[40:41], -1, v3
; %bb.8157:                             ;   in Loop: Header=BB2_7586 Depth=3
	s_or_b64 exec, exec, s[48:49]
	v_add_u32_e32 v4, 0xffffff81, v49
	v_cndmask_b32_e32 v4, v4, v1, vcc
	v_lshrrev_b32_e32 v28, 23, v2
	v_add3_u32 v46, v46, v4, v28
	v_add_u32_e32 v49, 14, v46
	v_and_b32_e32 v3, 0x1fffff, v3
	v_add_u32_e32 v28, v3, v2
	v_cmp_ne_u32_e32 vcc, 0, v49
                                        ; implicit-def: $vgpr2_vgpr3
                                        ; implicit-def: $vgpr4
	s_and_saveexec_b64 s[40:41], vcc
	s_xor_b64 s[40:41], exec, s[40:41]
; %bb.8158:                             ;   in Loop: Header=BB2_7586 Depth=3
	v_cmp_lt_u64_e32 vcc, s[88:89], v[28:29]
	v_add_u32_e32 v2, 15, v46
	v_cndmask_b32_e32 v4, v49, v2, vcc
	v_cndmask_b32_e64 v2, 0, 1, vcc
	v_lshrrev_b64 v[2:3], v2, v[28:29]
; %bb.8159:                             ;   in Loop: Header=BB2_7586 Depth=3
	s_andn2_saveexec_b64 s[40:41], s[40:41]
; %bb.8160:                             ;   in Loop: Header=BB2_7586 Depth=3
	v_mov_b32_e32 v2, v28
	v_mov_b32_e32 v3, v29
	v_bfe_u32 v4, v28, 23, 1
; %bb.8161:                             ;   in Loop: Header=BB2_7586 Depth=3
	s_or_b64 exec, exec, s[40:41]
	v_lshrrev_b64 v[2:3], 21, v[2:3]
	v_cmp_gt_i32_e32 vcc, 32, v4
	v_cndmask_b32_e32 v3, 0, v3, vcc
	v_cndmask_b32_e32 v2, 3, v2, vcc
	v_cmp_eq_u64_e64 s[40:41], 0, v[2:3]
	v_min_i32_e32 v3, 31, v4
	v_lshlrev_b32_e32 v3, 2, v3
	v_cmp_eq_u32_e32 vcc, 0, v4
	v_and_b32_e32 v3, 0xfc, v3
	v_and_or_b32 v2, v2, 3, v3
	s_and_b64 s[40:41], vcc, s[40:41]
	v_cndmask_b32_e64 v2, v2, 0, s[40:41]
	v_or_b32_e32 v46, v2, v14
.LBB2_8162:                             ;   in Loop: Header=BB2_7586 Depth=3
	s_or_b64 exec, exec, s[38:39]
                                        ; implicit-def: $vgpr14
.LBB2_8163:                             ;   in Loop: Header=BB2_7586 Depth=3
	s_andn2_saveexec_b64 s[40:41], s[36:37]
; %bb.8164:                             ;   in Loop: Header=BB2_7586 Depth=3
	v_or_b32_e32 v46, 0x7b, v14
; %bb.8165:                             ;   in Loop: Header=BB2_7586 Depth=3
	s_or_b64 exec, exec, s[40:41]
                                        ; implicit-def: $vgpr2
.LBB2_8166:                             ;   in Loop: Header=BB2_7586 Depth=3
	s_andn2_saveexec_b64 s[40:41], s[42:43]
	s_cbranch_execz .LBB2_8172
; %bb.8167:                             ;   in Loop: Header=BB2_7586 Depth=3
	v_cmp_ne_u64_e32 vcc, 0, v[28:29]
                                        ; implicit-def: $vgpr46
	s_and_saveexec_b64 s[42:43], vcc
	s_xor_b64 s[42:43], exec, s[42:43]
; %bb.8168:                             ;   in Loop: Header=BB2_7586 Depth=3
	v_or_b32_sdwa v46, v2, s47 dst_sel:DWORD dst_unused:UNUSED_PAD src0_sel:BYTE_3 src1_sel:DWORD
                                        ; implicit-def: $vgpr2
; %bb.8169:                             ;   in Loop: Header=BB2_7586 Depth=3
	s_andn2_saveexec_b64 s[42:43], s[42:43]
; %bb.8170:                             ;   in Loop: Header=BB2_7586 Depth=3
	v_cmp_lt_i32_e32 vcc, -1, v2
	v_cndmask_b32_e32 v46, v6, v22, vcc
; %bb.8171:                             ;   in Loop: Header=BB2_7586 Depth=3
	s_or_b64 exec, exec, s[42:43]
.LBB2_8172:                             ;   in Loop: Header=BB2_7586 Depth=3
	s_or_b64 exec, exec, s[40:41]
	v_lshl_or_b32 v59, v15, 8, v5
	v_lshlrev_b32_e32 v2, 16, v57
	v_lshlrev_b32_e32 v3, 24, v58
	v_or3_b32 v28, v2, v3, v59
	v_cmp_ne_u32_e32 vcc, 0, v5
	v_mov_b32_e32 v2, 0
	s_and_saveexec_b64 s[42:43], vcc
	s_cbranch_execz .LBB2_8180
; %bb.8173:                             ;   in Loop: Header=BB2_7586 Depth=3
	v_cmp_ne_u32_e32 vcc, s96, v5
	v_bfrev_b32_e32 v2, 1
	s_and_saveexec_b64 s[36:37], vcc
	s_cbranch_execz .LBB2_8179
; %bb.8174:                             ;   in Loop: Header=BB2_7586 Depth=3
	v_and_b32_e32 v2, 0x7c, v5
	v_and_b32_e32 v3, 3, v5
	v_cmp_ne_u32_e32 vcc, s85, v2
                                        ; implicit-def: $vgpr2
	s_and_saveexec_b64 s[40:41], vcc
	s_xor_b64 s[40:41], exec, s[40:41]
	s_cbranch_execz .LBB2_8176
; %bb.8175:                             ;   in Loop: Header=BB2_7586 Depth=3
	v_ffbh_u32_e32 v4, v3
	v_min_u32_e32 v4, 32, v4
	v_bfe_u32 v2, v5, 2, 5
	v_subrev_u32_e32 v14, 29, v4
	v_lshlrev_b64 v[14:15], v14, v[28:29]
	v_sub_u32_e32 v4, 30, v4
	v_cmp_eq_u32_e32 vcc, 0, v2
	v_cndmask_b32_e32 v2, v2, v4, vcc
	v_lshlrev_b32_e32 v4, 24, v5
	v_and_b32_e32 v14, 3, v14
	v_and_b32_e32 v4, 0x80000000, v4
	v_cndmask_b32_e32 v3, v3, v14, vcc
	v_lshl_add_u32 v2, v2, 23, v4
	v_lshl_or_b32 v2, v3, 21, v2
	v_add_u32_e32 v2, 0x38000000, v2
                                        ; implicit-def: $vgpr3
                                        ; implicit-def: $vgpr5
.LBB2_8176:                             ;   in Loop: Header=BB2_7586 Depth=3
	s_andn2_saveexec_b64 s[38:39], s[40:41]
; %bb.8177:                             ;   in Loop: Header=BB2_7586 Depth=3
	v_and_b32_e32 v2, 0x80, v5
	v_cmp_eq_u32_e64 s[40:41], 0, v2
	v_cmp_eq_u32_e32 vcc, 0, v3
	v_cndmask_b32_e64 v2, v7, v0, s[40:41]
	v_cndmask_b32_e32 v2, v35, v2, vcc
; %bb.8178:                             ;   in Loop: Header=BB2_7586 Depth=3
	s_or_b64 exec, exec, s[38:39]
.LBB2_8179:                             ;   in Loop: Header=BB2_7586 Depth=3
	s_or_b64 exec, exec, s[36:37]
.LBB2_8180:                             ;   in Loop: Header=BB2_7586 Depth=3
	s_or_b64 exec, exec, s[42:43]
	v_cmp_gt_i16_sdwa s[42:43], v9, s47 src0_sel:BYTE_0 src1_sel:DWORD
	s_mov_b64 s[40:41], 0
	s_and_saveexec_b64 vcc, s[42:43]
	s_xor_b64 s[42:43], exec, vcc
	s_cbranch_execz .LBB2_8184
; %bb.8181:                             ;   in Loop: Header=BB2_7586 Depth=3
	v_cmp_eq_u16_sdwa s[36:37], v9, s96 src0_sel:BYTE_0 src1_sel:DWORD
	s_mov_b64 s[40:41], -1
	s_and_saveexec_b64 vcc, s[36:37]
; %bb.8182:                             ;   in Loop: Header=BB2_7586 Depth=3
	s_xor_b64 s[40:41], exec, -1
; %bb.8183:                             ;   in Loop: Header=BB2_7586 Depth=3
	s_or_b64 exec, exec, vcc
	s_and_b64 s[40:41], s[40:41], exec
.LBB2_8184:                             ;   in Loop: Header=BB2_7586 Depth=3
	s_or_saveexec_b64 s[42:43], s[42:43]
	v_bfrev_b32_e32 v3, 1
	s_xor_b64 exec, exec, s[42:43]
; %bb.8185:                             ;   in Loop: Header=BB2_7586 Depth=3
	v_cmp_ne_u16_sdwa vcc, v9, v29 src0_sel:BYTE_0 src1_sel:DWORD
	s_andn2_b64 s[40:41], s[40:41], exec
	s_and_b64 vcc, vcc, exec
	v_mov_b32_e32 v3, 0
	s_or_b64 s[40:41], s[40:41], vcc
; %bb.8186:                             ;   in Loop: Header=BB2_7586 Depth=3
	s_or_b64 exec, exec, s[42:43]
	v_mov_b32_e32 v4, v9
	v_mov_b32_e32 v5, v29
	s_and_saveexec_b64 s[36:37], s[40:41]
	s_cbranch_execz .LBB2_8188
; %bb.8187:                             ;   in Loop: Header=BB2_7586 Depth=3
	v_and_b32_e32 v3, 3, v9
	v_and_b32_e32 v14, 0x7c, v9
	v_cmp_eq_u32_e32 vcc, s85, v14
	v_ffbh_u32_e32 v14, v3
	v_min_u32_e32 v38, 32, v14
	v_subrev_u32_e32 v14, 29, v38
	v_bfe_u32 v30, v9, 2, 5
	v_lshlrev_b64 v[14:15], v14, v[4:5]
	v_cmp_eq_u32_e64 s[40:41], 0, v30
	v_sub_u32_e32 v5, 30, v38
	v_lshlrev_b32_e32 v15, 24, v9
	v_and_b32_e32 v14, 3, v14
	v_cndmask_b32_e64 v5, v30, v5, s[40:41]
	v_and_b32_e32 v15, 0x80000000, v15
	v_cndmask_b32_e64 v14, v3, v14, s[40:41]
	v_lshl_add_u32 v5, v5, 23, v15
	v_cmp_gt_i16_sdwa s[42:43], sext(v9), v48 src0_sel:BYTE_0 src1_sel:DWORD
	v_lshl_or_b32 v5, v14, 21, v5
	v_cmp_eq_u32_e64 s[40:41], 0, v3
	v_cndmask_b32_e64 v3, v7, v0, s[42:43]
	v_add_u32_e32 v5, 0x38000000, v5
	v_cndmask_b32_e64 v3, v35, v3, s[40:41]
	v_cndmask_b32_e32 v3, v5, v3, vcc
.LBB2_8188:                             ;   in Loop: Header=BB2_7586 Depth=3
	s_or_b64 exec, exec, s[36:37]
	v_add_f32_e32 v15, v2, v3
	v_and_b32_e32 v38, 0x7f800000, v15
	v_mov_b32_e32 v39, v29
	v_cmp_ne_u64_e32 vcc, s[76:77], v[38:39]
	v_and_b32_e32 v2, 0x7fffff, v15
	v_mov_b32_e32 v3, v29
                                        ; implicit-def: $vgpr14
	s_and_saveexec_b64 s[40:41], vcc
	s_xor_b64 s[42:43], exec, s[40:41]
	s_cbranch_execz .LBB2_8202
; %bb.8189:                             ;   in Loop: Header=BB2_7586 Depth=3
	v_and_b32_e32 v38, 0x7fffffff, v15
	v_mov_b32_e32 v39, v29
	v_cmp_gt_u64_e32 vcc, s[78:79], v[38:39]
	v_and_b32_sdwa v5, v15, s96 dst_sel:DWORD dst_unused:UNUSED_PAD src0_sel:BYTE_3 src1_sel:DWORD
                                        ; implicit-def: $vgpr14
	s_and_saveexec_b64 s[40:41], vcc
	s_xor_b64 s[36:37], exec, s[40:41]
	s_cbranch_execz .LBB2_8199
; %bb.8190:                             ;   in Loop: Header=BB2_7586 Depth=3
	v_mov_b32_e32 v14, 0
	v_cmp_ne_u32_e32 vcc, 0, v15
	s_and_saveexec_b64 s[38:39], vcc
	s_cbranch_execz .LBB2_8198
; %bb.8191:                             ;   in Loop: Header=BB2_7586 Depth=3
	v_bfe_u32 v49, v15, 23, 8
	v_cmp_gt_u32_e64 s[40:41], s46, v49
	v_sub_u32_e32 v14, 0x71, v49
	v_cmp_eq_u32_e32 vcc, 0, v49
	v_cndmask_b32_e64 v14, 0, v14, s[40:41]
	v_mov_b32_e32 v30, 0x70
	v_cndmask_b32_e32 v57, v14, v30, vcc
	v_or_b32_e32 v15, 0x800000, v2
	v_add_u32_e32 v14, 21, v57
	v_cndmask_b32_e32 v2, v15, v2, vcc
	v_lshlrev_b64 v[14:15], v14, -1
	v_add_u32_e32 v30, 20, v57
	v_bfi_b32 v14, v14, 0, v2
	v_lshlrev_b64 v[38:39], v30, 1
	v_lshrrev_b64 v[2:3], v57, v[2:3]
	v_bfi_b32 v15, v15, 0, 0
	v_cmp_eq_u64_e64 s[40:41], v[14:15], v[38:39]
	v_mov_b32_e32 v15, v3
	v_mov_b32_e32 v14, v2
	s_and_saveexec_b64 s[48:49], s[40:41]
; %bb.8192:                             ;   in Loop: Header=BB2_7586 Depth=3
	v_bfe_u32 v3, v2, 21, 1
	v_add_co_u32_e64 v3, s[40:41], v2, v3
	v_add_co_u32_e64 v14, s[40:41], -1, v3
; %bb.8193:                             ;   in Loop: Header=BB2_7586 Depth=3
	s_or_b64 exec, exec, s[48:49]
	v_add_u32_e32 v3, 0xffffff81, v49
	v_cndmask_b32_e32 v3, v3, v1, vcc
	v_lshrrev_b32_e32 v15, 23, v2
	v_add3_u32 v49, v57, v3, v15
	v_add_u32_e32 v15, 14, v49
	v_and_b32_e32 v3, 0x1fffff, v14
	v_add_u32_e32 v2, v3, v2
	v_mov_b32_e32 v3, v29
	v_cmp_ne_u32_e32 vcc, 0, v15
                                        ; implicit-def: $vgpr14
	s_and_saveexec_b64 s[40:41], vcc
	s_xor_b64 s[40:41], exec, s[40:41]
; %bb.8194:                             ;   in Loop: Header=BB2_7586 Depth=3
	v_cmp_lt_u64_e32 vcc, s[88:89], v[2:3]
	v_add_u32_e32 v14, 15, v49
	v_cndmask_b32_e32 v14, v15, v14, vcc
	v_cndmask_b32_e64 v15, 0, 1, vcc
	v_lshrrev_b64 v[2:3], v15, v[2:3]
; %bb.8195:                             ;   in Loop: Header=BB2_7586 Depth=3
	s_andn2_saveexec_b64 s[40:41], s[40:41]
; %bb.8196:                             ;   in Loop: Header=BB2_7586 Depth=3
	v_bfe_u32 v14, v2, 23, 1
; %bb.8197:                             ;   in Loop: Header=BB2_7586 Depth=3
	s_or_b64 exec, exec, s[40:41]
	v_lshrrev_b64 v[2:3], 21, v[2:3]
	v_cmp_gt_i32_e32 vcc, 32, v14
	v_cndmask_b32_e32 v3, 0, v3, vcc
	v_cndmask_b32_e32 v2, 3, v2, vcc
	v_cmp_eq_u64_e64 s[40:41], 0, v[2:3]
	v_min_i32_e32 v3, 31, v14
	v_lshlrev_b32_e32 v3, 2, v3
	v_cmp_eq_u32_e32 vcc, 0, v14
	v_and_b32_e32 v3, 0xfc, v3
	v_and_or_b32 v2, v2, 3, v3
	s_and_b64 s[40:41], vcc, s[40:41]
	v_cndmask_b32_e64 v2, v2, 0, s[40:41]
	v_or_b32_e32 v14, v2, v5
.LBB2_8198:                             ;   in Loop: Header=BB2_7586 Depth=3
	s_or_b64 exec, exec, s[38:39]
                                        ; implicit-def: $vgpr5
.LBB2_8199:                             ;   in Loop: Header=BB2_7586 Depth=3
	s_andn2_saveexec_b64 s[40:41], s[36:37]
; %bb.8200:                             ;   in Loop: Header=BB2_7586 Depth=3
	v_or_b32_e32 v14, 0x7b, v5
; %bb.8201:                             ;   in Loop: Header=BB2_7586 Depth=3
	s_or_b64 exec, exec, s[40:41]
                                        ; implicit-def: $vgpr15
                                        ; implicit-def: $vgpr2_vgpr3
.LBB2_8202:                             ;   in Loop: Header=BB2_7586 Depth=3
	s_andn2_saveexec_b64 s[40:41], s[42:43]
	s_cbranch_execz .LBB2_8208
; %bb.8203:                             ;   in Loop: Header=BB2_7586 Depth=3
	v_cmp_ne_u64_e32 vcc, 0, v[2:3]
                                        ; implicit-def: $vgpr14
	s_and_saveexec_b64 s[42:43], vcc
	s_xor_b64 s[42:43], exec, s[42:43]
; %bb.8204:                             ;   in Loop: Header=BB2_7586 Depth=3
	v_or_b32_sdwa v14, v15, s47 dst_sel:DWORD dst_unused:UNUSED_PAD src0_sel:BYTE_3 src1_sel:DWORD
                                        ; implicit-def: $vgpr15
; %bb.8205:                             ;   in Loop: Header=BB2_7586 Depth=3
	s_andn2_saveexec_b64 s[42:43], s[42:43]
; %bb.8206:                             ;   in Loop: Header=BB2_7586 Depth=3
	v_cmp_lt_i32_e32 vcc, -1, v15
	v_cndmask_b32_e32 v14, v6, v22, vcc
; %bb.8207:                             ;   in Loop: Header=BB2_7586 Depth=3
	s_or_b64 exec, exec, s[42:43]
.LBB2_8208:                             ;   in Loop: Header=BB2_7586 Depth=3
	s_or_b64 exec, exec, s[40:41]
	v_lshrrev_b16_e32 v2, 8, v59
	v_cmp_ne_u16_e32 vcc, 0, v2
	v_mov_b32_e32 v5, 0
	s_and_saveexec_b64 s[40:41], vcc
	s_cbranch_execz .LBB2_8216
; %bb.8209:                             ;   in Loop: Header=BB2_7586 Depth=3
	v_cmp_ne_u16_e32 vcc, s96, v2
	v_bfrev_b32_e32 v5, 1
	s_and_saveexec_b64 s[42:43], vcc
	s_cbranch_execz .LBB2_8215
; %bb.8210:                             ;   in Loop: Header=BB2_7586 Depth=3
	v_and_b32_e32 v3, 0x7c, v2
	v_and_b32_e32 v15, 3, v2
	v_cmp_ne_u32_e32 vcc, s85, v3
                                        ; implicit-def: $vgpr5
	s_and_saveexec_b64 s[36:37], vcc
	s_xor_b64 s[36:37], exec, s[36:37]
	s_cbranch_execz .LBB2_8212
; %bb.8211:                             ;   in Loop: Header=BB2_7586 Depth=3
	v_ffbh_u32_e32 v30, v15
	v_min_u32_e32 v30, 32, v30
	v_mov_b32_e32 v3, v29
	v_subrev_u32_e32 v38, 29, v30
	v_bfe_u32 v5, v2, 2, 5
	v_lshlrev_b64 v[2:3], v38, v[2:3]
	v_sub_u32_e32 v3, 30, v30
	v_cmp_eq_u32_e32 vcc, 0, v5
	v_cndmask_b32_e32 v3, v5, v3, vcc
	v_lshlrev_b32_e32 v5, 16, v59
	v_and_b32_e32 v2, 3, v2
	v_and_b32_e32 v5, 0x80000000, v5
	v_cndmask_b32_e32 v2, v15, v2, vcc
	v_lshl_add_u32 v3, v3, 23, v5
	v_lshl_or_b32 v2, v2, 21, v3
	v_add_u32_e32 v5, 0x38000000, v2
                                        ; implicit-def: $vgpr15
                                        ; implicit-def: $vgpr59
.LBB2_8212:                             ;   in Loop: Header=BB2_7586 Depth=3
	s_andn2_saveexec_b64 s[36:37], s[36:37]
; %bb.8213:                             ;   in Loop: Header=BB2_7586 Depth=3
	v_cmp_lt_i16_e32 vcc, -1, v59
	v_cndmask_b32_e32 v2, v7, v0, vcc
	v_cmp_eq_u32_e32 vcc, 0, v15
	v_cndmask_b32_e32 v5, v35, v2, vcc
; %bb.8214:                             ;   in Loop: Header=BB2_7586 Depth=3
	s_or_b64 exec, exec, s[36:37]
.LBB2_8215:                             ;   in Loop: Header=BB2_7586 Depth=3
	s_or_b64 exec, exec, s[42:43]
.LBB2_8216:                             ;   in Loop: Header=BB2_7586 Depth=3
	s_or_b64 exec, exec, s[40:41]
	v_lshrrev_b16_e32 v2, 8, v4
	v_cmp_lt_i16_e32 vcc, s47, v2
	s_mov_b64 s[40:41], 0
	s_and_saveexec_b64 s[42:43], vcc
	s_xor_b64 s[42:43], exec, s[42:43]
	s_cbranch_execz .LBB2_8571
; %bb.8217:                             ;   in Loop: Header=BB2_7586 Depth=3
	v_cmp_eq_u16_e32 vcc, s96, v2
	s_mov_b64 s[40:41], -1
	s_and_saveexec_b64 s[36:37], vcc
; %bb.8218:                             ;   in Loop: Header=BB2_7586 Depth=3
	s_xor_b64 s[40:41], exec, -1
; %bb.8219:                             ;   in Loop: Header=BB2_7586 Depth=3
	s_or_b64 exec, exec, s[36:37]
	s_and_b64 s[40:41], s[40:41], exec
	s_or_saveexec_b64 s[42:43], s[42:43]
	v_bfrev_b32_e32 v3, 1
	s_xor_b64 exec, exec, s[42:43]
	s_cbranch_execnz .LBB2_8572
.LBB2_8220:                             ;   in Loop: Header=BB2_7586 Depth=3
	s_or_b64 exec, exec, s[42:43]
	s_and_saveexec_b64 s[36:37], s[40:41]
	s_cbranch_execz .LBB2_8222
.LBB2_8221:                             ;   in Loop: Header=BB2_7586 Depth=3
	v_and_b32_e32 v15, 3, v2
	v_and_b32_e32 v38, 0x7c, v2
	v_cmp_eq_u32_e32 vcc, s85, v38
	v_ffbh_u32_e32 v38, v15
	v_min_u32_e32 v49, 32, v38
	v_mov_b32_e32 v3, v29
	v_subrev_u32_e32 v38, 29, v49
	v_bfe_u32 v30, v2, 2, 5
	v_lshlrev_b64 v[38:39], v38, v[2:3]
	v_cmp_eq_u32_e64 s[40:41], 0, v30
	v_sub_u32_e32 v3, 30, v49
	v_lshlrev_b32_e32 v2, 24, v2
	v_and_b32_e32 v38, 3, v38
	v_cndmask_b32_e64 v3, v30, v3, s[40:41]
	v_and_b32_e32 v2, 0x80000000, v2
	v_cndmask_b32_e64 v30, v15, v38, s[40:41]
	v_lshl_add_u32 v2, v3, 23, v2
	v_cmp_lt_i16_e64 s[42:43], -1, v4
	v_lshl_or_b32 v2, v30, 21, v2
	v_cmp_eq_u32_e64 s[40:41], 0, v15
	v_cndmask_b32_e64 v3, v7, v0, s[42:43]
	v_add_u32_e32 v2, 0x38000000, v2
	v_cndmask_b32_e64 v3, v35, v3, s[40:41]
	v_cndmask_b32_e32 v3, v2, v3, vcc
.LBB2_8222:                             ;   in Loop: Header=BB2_7586 Depth=3
	s_or_b64 exec, exec, s[36:37]
	v_add_f32_e32 v4, v5, v3
	v_and_b32_e32 v38, 0x7f800000, v4
	v_mov_b32_e32 v39, v29
	v_cmp_ne_u64_e32 vcc, s[76:77], v[38:39]
	v_and_b32_e32 v2, 0x7fffff, v4
	v_mov_b32_e32 v3, v29
                                        ; implicit-def: $vgpr15
	s_and_saveexec_b64 s[40:41], vcc
	s_xor_b64 s[42:43], exec, s[40:41]
	s_cbranch_execz .LBB2_8236
; %bb.8223:                             ;   in Loop: Header=BB2_7586 Depth=3
	v_and_b32_e32 v38, 0x7fffffff, v4
	v_mov_b32_e32 v39, v29
	v_cmp_gt_u64_e32 vcc, s[78:79], v[38:39]
	v_and_b32_sdwa v5, v4, s96 dst_sel:DWORD dst_unused:UNUSED_PAD src0_sel:BYTE_3 src1_sel:DWORD
                                        ; implicit-def: $vgpr15
	s_and_saveexec_b64 s[40:41], vcc
	s_xor_b64 s[36:37], exec, s[40:41]
	s_cbranch_execz .LBB2_8233
; %bb.8224:                             ;   in Loop: Header=BB2_7586 Depth=3
	v_mov_b32_e32 v15, 0
	v_cmp_ne_u32_e32 vcc, 0, v4
	s_and_saveexec_b64 s[38:39], vcc
	s_cbranch_execz .LBB2_8232
; %bb.8225:                             ;   in Loop: Header=BB2_7586 Depth=3
	v_bfe_u32 v15, v4, 23, 8
	v_cmp_gt_u32_e64 s[40:41], s46, v15
	v_sub_u32_e32 v4, 0x71, v15
	v_cmp_eq_u32_e32 vcc, 0, v15
	v_cndmask_b32_e64 v4, 0, v4, s[40:41]
	v_mov_b32_e32 v38, 0x70
	v_cndmask_b32_e32 v49, v4, v38, vcc
	v_add_u32_e32 v4, 21, v49
	v_or_b32_e32 v30, 0x800000, v2
	v_lshlrev_b64 v[38:39], v4, -1
	v_cndmask_b32_e32 v2, v30, v2, vcc
	v_add_u32_e32 v4, 20, v49
	v_bfi_b32 v38, v38, 0, v2
	v_lshlrev_b64 v[57:58], v4, 1
	v_lshrrev_b64 v[2:3], v49, v[2:3]
	v_bfi_b32 v39, v39, 0, 0
	v_cmp_eq_u64_e64 s[40:41], v[38:39], v[57:58]
	v_mov_b32_e32 v4, v3
	v_mov_b32_e32 v3, v2
	s_and_saveexec_b64 s[48:49], s[40:41]
; %bb.8226:                             ;   in Loop: Header=BB2_7586 Depth=3
	v_bfe_u32 v3, v2, 21, 1
	v_add_co_u32_e64 v3, s[40:41], v2, v3
	v_add_co_u32_e64 v3, s[40:41], -1, v3
; %bb.8227:                             ;   in Loop: Header=BB2_7586 Depth=3
	s_or_b64 exec, exec, s[48:49]
	v_add_u32_e32 v4, 0xffffff81, v15
	v_cndmask_b32_e32 v4, v4, v1, vcc
	v_lshrrev_b32_e32 v15, 23, v2
	v_add3_u32 v49, v49, v4, v15
	v_add_u32_e32 v15, 14, v49
	v_and_b32_e32 v3, 0x1fffff, v3
	v_add_u32_e32 v2, v3, v2
	v_mov_b32_e32 v3, v29
	v_cmp_ne_u32_e32 vcc, 0, v15
                                        ; implicit-def: $vgpr4
	s_and_saveexec_b64 s[40:41], vcc
	s_xor_b64 s[40:41], exec, s[40:41]
; %bb.8228:                             ;   in Loop: Header=BB2_7586 Depth=3
	v_cmp_lt_u64_e32 vcc, s[88:89], v[2:3]
	v_add_u32_e32 v4, 15, v49
	v_cndmask_b32_e32 v4, v15, v4, vcc
	v_cndmask_b32_e64 v15, 0, 1, vcc
	v_lshrrev_b64 v[2:3], v15, v[2:3]
; %bb.8229:                             ;   in Loop: Header=BB2_7586 Depth=3
	s_andn2_saveexec_b64 s[40:41], s[40:41]
; %bb.8230:                             ;   in Loop: Header=BB2_7586 Depth=3
	v_bfe_u32 v4, v2, 23, 1
; %bb.8231:                             ;   in Loop: Header=BB2_7586 Depth=3
	s_or_b64 exec, exec, s[40:41]
	v_lshrrev_b64 v[2:3], 21, v[2:3]
	v_cmp_gt_i32_e32 vcc, 32, v4
	v_cndmask_b32_e32 v3, 0, v3, vcc
	v_cndmask_b32_e32 v2, 3, v2, vcc
	v_cmp_eq_u64_e64 s[40:41], 0, v[2:3]
	v_min_i32_e32 v3, 31, v4
	v_lshlrev_b32_e32 v3, 2, v3
	v_cmp_eq_u32_e32 vcc, 0, v4
	v_and_b32_e32 v3, 0xfc, v3
	v_and_or_b32 v2, v2, 3, v3
	s_and_b64 s[40:41], vcc, s[40:41]
	v_cndmask_b32_e64 v2, v2, 0, s[40:41]
	v_or_b32_e32 v15, v2, v5
.LBB2_8232:                             ;   in Loop: Header=BB2_7586 Depth=3
	s_or_b64 exec, exec, s[38:39]
                                        ; implicit-def: $vgpr5
.LBB2_8233:                             ;   in Loop: Header=BB2_7586 Depth=3
	s_andn2_saveexec_b64 s[40:41], s[36:37]
; %bb.8234:                             ;   in Loop: Header=BB2_7586 Depth=3
	v_or_b32_e32 v15, 0x7b, v5
; %bb.8235:                             ;   in Loop: Header=BB2_7586 Depth=3
	s_or_b64 exec, exec, s[40:41]
                                        ; implicit-def: $vgpr4
                                        ; implicit-def: $vgpr2_vgpr3
.LBB2_8236:                             ;   in Loop: Header=BB2_7586 Depth=3
	s_andn2_saveexec_b64 s[40:41], s[42:43]
	s_cbranch_execz .LBB2_8242
; %bb.8237:                             ;   in Loop: Header=BB2_7586 Depth=3
	v_cmp_ne_u64_e32 vcc, 0, v[2:3]
                                        ; implicit-def: $vgpr15
	s_and_saveexec_b64 s[42:43], vcc
	s_xor_b64 s[42:43], exec, s[42:43]
; %bb.8238:                             ;   in Loop: Header=BB2_7586 Depth=3
	v_or_b32_sdwa v15, v4, s47 dst_sel:DWORD dst_unused:UNUSED_PAD src0_sel:BYTE_3 src1_sel:DWORD
                                        ; implicit-def: $vgpr4
; %bb.8239:                             ;   in Loop: Header=BB2_7586 Depth=3
	s_andn2_saveexec_b64 s[42:43], s[42:43]
; %bb.8240:                             ;   in Loop: Header=BB2_7586 Depth=3
	v_cmp_lt_i32_e32 vcc, -1, v4
	v_cndmask_b32_e32 v15, v6, v22, vcc
; %bb.8241:                             ;   in Loop: Header=BB2_7586 Depth=3
	s_or_b64 exec, exec, s[42:43]
.LBB2_8242:                             ;   in Loop: Header=BB2_7586 Depth=3
	s_or_b64 exec, exec, s[40:41]
	v_and_b32_sdwa v4, v28, s87 dst_sel:DWORD dst_unused:UNUSED_PAD src0_sel:WORD_1 src1_sel:DWORD
	v_lshrrev_b32_e32 v2, 16, v28
	v_cmp_ne_u16_e32 vcc, 0, v4
	v_mov_b32_e32 v3, 0
	s_and_saveexec_b64 s[40:41], vcc
	s_cbranch_execz .LBB2_8250
; %bb.8243:                             ;   in Loop: Header=BB2_7586 Depth=3
	v_cmp_ne_u16_e32 vcc, s96, v4
	v_bfrev_b32_e32 v3, 1
	s_and_saveexec_b64 s[42:43], vcc
	s_cbranch_execz .LBB2_8249
; %bb.8244:                             ;   in Loop: Header=BB2_7586 Depth=3
	v_and_b32_e32 v3, 0x7c0000, v28
	v_bfe_u32 v4, v28, 16, 2
	v_cmp_ne_u32_e32 vcc, s44, v3
                                        ; implicit-def: $vgpr3
	s_and_saveexec_b64 s[36:37], vcc
	s_xor_b64 s[36:37], exec, s[36:37]
	s_cbranch_execz .LBB2_8246
; %bb.8245:                             ;   in Loop: Header=BB2_7586 Depth=3
	v_ffbh_u32_e32 v3, v4
	v_min_u32_e32 v30, 32, v3
	v_subrev_u32_e32 v3, 29, v30
	v_lshlrev_b64 v[2:3], v3, v[2:3]
	v_bfe_u32 v5, v28, 18, 5
	v_and_b32_e32 v2, 3, v2
	v_cmp_eq_u32_e32 vcc, 0, v5
	v_sub_u32_e32 v3, 30, v30
	v_cndmask_b32_e32 v2, v4, v2, vcc
	v_lshlrev_b32_e32 v4, 8, v28
	v_cndmask_b32_e32 v3, v5, v3, vcc
	v_and_b32_e32 v4, 0x80000000, v4
	v_lshl_add_u32 v3, v3, 23, v4
	v_lshl_or_b32 v2, v2, 21, v3
	v_add_u32_e32 v3, 0x38000000, v2
                                        ; implicit-def: $vgpr4
                                        ; implicit-def: $vgpr2
.LBB2_8246:                             ;   in Loop: Header=BB2_7586 Depth=3
	s_andn2_saveexec_b64 s[36:37], s[36:37]
; %bb.8247:                             ;   in Loop: Header=BB2_7586 Depth=3
	v_cmp_gt_i16_sdwa vcc, sext(v2), v48 src0_sel:BYTE_0 src1_sel:DWORD
	v_cndmask_b32_e32 v2, v7, v0, vcc
	v_cmp_eq_u32_e32 vcc, 0, v4
	v_cndmask_b32_e32 v3, v35, v2, vcc
; %bb.8248:                             ;   in Loop: Header=BB2_7586 Depth=3
	s_or_b64 exec, exec, s[36:37]
.LBB2_8249:                             ;   in Loop: Header=BB2_7586 Depth=3
	s_or_b64 exec, exec, s[42:43]
.LBB2_8250:                             ;   in Loop: Header=BB2_7586 Depth=3
	s_or_b64 exec, exec, s[40:41]
	v_lshrrev_b32_e32 v2, 16, v9
	v_cmp_gt_i16_sdwa s[42:43], v2, s47 src0_sel:BYTE_0 src1_sel:DWORD
	s_mov_b64 s[40:41], 0
	s_and_saveexec_b64 vcc, s[42:43]
	s_xor_b64 s[42:43], exec, vcc
	s_cbranch_execz .LBB2_8573
; %bb.8251:                             ;   in Loop: Header=BB2_7586 Depth=3
	v_cmp_eq_u16_sdwa s[36:37], v2, s96 src0_sel:BYTE_0 src1_sel:DWORD
	s_mov_b64 s[40:41], -1
	s_and_saveexec_b64 vcc, s[36:37]
; %bb.8252:                             ;   in Loop: Header=BB2_7586 Depth=3
	s_xor_b64 s[40:41], exec, -1
; %bb.8253:                             ;   in Loop: Header=BB2_7586 Depth=3
	s_or_b64 exec, exec, vcc
	s_and_b64 s[40:41], s[40:41], exec
	s_or_saveexec_b64 s[42:43], s[42:43]
	v_bfrev_b32_e32 v4, 1
	s_xor_b64 exec, exec, s[42:43]
	s_cbranch_execnz .LBB2_8574
.LBB2_8254:                             ;   in Loop: Header=BB2_7586 Depth=3
	s_or_b64 exec, exec, s[42:43]
	s_and_saveexec_b64 s[36:37], s[40:41]
	s_cbranch_execz .LBB2_8256
.LBB2_8255:                             ;   in Loop: Header=BB2_7586 Depth=3
	v_and_b32_e32 v30, 3, v2
	v_and_b32_e32 v4, 0x7c0000, v9
	v_cmp_eq_u32_e32 vcc, s44, v4
	v_ffbh_u32_e32 v4, v30
	v_min_u32_e32 v39, 32, v4
	v_subrev_u32_e32 v4, 29, v39
	v_bfe_u32 v38, v9, 18, 5
	v_lshlrev_b64 v[4:5], v4, v[2:3]
	v_cmp_eq_u32_e64 s[40:41], 0, v38
	v_sub_u32_e32 v5, 30, v39
	v_cndmask_b32_e64 v5, v38, v5, s[40:41]
	v_lshlrev_b32_e32 v38, 24, v2
	v_and_b32_e32 v4, 3, v4
	v_and_b32_e32 v38, 0x80000000, v38
	v_cndmask_b32_e64 v4, v30, v4, s[40:41]
	v_lshl_add_u32 v5, v5, 23, v38
	v_cmp_gt_i16_sdwa s[42:43], sext(v2), v48 src0_sel:BYTE_0 src1_sel:DWORD
	v_lshl_or_b32 v4, v4, 21, v5
	v_cmp_eq_u32_e64 s[40:41], 0, v30
	v_cndmask_b32_e64 v2, v7, v0, s[42:43]
	v_add_u32_e32 v4, 0x38000000, v4
	v_cndmask_b32_e64 v2, v35, v2, s[40:41]
	v_cndmask_b32_e32 v4, v4, v2, vcc
.LBB2_8256:                             ;   in Loop: Header=BB2_7586 Depth=3
	s_or_b64 exec, exec, s[36:37]
	v_add_f32_e32 v4, v3, v4
	v_and_b32_e32 v38, 0x7f800000, v4
	v_mov_b32_e32 v39, v29
	v_cmp_ne_u64_e32 vcc, s[76:77], v[38:39]
	v_and_b32_e32 v2, 0x7fffff, v4
	v_mov_b32_e32 v3, v29
                                        ; implicit-def: $vgpr57
	s_and_saveexec_b64 s[40:41], vcc
	s_xor_b64 s[42:43], exec, s[40:41]
	s_cbranch_execz .LBB2_8270
; %bb.8257:                             ;   in Loop: Header=BB2_7586 Depth=3
	v_and_b32_e32 v38, 0x7fffffff, v4
	v_mov_b32_e32 v39, v29
	v_cmp_gt_u64_e32 vcc, s[78:79], v[38:39]
	v_and_b32_sdwa v5, v4, s96 dst_sel:DWORD dst_unused:UNUSED_PAD src0_sel:BYTE_3 src1_sel:DWORD
                                        ; implicit-def: $vgpr57
	s_and_saveexec_b64 s[40:41], vcc
	s_xor_b64 s[36:37], exec, s[40:41]
	s_cbranch_execz .LBB2_8267
; %bb.8258:                             ;   in Loop: Header=BB2_7586 Depth=3
	v_mov_b32_e32 v57, 0
	v_cmp_ne_u32_e32 vcc, 0, v4
	s_and_saveexec_b64 s[38:39], vcc
	s_cbranch_execz .LBB2_8266
; %bb.8259:                             ;   in Loop: Header=BB2_7586 Depth=3
	v_bfe_u32 v49, v4, 23, 8
	v_cmp_gt_u32_e64 s[40:41], s46, v49
	v_sub_u32_e32 v4, 0x71, v49
	v_cmp_eq_u32_e32 vcc, 0, v49
	v_cndmask_b32_e64 v4, 0, v4, s[40:41]
	v_mov_b32_e32 v38, 0x70
	v_cndmask_b32_e32 v57, v4, v38, vcc
	v_add_u32_e32 v4, 21, v57
	v_or_b32_e32 v30, 0x800000, v2
	v_lshlrev_b64 v[38:39], v4, -1
	v_cndmask_b32_e32 v2, v30, v2, vcc
	v_add_u32_e32 v4, 20, v57
	v_bfi_b32 v38, v38, 0, v2
	v_lshlrev_b64 v[58:59], v4, 1
	v_lshrrev_b64 v[2:3], v57, v[2:3]
	v_bfi_b32 v39, v39, 0, 0
	v_cmp_eq_u64_e64 s[40:41], v[38:39], v[58:59]
	v_mov_b32_e32 v4, v3
	v_mov_b32_e32 v3, v2
	s_and_saveexec_b64 s[48:49], s[40:41]
; %bb.8260:                             ;   in Loop: Header=BB2_7586 Depth=3
	v_bfe_u32 v3, v2, 21, 1
	v_add_co_u32_e64 v3, s[40:41], v2, v3
	v_add_co_u32_e64 v3, s[40:41], -1, v3
; %bb.8261:                             ;   in Loop: Header=BB2_7586 Depth=3
	s_or_b64 exec, exec, s[48:49]
	v_add_u32_e32 v4, 0xffffff81, v49
	v_cndmask_b32_e32 v4, v4, v1, vcc
	v_lshrrev_b32_e32 v30, 23, v2
	v_add3_u32 v57, v57, v4, v30
	v_add_u32_e32 v49, 14, v57
	v_and_b32_e32 v3, 0x1fffff, v3
	v_add_u32_e32 v2, v3, v2
	v_mov_b32_e32 v3, v29
	v_cmp_ne_u32_e32 vcc, 0, v49
                                        ; implicit-def: $vgpr4
	s_and_saveexec_b64 s[40:41], vcc
	s_xor_b64 s[40:41], exec, s[40:41]
; %bb.8262:                             ;   in Loop: Header=BB2_7586 Depth=3
	v_cmp_lt_u64_e32 vcc, s[88:89], v[2:3]
	v_add_u32_e32 v4, 15, v57
	v_cndmask_b32_e64 v30, 0, 1, vcc
	v_cndmask_b32_e32 v4, v49, v4, vcc
	v_lshrrev_b64 v[2:3], v30, v[2:3]
; %bb.8263:                             ;   in Loop: Header=BB2_7586 Depth=3
	s_andn2_saveexec_b64 s[40:41], s[40:41]
; %bb.8264:                             ;   in Loop: Header=BB2_7586 Depth=3
	v_bfe_u32 v4, v2, 23, 1
; %bb.8265:                             ;   in Loop: Header=BB2_7586 Depth=3
	s_or_b64 exec, exec, s[40:41]
	v_lshrrev_b64 v[2:3], 21, v[2:3]
	v_cmp_gt_i32_e32 vcc, 32, v4
	v_cndmask_b32_e32 v3, 0, v3, vcc
	v_cndmask_b32_e32 v2, 3, v2, vcc
	v_cmp_eq_u64_e64 s[40:41], 0, v[2:3]
	v_min_i32_e32 v3, 31, v4
	v_lshlrev_b32_e32 v3, 2, v3
	v_cmp_eq_u32_e32 vcc, 0, v4
	v_and_b32_e32 v3, 0xfc, v3
	v_and_or_b32 v2, v2, 3, v3
	s_and_b64 s[40:41], vcc, s[40:41]
	v_cndmask_b32_e64 v2, v2, 0, s[40:41]
	v_or_b32_e32 v57, v2, v5
.LBB2_8266:                             ;   in Loop: Header=BB2_7586 Depth=3
	s_or_b64 exec, exec, s[38:39]
                                        ; implicit-def: $vgpr5
.LBB2_8267:                             ;   in Loop: Header=BB2_7586 Depth=3
	s_andn2_saveexec_b64 s[40:41], s[36:37]
; %bb.8268:                             ;   in Loop: Header=BB2_7586 Depth=3
	v_or_b32_e32 v57, 0x7b, v5
; %bb.8269:                             ;   in Loop: Header=BB2_7586 Depth=3
	s_or_b64 exec, exec, s[40:41]
                                        ; implicit-def: $vgpr4
                                        ; implicit-def: $vgpr2_vgpr3
.LBB2_8270:                             ;   in Loop: Header=BB2_7586 Depth=3
	s_andn2_saveexec_b64 s[40:41], s[42:43]
	s_cbranch_execz .LBB2_8276
; %bb.8271:                             ;   in Loop: Header=BB2_7586 Depth=3
	v_cmp_ne_u64_e32 vcc, 0, v[2:3]
                                        ; implicit-def: $vgpr57
	s_and_saveexec_b64 s[42:43], vcc
	s_xor_b64 s[42:43], exec, s[42:43]
; %bb.8272:                             ;   in Loop: Header=BB2_7586 Depth=3
	v_or_b32_sdwa v57, v4, s47 dst_sel:DWORD dst_unused:UNUSED_PAD src0_sel:BYTE_3 src1_sel:DWORD
                                        ; implicit-def: $vgpr4
; %bb.8273:                             ;   in Loop: Header=BB2_7586 Depth=3
	s_andn2_saveexec_b64 s[42:43], s[42:43]
; %bb.8274:                             ;   in Loop: Header=BB2_7586 Depth=3
	v_cmp_lt_i32_e32 vcc, -1, v4
	v_cndmask_b32_e32 v57, v6, v22, vcc
; %bb.8275:                             ;   in Loop: Header=BB2_7586 Depth=3
	s_or_b64 exec, exec, s[42:43]
.LBB2_8276:                             ;   in Loop: Header=BB2_7586 Depth=3
	s_or_b64 exec, exec, s[40:41]
	v_cmp_lt_u32_e32 vcc, s57, v28
	v_mov_b32_e32 v3, 0
	s_and_saveexec_b64 s[40:41], vcc
	s_cbranch_execz .LBB2_8284
; %bb.8277:                             ;   in Loop: Header=BB2_7586 Depth=3
	v_lshrrev_b32_e32 v2, 24, v28
	v_cmp_ne_u32_e32 vcc, s96, v2
	v_bfrev_b32_e32 v3, 1
	s_and_saveexec_b64 s[42:43], vcc
	s_cbranch_execz .LBB2_8283
; %bb.8278:                             ;   in Loop: Header=BB2_7586 Depth=3
	v_and_b32_e32 v3, 0x7c000000, v28
	v_bfe_u32 v4, v28, 24, 2
	v_cmp_ne_u32_e32 vcc, s45, v3
                                        ; implicit-def: $vgpr3
	s_and_saveexec_b64 s[36:37], vcc
	s_xor_b64 s[36:37], exec, s[36:37]
	s_cbranch_execz .LBB2_8280
; %bb.8279:                             ;   in Loop: Header=BB2_7586 Depth=3
	v_ffbh_u32_e32 v3, v4
	v_min_u32_e32 v30, 32, v3
	v_subrev_u32_e32 v3, 29, v30
	v_lshlrev_b64 v[2:3], v3, v[2:3]
	v_bfe_u32 v5, v28, 26, 5
	v_sub_u32_e32 v3, 30, v30
	v_and_b32_e32 v2, 3, v2
	v_cmp_eq_u32_e32 vcc, 0, v5
	v_cndmask_b32_e32 v3, v5, v3, vcc
	v_cndmask_b32_e32 v2, v4, v2, vcc
	v_and_b32_e32 v4, 0x80000000, v28
	v_lshl_add_u32 v3, v3, 23, v4
	v_lshl_or_b32 v2, v2, 21, v3
	v_add_u32_e32 v3, 0x38000000, v2
                                        ; implicit-def: $vgpr4
.LBB2_8280:                             ;   in Loop: Header=BB2_7586 Depth=3
	s_andn2_saveexec_b64 s[36:37], s[36:37]
; %bb.8281:                             ;   in Loop: Header=BB2_7586 Depth=3
	v_cmp_lt_i32_e32 vcc, -1, v28
	v_cndmask_b32_e32 v2, v7, v0, vcc
	v_cmp_eq_u32_e32 vcc, 0, v4
	v_cndmask_b32_e32 v3, v35, v2, vcc
; %bb.8282:                             ;   in Loop: Header=BB2_7586 Depth=3
	s_or_b64 exec, exec, s[36:37]
.LBB2_8283:                             ;   in Loop: Header=BB2_7586 Depth=3
	s_or_b64 exec, exec, s[42:43]
.LBB2_8284:                             ;   in Loop: Header=BB2_7586 Depth=3
	s_or_b64 exec, exec, s[40:41]
	v_bfe_u32 v28, v9, 24, 2
	v_and_b32_e32 v4, 0x7c000000, v9
	v_cmp_eq_u32_e32 vcc, s45, v4
	v_ffbh_u32_e32 v4, v28
	v_min_u32_e32 v38, 32, v4
	v_lshrrev_b32_e32 v2, 24, v9
	v_subrev_u32_e32 v4, 29, v38
	v_bfe_u32 v30, v9, 26, 5
	v_lshlrev_b64 v[4:5], v4, v[2:3]
	v_cmp_eq_u32_e64 s[40:41], 0, v30
	v_sub_u32_e32 v5, 30, v38
	v_and_b32_e32 v4, 3, v4
	v_cndmask_b32_e64 v5, v30, v5, s[40:41]
	v_and_b32_e32 v30, 0x80000000, v9
	v_cmp_lt_i64_e64 s[42:43], -1, v[8:9]
	v_cndmask_b32_e64 v4, v28, v4, s[40:41]
	v_lshl_add_u32 v5, v5, 23, v30
	v_lshl_or_b32 v4, v4, 21, v5
	v_cmp_eq_u32_e64 s[40:41], 0, v28
	v_cndmask_b32_e64 v5, v7, v0, s[42:43]
	v_add_u32_e32 v4, 0x38000000, v4
	v_cndmask_b32_e64 v5, v35, v5, s[40:41]
	v_cndmask_b32_e32 v4, v4, v5, vcc
	v_cmp_ne_u32_e32 vcc, s96, v2
	v_bfrev_b32_e32 v2, 1
	v_cndmask_b32_e32 v2, v2, v4, vcc
	v_cmp_lt_u64_e32 vcc, s[56:57], v[8:9]
	v_mov_b32_e32 v4, v29
	v_cndmask_b32_e32 v2, 0, v2, vcc
	v_add_f32_e32 v2, v2, v3
	v_and_b32_e32 v3, 0x7f800000, v2
	v_cmp_ne_u64_e32 vcc, s[76:77], v[3:4]
	v_and_b32_e32 v28, 0x7fffff, v2
                                        ; implicit-def: $vgpr58
	s_and_saveexec_b64 s[40:41], vcc
	s_xor_b64 s[42:43], exec, s[40:41]
	s_cbranch_execz .LBB2_8298
; %bb.8285:                             ;   in Loop: Header=BB2_7586 Depth=3
	v_and_b32_e32 v3, 0x7fffffff, v2
	v_mov_b32_e32 v4, v29
	v_cmp_gt_u64_e32 vcc, s[78:79], v[3:4]
	v_and_b32_sdwa v5, v2, s96 dst_sel:DWORD dst_unused:UNUSED_PAD src0_sel:BYTE_3 src1_sel:DWORD
                                        ; implicit-def: $vgpr58
	s_and_saveexec_b64 s[40:41], vcc
	s_xor_b64 s[36:37], exec, s[40:41]
	s_cbranch_execz .LBB2_8295
; %bb.8286:                             ;   in Loop: Header=BB2_7586 Depth=3
	v_mov_b32_e32 v58, 0
	v_cmp_ne_u32_e32 vcc, 0, v2
	s_and_saveexec_b64 s[38:39], vcc
	s_cbranch_execz .LBB2_8294
; %bb.8287:                             ;   in Loop: Header=BB2_7586 Depth=3
	v_bfe_u32 v8, v2, 23, 8
	v_cmp_gt_u32_e64 s[40:41], s46, v8
	v_sub_u32_e32 v2, 0x71, v8
	v_cmp_eq_u32_e32 vcc, 0, v8
	v_cndmask_b32_e64 v2, 0, v2, s[40:41]
	v_mov_b32_e32 v4, 0x70
	v_cndmask_b32_e32 v9, v2, v4, vcc
	v_add_u32_e32 v4, 21, v9
	v_or_b32_e32 v3, 0x800000, v28
	v_lshlrev_b64 v[38:39], v4, -1
	v_cndmask_b32_e32 v2, v3, v28, vcc
	v_mov_b32_e32 v3, v29
	v_add_u32_e32 v4, 20, v9
	v_bfi_b32 v38, v38, 0, v2
	v_lshlrev_b64 v[58:59], v4, 1
	v_lshrrev_b64 v[2:3], v9, v[2:3]
	v_bfi_b32 v39, v39, 0, 0
	v_cmp_eq_u64_e64 s[40:41], v[38:39], v[58:59]
	v_mov_b32_e32 v4, v3
	v_mov_b32_e32 v3, v2
	s_and_saveexec_b64 s[48:49], s[40:41]
; %bb.8288:                             ;   in Loop: Header=BB2_7586 Depth=3
	v_bfe_u32 v3, v2, 21, 1
	v_add_co_u32_e64 v3, s[40:41], v2, v3
	v_add_co_u32_e64 v3, s[40:41], -1, v3
; %bb.8289:                             ;   in Loop: Header=BB2_7586 Depth=3
	s_or_b64 exec, exec, s[48:49]
	v_add_u32_e32 v4, 0xffffff81, v8
	v_cndmask_b32_e32 v4, v4, v1, vcc
	v_lshrrev_b32_e32 v8, 23, v2
	v_add3_u32 v9, v9, v4, v8
	v_add_u32_e32 v8, 14, v9
	v_and_b32_e32 v3, 0x1fffff, v3
	v_add_u32_e32 v28, v3, v2
	v_cmp_ne_u32_e32 vcc, 0, v8
                                        ; implicit-def: $vgpr2_vgpr3
                                        ; implicit-def: $vgpr4
	s_and_saveexec_b64 s[40:41], vcc
	s_xor_b64 s[40:41], exec, s[40:41]
; %bb.8290:                             ;   in Loop: Header=BB2_7586 Depth=3
	v_cmp_lt_u64_e32 vcc, s[88:89], v[28:29]
	v_add_u32_e32 v2, 15, v9
	v_cndmask_b32_e32 v4, v8, v2, vcc
	v_cndmask_b32_e64 v2, 0, 1, vcc
	v_lshrrev_b64 v[2:3], v2, v[28:29]
; %bb.8291:                             ;   in Loop: Header=BB2_7586 Depth=3
	s_andn2_saveexec_b64 s[40:41], s[40:41]
; %bb.8292:                             ;   in Loop: Header=BB2_7586 Depth=3
	v_mov_b32_e32 v2, v28
	v_mov_b32_e32 v3, v29
	v_bfe_u32 v4, v28, 23, 1
; %bb.8293:                             ;   in Loop: Header=BB2_7586 Depth=3
	s_or_b64 exec, exec, s[40:41]
	v_lshrrev_b64 v[2:3], 21, v[2:3]
	v_cmp_gt_i32_e32 vcc, 32, v4
	v_cndmask_b32_e32 v3, 0, v3, vcc
	v_cndmask_b32_e32 v2, 3, v2, vcc
	v_cmp_eq_u64_e64 s[40:41], 0, v[2:3]
	v_min_i32_e32 v3, 31, v4
	v_lshlrev_b32_e32 v3, 2, v3
	v_cmp_eq_u32_e32 vcc, 0, v4
	v_and_b32_e32 v3, 0xfc, v3
	v_and_or_b32 v2, v2, 3, v3
	s_and_b64 s[40:41], vcc, s[40:41]
	v_cndmask_b32_e64 v2, v2, 0, s[40:41]
	v_or_b32_e32 v58, v2, v5
.LBB2_8294:                             ;   in Loop: Header=BB2_7586 Depth=3
	s_or_b64 exec, exec, s[38:39]
                                        ; implicit-def: $vgpr5
.LBB2_8295:                             ;   in Loop: Header=BB2_7586 Depth=3
	s_andn2_saveexec_b64 s[40:41], s[36:37]
; %bb.8296:                             ;   in Loop: Header=BB2_7586 Depth=3
	v_or_b32_e32 v58, 0x7b, v5
; %bb.8297:                             ;   in Loop: Header=BB2_7586 Depth=3
	s_or_b64 exec, exec, s[40:41]
                                        ; implicit-def: $vgpr2
.LBB2_8298:                             ;   in Loop: Header=BB2_7586 Depth=3
	s_andn2_saveexec_b64 s[40:41], s[42:43]
	s_cbranch_execz .LBB2_8304
; %bb.8299:                             ;   in Loop: Header=BB2_7586 Depth=3
	v_cmp_ne_u64_e32 vcc, 0, v[28:29]
                                        ; implicit-def: $vgpr58
	s_and_saveexec_b64 s[42:43], vcc
	s_xor_b64 s[42:43], exec, s[42:43]
; %bb.8300:                             ;   in Loop: Header=BB2_7586 Depth=3
	v_or_b32_sdwa v58, v2, s47 dst_sel:DWORD dst_unused:UNUSED_PAD src0_sel:BYTE_3 src1_sel:DWORD
                                        ; implicit-def: $vgpr2
; %bb.8301:                             ;   in Loop: Header=BB2_7586 Depth=3
	s_andn2_saveexec_b64 s[42:43], s[42:43]
; %bb.8302:                             ;   in Loop: Header=BB2_7586 Depth=3
	v_cmp_lt_i32_e32 vcc, -1, v2
	v_cndmask_b32_e32 v58, v6, v22, vcc
; %bb.8303:                             ;   in Loop: Header=BB2_7586 Depth=3
	s_or_b64 exec, exec, s[42:43]
.LBB2_8304:                             ;   in Loop: Header=BB2_7586 Depth=3
	s_or_b64 exec, exec, s[40:41]
	v_lshl_or_b32 v5, v54, 8, v37
	v_lshlrev_b32_e32 v2, 16, v47
	v_lshlrev_b32_e32 v3, 24, v56
	v_or3_b32 v28, v2, v3, v5
	v_cmp_ne_u32_e32 vcc, 0, v37
	v_mov_b32_e32 v2, 0
	s_and_saveexec_b64 s[42:43], vcc
	s_cbranch_execz .LBB2_8312
; %bb.8305:                             ;   in Loop: Header=BB2_7586 Depth=3
	v_cmp_ne_u32_e32 vcc, s96, v37
	v_bfrev_b32_e32 v2, 1
	s_and_saveexec_b64 s[36:37], vcc
	s_cbranch_execz .LBB2_8311
; %bb.8306:                             ;   in Loop: Header=BB2_7586 Depth=3
	v_and_b32_e32 v2, 0x7c, v37
	v_and_b32_e32 v3, 3, v37
	v_cmp_ne_u32_e32 vcc, s85, v2
                                        ; implicit-def: $vgpr2
	s_and_saveexec_b64 s[40:41], vcc
	s_xor_b64 s[40:41], exec, s[40:41]
	s_cbranch_execz .LBB2_8308
; %bb.8307:                             ;   in Loop: Header=BB2_7586 Depth=3
	v_ffbh_u32_e32 v4, v3
	v_min_u32_e32 v4, 32, v4
	v_bfe_u32 v2, v37, 2, 5
	v_subrev_u32_e32 v8, 29, v4
	v_lshlrev_b64 v[8:9], v8, v[28:29]
	v_sub_u32_e32 v4, 30, v4
	v_cmp_eq_u32_e32 vcc, 0, v2
	v_cndmask_b32_e32 v2, v2, v4, vcc
	v_lshlrev_b32_e32 v4, 24, v37
	v_and_b32_e32 v8, 3, v8
	v_and_b32_e32 v4, 0x80000000, v4
	v_cndmask_b32_e32 v3, v3, v8, vcc
	v_lshl_add_u32 v2, v2, 23, v4
	v_lshl_or_b32 v2, v3, 21, v2
	v_add_u32_e32 v2, 0x38000000, v2
                                        ; implicit-def: $vgpr3
                                        ; implicit-def: $vgpr37
.LBB2_8308:                             ;   in Loop: Header=BB2_7586 Depth=3
	s_andn2_saveexec_b64 s[38:39], s[40:41]
; %bb.8309:                             ;   in Loop: Header=BB2_7586 Depth=3
	v_and_b32_e32 v2, 0x80, v37
	v_cmp_eq_u32_e64 s[40:41], 0, v2
	v_cmp_eq_u32_e32 vcc, 0, v3
	v_cndmask_b32_e64 v2, v7, v0, s[40:41]
	v_cndmask_b32_e32 v2, v35, v2, vcc
; %bb.8310:                             ;   in Loop: Header=BB2_7586 Depth=3
	s_or_b64 exec, exec, s[38:39]
.LBB2_8311:                             ;   in Loop: Header=BB2_7586 Depth=3
	s_or_b64 exec, exec, s[36:37]
.LBB2_8312:                             ;   in Loop: Header=BB2_7586 Depth=3
	s_or_b64 exec, exec, s[42:43]
	v_cmp_gt_i16_sdwa s[42:43], v10, s47 src0_sel:BYTE_0 src1_sel:DWORD
	s_mov_b64 s[40:41], 0
	s_and_saveexec_b64 vcc, s[42:43]
	s_xor_b64 s[42:43], exec, vcc
	s_cbranch_execz .LBB2_8575
; %bb.8313:                             ;   in Loop: Header=BB2_7586 Depth=3
	v_cmp_eq_u16_sdwa s[36:37], v10, s96 src0_sel:BYTE_0 src1_sel:DWORD
	s_mov_b64 s[40:41], -1
	s_and_saveexec_b64 vcc, s[36:37]
; %bb.8314:                             ;   in Loop: Header=BB2_7586 Depth=3
	s_xor_b64 s[40:41], exec, -1
; %bb.8315:                             ;   in Loop: Header=BB2_7586 Depth=3
	s_or_b64 exec, exec, vcc
	s_and_b64 s[40:41], s[40:41], exec
	s_or_saveexec_b64 s[42:43], s[42:43]
	v_bfrev_b32_e32 v3, 1
	s_xor_b64 exec, exec, s[42:43]
	s_cbranch_execnz .LBB2_8576
.LBB2_8316:                             ;   in Loop: Header=BB2_7586 Depth=3
	s_or_b64 exec, exec, s[42:43]
	s_and_saveexec_b64 s[36:37], s[40:41]
	s_cbranch_execz .LBB2_8318
.LBB2_8317:                             ;   in Loop: Header=BB2_7586 Depth=3
	v_and_b32_e32 v8, 3, v10
	v_and_b32_e32 v3, 0x7c, v10
	v_cmp_eq_u32_e32 vcc, s85, v3
	v_ffbh_u32_e32 v3, v8
	v_min_u32_e32 v30, 32, v3
	v_subrev_u32_e32 v3, 29, v30
	v_bfe_u32 v9, v10, 2, 5
	v_lshlrev_b64 v[3:4], v3, v[10:11]
	v_cmp_eq_u32_e64 s[40:41], 0, v9
	v_sub_u32_e32 v4, 30, v30
	v_cndmask_b32_e64 v4, v9, v4, s[40:41]
	v_lshlrev_b32_e32 v9, 24, v10
	v_and_b32_e32 v3, 3, v3
	v_and_b32_e32 v9, 0x80000000, v9
	v_cndmask_b32_e64 v3, v8, v3, s[40:41]
	v_lshl_add_u32 v4, v4, 23, v9
	v_cmp_gt_i16_sdwa s[42:43], sext(v10), v48 src0_sel:BYTE_0 src1_sel:DWORD
	v_lshl_or_b32 v3, v3, 21, v4
	v_cmp_eq_u32_e64 s[40:41], 0, v8
	v_cndmask_b32_e64 v4, v7, v0, s[42:43]
	v_add_u32_e32 v3, 0x38000000, v3
	v_cndmask_b32_e64 v4, v35, v4, s[40:41]
	v_cndmask_b32_e32 v3, v3, v4, vcc
.LBB2_8318:                             ;   in Loop: Header=BB2_7586 Depth=3
	s_or_b64 exec, exec, s[36:37]
	v_add_f32_e32 v4, v2, v3
	v_and_b32_e32 v8, 0x7f800000, v4
	v_mov_b32_e32 v9, v29
	v_cmp_ne_u64_e32 vcc, s[76:77], v[8:9]
	v_and_b32_e32 v2, 0x7fffff, v4
	v_mov_b32_e32 v3, v29
                                        ; implicit-def: $vgpr37
	s_and_saveexec_b64 s[40:41], vcc
	s_xor_b64 s[42:43], exec, s[40:41]
	s_cbranch_execz .LBB2_8332
; %bb.8319:                             ;   in Loop: Header=BB2_7586 Depth=3
	v_and_b32_e32 v8, 0x7fffffff, v4
	v_mov_b32_e32 v9, v29
	v_cmp_gt_u64_e32 vcc, s[78:79], v[8:9]
	v_and_b32_sdwa v8, v4, s96 dst_sel:DWORD dst_unused:UNUSED_PAD src0_sel:BYTE_3 src1_sel:DWORD
                                        ; implicit-def: $vgpr37
	s_and_saveexec_b64 s[40:41], vcc
	s_xor_b64 s[36:37], exec, s[40:41]
	s_cbranch_execz .LBB2_8329
; %bb.8320:                             ;   in Loop: Header=BB2_7586 Depth=3
	v_mov_b32_e32 v37, 0
	v_cmp_ne_u32_e32 vcc, 0, v4
	s_and_saveexec_b64 s[38:39], vcc
	s_cbranch_execz .LBB2_8328
; %bb.8321:                             ;   in Loop: Header=BB2_7586 Depth=3
	v_bfe_u32 v9, v4, 23, 8
	v_cmp_gt_u32_e64 s[40:41], s46, v9
	v_sub_u32_e32 v4, 0x71, v9
	v_cmp_eq_u32_e32 vcc, 0, v9
	v_cndmask_b32_e64 v4, 0, v4, s[40:41]
	v_mov_b32_e32 v37, 0x70
	v_cndmask_b32_e32 v37, v4, v37, vcc
	v_add_u32_e32 v4, 21, v37
	v_or_b32_e32 v30, 0x800000, v2
	v_lshlrev_b64 v[38:39], v4, -1
	v_cndmask_b32_e32 v2, v30, v2, vcc
	v_add_u32_e32 v4, 20, v37
	v_bfi_b32 v38, v38, 0, v2
	v_lshlrev_b64 v[59:60], v4, 1
	v_lshrrev_b64 v[2:3], v37, v[2:3]
	v_bfi_b32 v39, v39, 0, 0
	v_cmp_eq_u64_e64 s[40:41], v[38:39], v[59:60]
	v_mov_b32_e32 v4, v3
	v_mov_b32_e32 v3, v2
	s_and_saveexec_b64 s[48:49], s[40:41]
; %bb.8322:                             ;   in Loop: Header=BB2_7586 Depth=3
	v_bfe_u32 v3, v2, 21, 1
	v_add_co_u32_e64 v3, s[40:41], v2, v3
	v_add_co_u32_e64 v3, s[40:41], -1, v3
; %bb.8323:                             ;   in Loop: Header=BB2_7586 Depth=3
	s_or_b64 exec, exec, s[48:49]
	v_add_u32_e32 v4, 0xffffff81, v9
	v_cndmask_b32_e32 v4, v4, v1, vcc
	v_lshrrev_b32_e32 v9, 23, v2
	v_add3_u32 v37, v37, v4, v9
	v_add_u32_e32 v9, 14, v37
	v_and_b32_e32 v3, 0x1fffff, v3
	v_add_u32_e32 v2, v3, v2
	v_mov_b32_e32 v3, v29
	v_cmp_ne_u32_e32 vcc, 0, v9
                                        ; implicit-def: $vgpr4
	s_and_saveexec_b64 s[40:41], vcc
	s_xor_b64 s[40:41], exec, s[40:41]
; %bb.8324:                             ;   in Loop: Header=BB2_7586 Depth=3
	v_cmp_lt_u64_e32 vcc, s[88:89], v[2:3]
	v_add_u32_e32 v4, 15, v37
	v_cndmask_b32_e32 v4, v9, v4, vcc
	v_cndmask_b32_e64 v9, 0, 1, vcc
	v_lshrrev_b64 v[2:3], v9, v[2:3]
; %bb.8325:                             ;   in Loop: Header=BB2_7586 Depth=3
	s_andn2_saveexec_b64 s[40:41], s[40:41]
; %bb.8326:                             ;   in Loop: Header=BB2_7586 Depth=3
	v_bfe_u32 v4, v2, 23, 1
; %bb.8327:                             ;   in Loop: Header=BB2_7586 Depth=3
	s_or_b64 exec, exec, s[40:41]
	v_lshrrev_b64 v[2:3], 21, v[2:3]
	v_cmp_gt_i32_e32 vcc, 32, v4
	v_cndmask_b32_e32 v3, 0, v3, vcc
	v_cndmask_b32_e32 v2, 3, v2, vcc
	v_cmp_eq_u64_e64 s[40:41], 0, v[2:3]
	v_min_i32_e32 v3, 31, v4
	v_lshlrev_b32_e32 v3, 2, v3
	v_cmp_eq_u32_e32 vcc, 0, v4
	v_and_b32_e32 v3, 0xfc, v3
	v_and_or_b32 v2, v2, 3, v3
	s_and_b64 s[40:41], vcc, s[40:41]
	v_cndmask_b32_e64 v2, v2, 0, s[40:41]
	v_or_b32_e32 v37, v2, v8
.LBB2_8328:                             ;   in Loop: Header=BB2_7586 Depth=3
	s_or_b64 exec, exec, s[38:39]
                                        ; implicit-def: $vgpr8
.LBB2_8329:                             ;   in Loop: Header=BB2_7586 Depth=3
	s_andn2_saveexec_b64 s[40:41], s[36:37]
; %bb.8330:                             ;   in Loop: Header=BB2_7586 Depth=3
	v_or_b32_e32 v37, 0x7b, v8
; %bb.8331:                             ;   in Loop: Header=BB2_7586 Depth=3
	s_or_b64 exec, exec, s[40:41]
                                        ; implicit-def: $vgpr4
                                        ; implicit-def: $vgpr2_vgpr3
.LBB2_8332:                             ;   in Loop: Header=BB2_7586 Depth=3
	s_andn2_saveexec_b64 s[40:41], s[42:43]
	s_cbranch_execz .LBB2_8338
; %bb.8333:                             ;   in Loop: Header=BB2_7586 Depth=3
	v_cmp_ne_u64_e32 vcc, 0, v[2:3]
                                        ; implicit-def: $vgpr37
	s_and_saveexec_b64 s[42:43], vcc
	s_xor_b64 s[42:43], exec, s[42:43]
; %bb.8334:                             ;   in Loop: Header=BB2_7586 Depth=3
	v_or_b32_sdwa v37, v4, s47 dst_sel:DWORD dst_unused:UNUSED_PAD src0_sel:BYTE_3 src1_sel:DWORD
                                        ; implicit-def: $vgpr4
; %bb.8335:                             ;   in Loop: Header=BB2_7586 Depth=3
	s_andn2_saveexec_b64 s[42:43], s[42:43]
; %bb.8336:                             ;   in Loop: Header=BB2_7586 Depth=3
	v_cmp_lt_i32_e32 vcc, -1, v4
	v_cndmask_b32_e32 v37, v6, v22, vcc
; %bb.8337:                             ;   in Loop: Header=BB2_7586 Depth=3
	s_or_b64 exec, exec, s[42:43]
.LBB2_8338:                             ;   in Loop: Header=BB2_7586 Depth=3
	s_or_b64 exec, exec, s[40:41]
	v_lshrrev_b16_e32 v2, 8, v5
	v_cmp_ne_u16_e32 vcc, 0, v2
	v_mov_b32_e32 v4, 0
	s_and_saveexec_b64 s[40:41], vcc
	s_cbranch_execz .LBB2_8346
; %bb.8339:                             ;   in Loop: Header=BB2_7586 Depth=3
	v_cmp_ne_u16_e32 vcc, s96, v2
	v_bfrev_b32_e32 v4, 1
	s_and_saveexec_b64 s[42:43], vcc
	s_cbranch_execz .LBB2_8345
; %bb.8340:                             ;   in Loop: Header=BB2_7586 Depth=3
	v_and_b32_e32 v3, 0x7c, v2
	v_and_b32_e32 v8, 3, v2
	v_cmp_ne_u32_e32 vcc, s85, v3
                                        ; implicit-def: $vgpr4
	s_and_saveexec_b64 s[36:37], vcc
	s_xor_b64 s[36:37], exec, s[36:37]
	s_cbranch_execz .LBB2_8342
; %bb.8341:                             ;   in Loop: Header=BB2_7586 Depth=3
	v_ffbh_u32_e32 v9, v8
	v_min_u32_e32 v9, 32, v9
	v_mov_b32_e32 v3, v29
	v_subrev_u32_e32 v30, 29, v9
	v_bfe_u32 v4, v2, 2, 5
	v_lshlrev_b64 v[2:3], v30, v[2:3]
	v_sub_u32_e32 v3, 30, v9
	v_cmp_eq_u32_e32 vcc, 0, v4
	v_cndmask_b32_e32 v3, v4, v3, vcc
	v_lshlrev_b32_e32 v4, 16, v5
	v_and_b32_e32 v2, 3, v2
	v_and_b32_e32 v4, 0x80000000, v4
	v_cndmask_b32_e32 v2, v8, v2, vcc
	v_lshl_add_u32 v3, v3, 23, v4
	v_lshl_or_b32 v2, v2, 21, v3
	v_add_u32_e32 v4, 0x38000000, v2
                                        ; implicit-def: $vgpr8
                                        ; implicit-def: $vgpr5
.LBB2_8342:                             ;   in Loop: Header=BB2_7586 Depth=3
	s_andn2_saveexec_b64 s[36:37], s[36:37]
; %bb.8343:                             ;   in Loop: Header=BB2_7586 Depth=3
	v_cmp_lt_i16_e32 vcc, -1, v5
	v_cndmask_b32_e32 v2, v7, v0, vcc
	v_cmp_eq_u32_e32 vcc, 0, v8
	v_cndmask_b32_e32 v4, v35, v2, vcc
; %bb.8344:                             ;   in Loop: Header=BB2_7586 Depth=3
	s_or_b64 exec, exec, s[36:37]
.LBB2_8345:                             ;   in Loop: Header=BB2_7586 Depth=3
	s_or_b64 exec, exec, s[42:43]
.LBB2_8346:                             ;   in Loop: Header=BB2_7586 Depth=3
	s_or_b64 exec, exec, s[40:41]
	v_lshrrev_b16_e32 v2, 8, v10
	v_cmp_lt_i16_e32 vcc, s47, v2
	s_mov_b64 s[40:41], 0
	s_and_saveexec_b64 s[42:43], vcc
	s_xor_b64 s[42:43], exec, s[42:43]
	s_cbranch_execz .LBB2_8577
; %bb.8347:                             ;   in Loop: Header=BB2_7586 Depth=3
	v_cmp_eq_u16_e32 vcc, s96, v2
	s_mov_b64 s[40:41], -1
	s_and_saveexec_b64 s[36:37], vcc
; %bb.8348:                             ;   in Loop: Header=BB2_7586 Depth=3
	s_xor_b64 s[40:41], exec, -1
; %bb.8349:                             ;   in Loop: Header=BB2_7586 Depth=3
	s_or_b64 exec, exec, s[36:37]
	s_and_b64 s[40:41], s[40:41], exec
	s_or_saveexec_b64 s[42:43], s[42:43]
	v_bfrev_b32_e32 v3, 1
	s_xor_b64 exec, exec, s[42:43]
	s_cbranch_execnz .LBB2_8578
.LBB2_8350:                             ;   in Loop: Header=BB2_7586 Depth=3
	s_or_b64 exec, exec, s[42:43]
	s_and_saveexec_b64 s[36:37], s[40:41]
	s_cbranch_execz .LBB2_8352
.LBB2_8351:                             ;   in Loop: Header=BB2_7586 Depth=3
	v_and_b32_e32 v5, 3, v2
	v_and_b32_e32 v8, 0x7c, v2
	v_cmp_eq_u32_e32 vcc, s85, v8
	v_ffbh_u32_e32 v8, v5
	v_min_u32_e32 v38, 32, v8
	v_mov_b32_e32 v3, v29
	v_subrev_u32_e32 v8, 29, v38
	v_bfe_u32 v30, v2, 2, 5
	v_lshlrev_b64 v[8:9], v8, v[2:3]
	v_cmp_eq_u32_e64 s[40:41], 0, v30
	v_sub_u32_e32 v3, 30, v38
	v_lshlrev_b32_e32 v2, 24, v2
	v_and_b32_e32 v8, 3, v8
	v_cndmask_b32_e64 v3, v30, v3, s[40:41]
	v_and_b32_e32 v2, 0x80000000, v2
	v_cndmask_b32_e64 v8, v5, v8, s[40:41]
	v_lshl_add_u32 v2, v3, 23, v2
	v_cmp_lt_i16_e64 s[42:43], -1, v10
	v_lshl_or_b32 v2, v8, 21, v2
	v_cmp_eq_u32_e64 s[40:41], 0, v5
	v_cndmask_b32_e64 v3, v7, v0, s[42:43]
	v_add_u32_e32 v2, 0x38000000, v2
	v_cndmask_b32_e64 v3, v35, v3, s[40:41]
	v_cndmask_b32_e32 v3, v2, v3, vcc
.LBB2_8352:                             ;   in Loop: Header=BB2_7586 Depth=3
	s_or_b64 exec, exec, s[36:37]
	v_add_f32_e32 v4, v4, v3
	v_and_b32_e32 v8, 0x7f800000, v4
	v_mov_b32_e32 v9, v29
	v_cmp_ne_u64_e32 vcc, s[76:77], v[8:9]
	v_and_b32_e32 v2, 0x7fffff, v4
	v_mov_b32_e32 v3, v29
                                        ; implicit-def: $vgpr54
	s_and_saveexec_b64 s[40:41], vcc
	s_xor_b64 s[42:43], exec, s[40:41]
	s_cbranch_execz .LBB2_8366
; %bb.8353:                             ;   in Loop: Header=BB2_7586 Depth=3
	v_and_b32_e32 v8, 0x7fffffff, v4
	v_mov_b32_e32 v9, v29
	v_cmp_gt_u64_e32 vcc, s[78:79], v[8:9]
	v_and_b32_sdwa v5, v4, s96 dst_sel:DWORD dst_unused:UNUSED_PAD src0_sel:BYTE_3 src1_sel:DWORD
                                        ; implicit-def: $vgpr54
	s_and_saveexec_b64 s[40:41], vcc
	s_xor_b64 s[36:37], exec, s[40:41]
	s_cbranch_execz .LBB2_8363
; %bb.8354:                             ;   in Loop: Header=BB2_7586 Depth=3
	v_mov_b32_e32 v54, 0
	v_cmp_ne_u32_e32 vcc, 0, v4
	s_and_saveexec_b64 s[38:39], vcc
	s_cbranch_execz .LBB2_8362
; %bb.8355:                             ;   in Loop: Header=BB2_7586 Depth=3
	v_bfe_u32 v8, v4, 23, 8
	v_cmp_gt_u32_e64 s[40:41], s46, v8
	v_sub_u32_e32 v4, 0x71, v8
	v_cmp_eq_u32_e32 vcc, 0, v8
	v_cndmask_b32_e64 v4, 0, v4, s[40:41]
	v_mov_b32_e32 v9, 0x70
	v_cndmask_b32_e32 v9, v4, v9, vcc
	v_add_u32_e32 v4, 21, v9
	v_or_b32_e32 v30, 0x800000, v2
	v_lshlrev_b64 v[38:39], v4, -1
	v_cndmask_b32_e32 v2, v30, v2, vcc
	v_add_u32_e32 v4, 20, v9
	v_bfi_b32 v38, v38, 0, v2
	v_lshlrev_b64 v[59:60], v4, 1
	v_lshrrev_b64 v[2:3], v9, v[2:3]
	v_bfi_b32 v39, v39, 0, 0
	v_cmp_eq_u64_e64 s[40:41], v[38:39], v[59:60]
	v_mov_b32_e32 v4, v3
	v_mov_b32_e32 v3, v2
	s_and_saveexec_b64 s[48:49], s[40:41]
; %bb.8356:                             ;   in Loop: Header=BB2_7586 Depth=3
	v_bfe_u32 v3, v2, 21, 1
	v_add_co_u32_e64 v3, s[40:41], v2, v3
	v_add_co_u32_e64 v3, s[40:41], -1, v3
; %bb.8357:                             ;   in Loop: Header=BB2_7586 Depth=3
	s_or_b64 exec, exec, s[48:49]
	v_add_u32_e32 v4, 0xffffff81, v8
	v_cndmask_b32_e32 v4, v4, v1, vcc
	v_lshrrev_b32_e32 v8, 23, v2
	v_add3_u32 v9, v9, v4, v8
	v_add_u32_e32 v8, 14, v9
	v_and_b32_e32 v3, 0x1fffff, v3
	v_add_u32_e32 v2, v3, v2
	v_mov_b32_e32 v3, v29
	v_cmp_ne_u32_e32 vcc, 0, v8
                                        ; implicit-def: $vgpr4
	s_and_saveexec_b64 s[40:41], vcc
	s_xor_b64 s[40:41], exec, s[40:41]
; %bb.8358:                             ;   in Loop: Header=BB2_7586 Depth=3
	v_cmp_lt_u64_e32 vcc, s[88:89], v[2:3]
	v_add_u32_e32 v4, 15, v9
	v_cndmask_b32_e32 v4, v8, v4, vcc
	v_cndmask_b32_e64 v8, 0, 1, vcc
	v_lshrrev_b64 v[2:3], v8, v[2:3]
; %bb.8359:                             ;   in Loop: Header=BB2_7586 Depth=3
	s_andn2_saveexec_b64 s[40:41], s[40:41]
; %bb.8360:                             ;   in Loop: Header=BB2_7586 Depth=3
	v_bfe_u32 v4, v2, 23, 1
; %bb.8361:                             ;   in Loop: Header=BB2_7586 Depth=3
	s_or_b64 exec, exec, s[40:41]
	v_lshrrev_b64 v[2:3], 21, v[2:3]
	v_cmp_gt_i32_e32 vcc, 32, v4
	v_cndmask_b32_e32 v3, 0, v3, vcc
	v_cndmask_b32_e32 v2, 3, v2, vcc
	v_cmp_eq_u64_e64 s[40:41], 0, v[2:3]
	v_min_i32_e32 v3, 31, v4
	v_lshlrev_b32_e32 v3, 2, v3
	v_cmp_eq_u32_e32 vcc, 0, v4
	v_and_b32_e32 v3, 0xfc, v3
	v_and_or_b32 v2, v2, 3, v3
	s_and_b64 s[40:41], vcc, s[40:41]
	v_cndmask_b32_e64 v2, v2, 0, s[40:41]
	v_or_b32_e32 v54, v2, v5
.LBB2_8362:                             ;   in Loop: Header=BB2_7586 Depth=3
	s_or_b64 exec, exec, s[38:39]
                                        ; implicit-def: $vgpr5
.LBB2_8363:                             ;   in Loop: Header=BB2_7586 Depth=3
	s_andn2_saveexec_b64 s[40:41], s[36:37]
; %bb.8364:                             ;   in Loop: Header=BB2_7586 Depth=3
	v_or_b32_e32 v54, 0x7b, v5
; %bb.8365:                             ;   in Loop: Header=BB2_7586 Depth=3
	s_or_b64 exec, exec, s[40:41]
                                        ; implicit-def: $vgpr4
                                        ; implicit-def: $vgpr2_vgpr3
.LBB2_8366:                             ;   in Loop: Header=BB2_7586 Depth=3
	s_andn2_saveexec_b64 s[40:41], s[42:43]
	s_cbranch_execz .LBB2_8372
; %bb.8367:                             ;   in Loop: Header=BB2_7586 Depth=3
	v_cmp_ne_u64_e32 vcc, 0, v[2:3]
                                        ; implicit-def: $vgpr54
	s_and_saveexec_b64 s[42:43], vcc
	s_xor_b64 s[42:43], exec, s[42:43]
; %bb.8368:                             ;   in Loop: Header=BB2_7586 Depth=3
	v_or_b32_sdwa v54, v4, s47 dst_sel:DWORD dst_unused:UNUSED_PAD src0_sel:BYTE_3 src1_sel:DWORD
                                        ; implicit-def: $vgpr4
; %bb.8369:                             ;   in Loop: Header=BB2_7586 Depth=3
	s_andn2_saveexec_b64 s[42:43], s[42:43]
; %bb.8370:                             ;   in Loop: Header=BB2_7586 Depth=3
	v_cmp_lt_i32_e32 vcc, -1, v4
	v_cndmask_b32_e32 v54, v6, v22, vcc
; %bb.8371:                             ;   in Loop: Header=BB2_7586 Depth=3
	s_or_b64 exec, exec, s[42:43]
.LBB2_8372:                             ;   in Loop: Header=BB2_7586 Depth=3
	s_or_b64 exec, exec, s[40:41]
	v_and_b32_sdwa v4, v28, s87 dst_sel:DWORD dst_unused:UNUSED_PAD src0_sel:WORD_1 src1_sel:DWORD
	v_lshrrev_b32_e32 v2, 16, v28
	v_cmp_ne_u16_e32 vcc, 0, v4
	v_mov_b32_e32 v3, 0
	s_and_saveexec_b64 s[40:41], vcc
	s_cbranch_execz .LBB2_8380
; %bb.8373:                             ;   in Loop: Header=BB2_7586 Depth=3
	v_cmp_ne_u16_e32 vcc, s96, v4
	v_bfrev_b32_e32 v3, 1
	s_and_saveexec_b64 s[42:43], vcc
	s_cbranch_execz .LBB2_8379
; %bb.8374:                             ;   in Loop: Header=BB2_7586 Depth=3
	v_and_b32_e32 v3, 0x7c0000, v28
	v_bfe_u32 v4, v28, 16, 2
	v_cmp_ne_u32_e32 vcc, s44, v3
                                        ; implicit-def: $vgpr3
	s_and_saveexec_b64 s[36:37], vcc
	s_xor_b64 s[36:37], exec, s[36:37]
	s_cbranch_execz .LBB2_8376
; %bb.8375:                             ;   in Loop: Header=BB2_7586 Depth=3
	v_ffbh_u32_e32 v3, v4
	v_min_u32_e32 v8, 32, v3
	v_subrev_u32_e32 v3, 29, v8
	v_lshlrev_b64 v[2:3], v3, v[2:3]
	v_bfe_u32 v5, v28, 18, 5
	v_and_b32_e32 v2, 3, v2
	v_cmp_eq_u32_e32 vcc, 0, v5
	v_sub_u32_e32 v3, 30, v8
	v_cndmask_b32_e32 v2, v4, v2, vcc
	v_lshlrev_b32_e32 v4, 8, v28
	v_cndmask_b32_e32 v3, v5, v3, vcc
	v_and_b32_e32 v4, 0x80000000, v4
	v_lshl_add_u32 v3, v3, 23, v4
	v_lshl_or_b32 v2, v2, 21, v3
	v_add_u32_e32 v3, 0x38000000, v2
                                        ; implicit-def: $vgpr4
                                        ; implicit-def: $vgpr2
.LBB2_8376:                             ;   in Loop: Header=BB2_7586 Depth=3
	s_andn2_saveexec_b64 s[36:37], s[36:37]
; %bb.8377:                             ;   in Loop: Header=BB2_7586 Depth=3
	v_cmp_gt_i16_sdwa vcc, sext(v2), v48 src0_sel:BYTE_0 src1_sel:DWORD
	v_cndmask_b32_e32 v2, v7, v0, vcc
	v_cmp_eq_u32_e32 vcc, 0, v4
	v_cndmask_b32_e32 v3, v35, v2, vcc
; %bb.8378:                             ;   in Loop: Header=BB2_7586 Depth=3
	s_or_b64 exec, exec, s[36:37]
.LBB2_8379:                             ;   in Loop: Header=BB2_7586 Depth=3
	s_or_b64 exec, exec, s[42:43]
.LBB2_8380:                             ;   in Loop: Header=BB2_7586 Depth=3
	s_or_b64 exec, exec, s[40:41]
	v_lshrrev_b32_e32 v2, 16, v10
	v_cmp_gt_i16_sdwa s[42:43], v2, s47 src0_sel:BYTE_0 src1_sel:DWORD
	s_mov_b64 s[40:41], 0
	s_and_saveexec_b64 vcc, s[42:43]
	s_xor_b64 s[42:43], exec, vcc
	s_cbranch_execz .LBB2_8579
; %bb.8381:                             ;   in Loop: Header=BB2_7586 Depth=3
	v_cmp_eq_u16_sdwa s[36:37], v2, s96 src0_sel:BYTE_0 src1_sel:DWORD
	s_mov_b64 s[40:41], -1
	s_and_saveexec_b64 vcc, s[36:37]
; %bb.8382:                             ;   in Loop: Header=BB2_7586 Depth=3
	s_xor_b64 s[40:41], exec, -1
; %bb.8383:                             ;   in Loop: Header=BB2_7586 Depth=3
	s_or_b64 exec, exec, vcc
	s_and_b64 s[40:41], s[40:41], exec
	s_or_saveexec_b64 s[42:43], s[42:43]
	v_bfrev_b32_e32 v4, 1
	s_xor_b64 exec, exec, s[42:43]
	s_cbranch_execnz .LBB2_8580
.LBB2_8384:                             ;   in Loop: Header=BB2_7586 Depth=3
	s_or_b64 exec, exec, s[42:43]
	s_and_saveexec_b64 s[36:37], s[40:41]
	s_cbranch_execz .LBB2_8386
.LBB2_8385:                             ;   in Loop: Header=BB2_7586 Depth=3
	v_and_b32_e32 v8, 3, v2
	v_and_b32_e32 v4, 0x7c0000, v10
	v_cmp_eq_u32_e32 vcc, s44, v4
	v_ffbh_u32_e32 v4, v8
	v_min_u32_e32 v30, 32, v4
	v_subrev_u32_e32 v4, 29, v30
	v_bfe_u32 v9, v10, 18, 5
	v_lshlrev_b64 v[4:5], v4, v[2:3]
	v_cmp_eq_u32_e64 s[40:41], 0, v9
	v_sub_u32_e32 v5, 30, v30
	v_cndmask_b32_e64 v5, v9, v5, s[40:41]
	v_lshlrev_b32_e32 v9, 24, v2
	v_and_b32_e32 v4, 3, v4
	v_and_b32_e32 v9, 0x80000000, v9
	v_cndmask_b32_e64 v4, v8, v4, s[40:41]
	v_lshl_add_u32 v5, v5, 23, v9
	v_cmp_gt_i16_sdwa s[42:43], sext(v2), v48 src0_sel:BYTE_0 src1_sel:DWORD
	v_lshl_or_b32 v4, v4, 21, v5
	v_cmp_eq_u32_e64 s[40:41], 0, v8
	v_cndmask_b32_e64 v2, v7, v0, s[42:43]
	v_add_u32_e32 v4, 0x38000000, v4
	v_cndmask_b32_e64 v2, v35, v2, s[40:41]
	v_cndmask_b32_e32 v4, v4, v2, vcc
.LBB2_8386:                             ;   in Loop: Header=BB2_7586 Depth=3
	s_or_b64 exec, exec, s[36:37]
	v_add_f32_e32 v4, v3, v4
	v_and_b32_e32 v8, 0x7f800000, v4
	v_mov_b32_e32 v9, v29
	v_cmp_ne_u64_e32 vcc, s[76:77], v[8:9]
	v_and_b32_e32 v2, 0x7fffff, v4
	v_mov_b32_e32 v3, v29
                                        ; implicit-def: $vgpr47
	s_and_saveexec_b64 s[40:41], vcc
	s_xor_b64 s[42:43], exec, s[40:41]
	s_cbranch_execz .LBB2_8400
; %bb.8387:                             ;   in Loop: Header=BB2_7586 Depth=3
	v_and_b32_e32 v8, 0x7fffffff, v4
	v_mov_b32_e32 v9, v29
	v_cmp_gt_u64_e32 vcc, s[78:79], v[8:9]
	v_and_b32_sdwa v5, v4, s96 dst_sel:DWORD dst_unused:UNUSED_PAD src0_sel:BYTE_3 src1_sel:DWORD
                                        ; implicit-def: $vgpr47
	s_and_saveexec_b64 s[40:41], vcc
	s_xor_b64 s[36:37], exec, s[40:41]
	s_cbranch_execz .LBB2_8397
; %bb.8388:                             ;   in Loop: Header=BB2_7586 Depth=3
	v_mov_b32_e32 v47, 0
	v_cmp_ne_u32_e32 vcc, 0, v4
	s_and_saveexec_b64 s[38:39], vcc
	s_cbranch_execz .LBB2_8396
; %bb.8389:                             ;   in Loop: Header=BB2_7586 Depth=3
	v_bfe_u32 v8, v4, 23, 8
	v_cmp_gt_u32_e64 s[40:41], s46, v8
	v_sub_u32_e32 v4, 0x71, v8
	v_cmp_eq_u32_e32 vcc, 0, v8
	v_cndmask_b32_e64 v4, 0, v4, s[40:41]
	v_mov_b32_e32 v9, 0x70
	v_cndmask_b32_e32 v9, v4, v9, vcc
	v_add_u32_e32 v4, 21, v9
	v_or_b32_e32 v30, 0x800000, v2
	v_lshlrev_b64 v[38:39], v4, -1
	v_cndmask_b32_e32 v2, v30, v2, vcc
	v_add_u32_e32 v4, 20, v9
	v_bfi_b32 v38, v38, 0, v2
	v_lshlrev_b64 v[59:60], v4, 1
	v_lshrrev_b64 v[2:3], v9, v[2:3]
	v_bfi_b32 v39, v39, 0, 0
	v_cmp_eq_u64_e64 s[40:41], v[38:39], v[59:60]
	v_mov_b32_e32 v4, v3
	v_mov_b32_e32 v3, v2
	s_and_saveexec_b64 s[48:49], s[40:41]
; %bb.8390:                             ;   in Loop: Header=BB2_7586 Depth=3
	v_bfe_u32 v3, v2, 21, 1
	v_add_co_u32_e64 v3, s[40:41], v2, v3
	v_add_co_u32_e64 v3, s[40:41], -1, v3
; %bb.8391:                             ;   in Loop: Header=BB2_7586 Depth=3
	s_or_b64 exec, exec, s[48:49]
	v_add_u32_e32 v4, 0xffffff81, v8
	v_cndmask_b32_e32 v4, v4, v1, vcc
	v_lshrrev_b32_e32 v8, 23, v2
	v_add3_u32 v9, v9, v4, v8
	v_add_u32_e32 v8, 14, v9
	v_and_b32_e32 v3, 0x1fffff, v3
	v_add_u32_e32 v2, v3, v2
	v_mov_b32_e32 v3, v29
	v_cmp_ne_u32_e32 vcc, 0, v8
                                        ; implicit-def: $vgpr4
	s_and_saveexec_b64 s[40:41], vcc
	s_xor_b64 s[40:41], exec, s[40:41]
; %bb.8392:                             ;   in Loop: Header=BB2_7586 Depth=3
	v_cmp_lt_u64_e32 vcc, s[88:89], v[2:3]
	v_add_u32_e32 v4, 15, v9
	v_cndmask_b32_e32 v4, v8, v4, vcc
	v_cndmask_b32_e64 v8, 0, 1, vcc
	v_lshrrev_b64 v[2:3], v8, v[2:3]
; %bb.8393:                             ;   in Loop: Header=BB2_7586 Depth=3
	s_andn2_saveexec_b64 s[40:41], s[40:41]
; %bb.8394:                             ;   in Loop: Header=BB2_7586 Depth=3
	v_bfe_u32 v4, v2, 23, 1
; %bb.8395:                             ;   in Loop: Header=BB2_7586 Depth=3
	s_or_b64 exec, exec, s[40:41]
	v_lshrrev_b64 v[2:3], 21, v[2:3]
	v_cmp_gt_i32_e32 vcc, 32, v4
	v_cndmask_b32_e32 v3, 0, v3, vcc
	v_cndmask_b32_e32 v2, 3, v2, vcc
	v_cmp_eq_u64_e64 s[40:41], 0, v[2:3]
	v_min_i32_e32 v3, 31, v4
	v_lshlrev_b32_e32 v3, 2, v3
	v_cmp_eq_u32_e32 vcc, 0, v4
	v_and_b32_e32 v3, 0xfc, v3
	v_and_or_b32 v2, v2, 3, v3
	s_and_b64 s[40:41], vcc, s[40:41]
	v_cndmask_b32_e64 v2, v2, 0, s[40:41]
	v_or_b32_e32 v47, v2, v5
.LBB2_8396:                             ;   in Loop: Header=BB2_7586 Depth=3
	s_or_b64 exec, exec, s[38:39]
                                        ; implicit-def: $vgpr5
.LBB2_8397:                             ;   in Loop: Header=BB2_7586 Depth=3
	s_andn2_saveexec_b64 s[40:41], s[36:37]
; %bb.8398:                             ;   in Loop: Header=BB2_7586 Depth=3
	v_or_b32_e32 v47, 0x7b, v5
; %bb.8399:                             ;   in Loop: Header=BB2_7586 Depth=3
	s_or_b64 exec, exec, s[40:41]
                                        ; implicit-def: $vgpr4
                                        ; implicit-def: $vgpr2_vgpr3
.LBB2_8400:                             ;   in Loop: Header=BB2_7586 Depth=3
	s_andn2_saveexec_b64 s[40:41], s[42:43]
	s_cbranch_execz .LBB2_8406
; %bb.8401:                             ;   in Loop: Header=BB2_7586 Depth=3
	v_cmp_ne_u64_e32 vcc, 0, v[2:3]
                                        ; implicit-def: $vgpr47
	s_and_saveexec_b64 s[42:43], vcc
	s_xor_b64 s[42:43], exec, s[42:43]
; %bb.8402:                             ;   in Loop: Header=BB2_7586 Depth=3
	v_or_b32_sdwa v47, v4, s47 dst_sel:DWORD dst_unused:UNUSED_PAD src0_sel:BYTE_3 src1_sel:DWORD
                                        ; implicit-def: $vgpr4
; %bb.8403:                             ;   in Loop: Header=BB2_7586 Depth=3
	s_andn2_saveexec_b64 s[42:43], s[42:43]
; %bb.8404:                             ;   in Loop: Header=BB2_7586 Depth=3
	v_cmp_lt_i32_e32 vcc, -1, v4
	v_cndmask_b32_e32 v47, v6, v22, vcc
; %bb.8405:                             ;   in Loop: Header=BB2_7586 Depth=3
	s_or_b64 exec, exec, s[42:43]
.LBB2_8406:                             ;   in Loop: Header=BB2_7586 Depth=3
	s_or_b64 exec, exec, s[40:41]
	v_cmp_lt_u32_e32 vcc, s57, v28
	v_mov_b32_e32 v3, 0
	s_and_saveexec_b64 s[40:41], vcc
	s_cbranch_execz .LBB2_8414
; %bb.8407:                             ;   in Loop: Header=BB2_7586 Depth=3
	v_lshrrev_b32_e32 v2, 24, v28
	v_cmp_ne_u32_e32 vcc, s96, v2
	v_bfrev_b32_e32 v3, 1
	s_and_saveexec_b64 s[42:43], vcc
	s_cbranch_execz .LBB2_8413
; %bb.8408:                             ;   in Loop: Header=BB2_7586 Depth=3
	v_and_b32_e32 v3, 0x7c000000, v28
	v_bfe_u32 v4, v28, 24, 2
	v_cmp_ne_u32_e32 vcc, s45, v3
                                        ; implicit-def: $vgpr3
	s_and_saveexec_b64 s[36:37], vcc
	s_xor_b64 s[36:37], exec, s[36:37]
	s_cbranch_execz .LBB2_8410
; %bb.8409:                             ;   in Loop: Header=BB2_7586 Depth=3
	v_ffbh_u32_e32 v3, v4
	v_min_u32_e32 v8, 32, v3
	v_subrev_u32_e32 v3, 29, v8
	v_lshlrev_b64 v[2:3], v3, v[2:3]
	v_bfe_u32 v5, v28, 26, 5
	v_sub_u32_e32 v3, 30, v8
	v_and_b32_e32 v2, 3, v2
	v_cmp_eq_u32_e32 vcc, 0, v5
	v_cndmask_b32_e32 v3, v5, v3, vcc
	v_cndmask_b32_e32 v2, v4, v2, vcc
	v_and_b32_e32 v4, 0x80000000, v28
	v_lshl_add_u32 v3, v3, 23, v4
	v_lshl_or_b32 v2, v2, 21, v3
	v_add_u32_e32 v3, 0x38000000, v2
                                        ; implicit-def: $vgpr4
.LBB2_8410:                             ;   in Loop: Header=BB2_7586 Depth=3
	s_andn2_saveexec_b64 s[36:37], s[36:37]
; %bb.8411:                             ;   in Loop: Header=BB2_7586 Depth=3
	v_cmp_lt_i32_e32 vcc, -1, v28
	v_cndmask_b32_e32 v2, v7, v0, vcc
	v_cmp_eq_u32_e32 vcc, 0, v4
	v_cndmask_b32_e32 v3, v35, v2, vcc
; %bb.8412:                             ;   in Loop: Header=BB2_7586 Depth=3
	s_or_b64 exec, exec, s[36:37]
.LBB2_8413:                             ;   in Loop: Header=BB2_7586 Depth=3
	s_or_b64 exec, exec, s[42:43]
.LBB2_8414:                             ;   in Loop: Header=BB2_7586 Depth=3
	s_or_b64 exec, exec, s[40:41]
	v_bfe_u32 v8, v10, 24, 2
	v_and_b32_e32 v4, 0x7c000000, v10
	v_cmp_eq_u32_e32 vcc, s45, v4
	v_ffbh_u32_e32 v4, v8
	v_min_u32_e32 v28, 32, v4
	v_lshrrev_b32_e32 v2, 24, v10
	v_subrev_u32_e32 v4, 29, v28
	v_bfe_u32 v9, v10, 26, 5
	v_lshlrev_b64 v[4:5], v4, v[2:3]
	v_cmp_eq_u32_e64 s[40:41], 0, v9
	v_sub_u32_e32 v5, 30, v28
	v_and_b32_e32 v4, 3, v4
	v_cndmask_b32_e64 v5, v9, v5, s[40:41]
	v_and_b32_e32 v9, 0x80000000, v10
	v_cndmask_b32_e64 v4, v8, v4, s[40:41]
	v_lshl_add_u32 v5, v5, 23, v9
	v_cmp_lt_i32_e64 s[42:43], -1, v10
	v_lshl_or_b32 v4, v4, 21, v5
	v_cmp_eq_u32_e64 s[40:41], 0, v8
	v_cndmask_b32_e64 v5, v7, v0, s[42:43]
	v_add_u32_e32 v4, 0x38000000, v4
	v_cndmask_b32_e64 v5, v35, v5, s[40:41]
	v_cndmask_b32_e32 v4, v4, v5, vcc
	v_cmp_ne_u32_e32 vcc, s96, v2
	v_bfrev_b32_e32 v2, 1
	v_cndmask_b32_e32 v2, v2, v4, vcc
	v_cmp_lt_u32_e32 vcc, s57, v10
	v_cndmask_b32_e32 v2, 0, v2, vcc
	v_add_f32_e32 v2, v2, v3
	v_and_b32_e32 v3, 0x7f800000, v2
	v_mov_b32_e32 v4, v29
	v_cmp_ne_u64_e32 vcc, s[76:77], v[3:4]
	v_and_b32_e32 v28, 0x7fffff, v2
                                        ; implicit-def: $vgpr56
	s_and_saveexec_b64 s[40:41], vcc
	s_xor_b64 s[42:43], exec, s[40:41]
	s_cbranch_execz .LBB2_8428
; %bb.8415:                             ;   in Loop: Header=BB2_7586 Depth=3
	v_and_b32_e32 v3, 0x7fffffff, v2
	v_mov_b32_e32 v4, v29
	v_cmp_gt_u64_e32 vcc, s[78:79], v[3:4]
	v_and_b32_sdwa v5, v2, s96 dst_sel:DWORD dst_unused:UNUSED_PAD src0_sel:BYTE_3 src1_sel:DWORD
                                        ; implicit-def: $vgpr56
	s_and_saveexec_b64 s[40:41], vcc
	s_xor_b64 s[36:37], exec, s[40:41]
	s_cbranch_execz .LBB2_8425
; %bb.8416:                             ;   in Loop: Header=BB2_7586 Depth=3
	v_mov_b32_e32 v56, 0
	v_cmp_ne_u32_e32 vcc, 0, v2
	s_and_saveexec_b64 s[38:39], vcc
	s_cbranch_execz .LBB2_8424
; %bb.8417:                             ;   in Loop: Header=BB2_7586 Depth=3
	v_bfe_u32 v8, v2, 23, 8
	v_cmp_gt_u32_e64 s[40:41], s46, v8
	v_sub_u32_e32 v2, 0x71, v8
	v_cmp_eq_u32_e32 vcc, 0, v8
	v_cndmask_b32_e64 v2, 0, v2, s[40:41]
	v_mov_b32_e32 v4, 0x70
	v_cndmask_b32_e32 v9, v2, v4, vcc
	v_add_u32_e32 v4, 21, v9
	v_or_b32_e32 v3, 0x800000, v28
	v_lshlrev_b64 v[38:39], v4, -1
	v_cndmask_b32_e32 v2, v3, v28, vcc
	v_mov_b32_e32 v3, v29
	v_add_u32_e32 v4, 20, v9
	v_bfi_b32 v38, v38, 0, v2
	v_lshlrev_b64 v[59:60], v4, 1
	v_lshrrev_b64 v[2:3], v9, v[2:3]
	v_bfi_b32 v39, v39, 0, 0
	v_cmp_eq_u64_e64 s[40:41], v[38:39], v[59:60]
	v_mov_b32_e32 v4, v3
	v_mov_b32_e32 v3, v2
	s_and_saveexec_b64 s[48:49], s[40:41]
; %bb.8418:                             ;   in Loop: Header=BB2_7586 Depth=3
	v_bfe_u32 v3, v2, 21, 1
	v_add_co_u32_e64 v3, s[40:41], v2, v3
	v_add_co_u32_e64 v3, s[40:41], -1, v3
; %bb.8419:                             ;   in Loop: Header=BB2_7586 Depth=3
	s_or_b64 exec, exec, s[48:49]
	v_add_u32_e32 v4, 0xffffff81, v8
	v_cndmask_b32_e32 v4, v4, v1, vcc
	v_lshrrev_b32_e32 v8, 23, v2
	v_add3_u32 v9, v9, v4, v8
	v_add_u32_e32 v8, 14, v9
	v_and_b32_e32 v3, 0x1fffff, v3
	v_add_u32_e32 v28, v3, v2
	v_cmp_ne_u32_e32 vcc, 0, v8
                                        ; implicit-def: $vgpr2_vgpr3
                                        ; implicit-def: $vgpr4
	s_and_saveexec_b64 s[40:41], vcc
	s_xor_b64 s[40:41], exec, s[40:41]
; %bb.8420:                             ;   in Loop: Header=BB2_7586 Depth=3
	v_cmp_lt_u64_e32 vcc, s[88:89], v[28:29]
	v_add_u32_e32 v2, 15, v9
	v_cndmask_b32_e32 v4, v8, v2, vcc
	v_cndmask_b32_e64 v2, 0, 1, vcc
	v_lshrrev_b64 v[2:3], v2, v[28:29]
; %bb.8421:                             ;   in Loop: Header=BB2_7586 Depth=3
	s_andn2_saveexec_b64 s[40:41], s[40:41]
; %bb.8422:                             ;   in Loop: Header=BB2_7586 Depth=3
	v_mov_b32_e32 v2, v28
	v_mov_b32_e32 v3, v29
	v_bfe_u32 v4, v28, 23, 1
; %bb.8423:                             ;   in Loop: Header=BB2_7586 Depth=3
	s_or_b64 exec, exec, s[40:41]
	v_lshrrev_b64 v[2:3], 21, v[2:3]
	v_cmp_gt_i32_e32 vcc, 32, v4
	v_cndmask_b32_e32 v3, 0, v3, vcc
	v_cndmask_b32_e32 v2, 3, v2, vcc
	v_cmp_eq_u64_e64 s[40:41], 0, v[2:3]
	v_min_i32_e32 v3, 31, v4
	v_lshlrev_b32_e32 v3, 2, v3
	v_cmp_eq_u32_e32 vcc, 0, v4
	v_and_b32_e32 v3, 0xfc, v3
	v_and_or_b32 v2, v2, 3, v3
	s_and_b64 s[40:41], vcc, s[40:41]
	v_cndmask_b32_e64 v2, v2, 0, s[40:41]
	v_or_b32_e32 v56, v2, v5
.LBB2_8424:                             ;   in Loop: Header=BB2_7586 Depth=3
	s_or_b64 exec, exec, s[38:39]
                                        ; implicit-def: $vgpr5
.LBB2_8425:                             ;   in Loop: Header=BB2_7586 Depth=3
	s_andn2_saveexec_b64 s[40:41], s[36:37]
; %bb.8426:                             ;   in Loop: Header=BB2_7586 Depth=3
	v_or_b32_e32 v56, 0x7b, v5
; %bb.8427:                             ;   in Loop: Header=BB2_7586 Depth=3
	s_or_b64 exec, exec, s[40:41]
                                        ; implicit-def: $vgpr2
.LBB2_8428:                             ;   in Loop: Header=BB2_7586 Depth=3
	s_andn2_saveexec_b64 s[40:41], s[42:43]
	s_cbranch_execz .LBB2_8434
; %bb.8429:                             ;   in Loop: Header=BB2_7586 Depth=3
	v_cmp_ne_u64_e32 vcc, 0, v[28:29]
                                        ; implicit-def: $vgpr56
	s_and_saveexec_b64 s[42:43], vcc
	s_xor_b64 s[42:43], exec, s[42:43]
; %bb.8430:                             ;   in Loop: Header=BB2_7586 Depth=3
	v_or_b32_sdwa v56, v2, s47 dst_sel:DWORD dst_unused:UNUSED_PAD src0_sel:BYTE_3 src1_sel:DWORD
                                        ; implicit-def: $vgpr2
; %bb.8431:                             ;   in Loop: Header=BB2_7586 Depth=3
	s_andn2_saveexec_b64 s[42:43], s[42:43]
; %bb.8432:                             ;   in Loop: Header=BB2_7586 Depth=3
	v_cmp_lt_i32_e32 vcc, -1, v2
	v_cndmask_b32_e32 v56, v6, v22, vcc
; %bb.8433:                             ;   in Loop: Header=BB2_7586 Depth=3
	s_or_b64 exec, exec, s[42:43]
.LBB2_8434:                             ;   in Loop: Header=BB2_7586 Depth=3
	s_or_b64 exec, exec, s[40:41]
	v_lshlrev_b32_e32 v2, 24, v55
	v_lshlrev_b32_e32 v3, 16, v53
	v_lshl_or_b32 v49, v51, 8, v32
	v_or3_b32 v28, v3, v2, v49
	v_cmp_ne_u32_e32 vcc, 0, v32
	v_mov_b32_e32 v2, 0
	s_and_saveexec_b64 s[42:43], vcc
	s_cbranch_execz .LBB2_8442
; %bb.8435:                             ;   in Loop: Header=BB2_7586 Depth=3
	v_cmp_ne_u32_e32 vcc, s96, v32
	v_bfrev_b32_e32 v2, 1
	s_and_saveexec_b64 s[36:37], vcc
	s_cbranch_execz .LBB2_8441
; %bb.8436:                             ;   in Loop: Header=BB2_7586 Depth=3
	v_and_b32_e32 v2, 0x7c, v32
	v_and_b32_e32 v3, 3, v32
	v_cmp_ne_u32_e32 vcc, s85, v2
                                        ; implicit-def: $vgpr2
	s_and_saveexec_b64 s[40:41], vcc
	s_xor_b64 s[40:41], exec, s[40:41]
	s_cbranch_execz .LBB2_8438
; %bb.8437:                             ;   in Loop: Header=BB2_7586 Depth=3
	v_ffbh_u32_e32 v4, v3
	v_min_u32_e32 v8, 32, v4
	v_subrev_u32_e32 v4, 29, v8
	v_lshlrev_b64 v[4:5], v4, v[28:29]
	v_bfe_u32 v2, v32, 2, 5
	v_and_b32_e32 v4, 3, v4
	v_cmp_eq_u32_e32 vcc, 0, v2
	v_sub_u32_e32 v5, 30, v8
	v_cndmask_b32_e32 v3, v3, v4, vcc
	v_lshlrev_b32_e32 v4, 24, v32
	v_cndmask_b32_e32 v2, v2, v5, vcc
	v_and_b32_e32 v4, 0x80000000, v4
	v_lshl_add_u32 v2, v2, 23, v4
	v_lshl_or_b32 v2, v3, 21, v2
	v_add_u32_e32 v2, 0x38000000, v2
                                        ; implicit-def: $vgpr3
                                        ; implicit-def: $vgpr32
.LBB2_8438:                             ;   in Loop: Header=BB2_7586 Depth=3
	s_andn2_saveexec_b64 s[38:39], s[40:41]
; %bb.8439:                             ;   in Loop: Header=BB2_7586 Depth=3
	v_and_b32_e32 v2, 0x80, v32
	v_cmp_eq_u32_e64 s[40:41], 0, v2
	v_cmp_eq_u32_e32 vcc, 0, v3
	v_cndmask_b32_e64 v2, v7, v0, s[40:41]
	v_cndmask_b32_e32 v2, v35, v2, vcc
; %bb.8440:                             ;   in Loop: Header=BB2_7586 Depth=3
	s_or_b64 exec, exec, s[38:39]
.LBB2_8441:                             ;   in Loop: Header=BB2_7586 Depth=3
	s_or_b64 exec, exec, s[36:37]
.LBB2_8442:                             ;   in Loop: Header=BB2_7586 Depth=3
	s_or_b64 exec, exec, s[42:43]
	v_cmp_gt_i16_sdwa s[42:43], v11, s47 src0_sel:BYTE_0 src1_sel:DWORD
	s_mov_b64 s[40:41], 0
	s_and_saveexec_b64 vcc, s[42:43]
	s_xor_b64 s[42:43], exec, vcc
	s_cbranch_execz .LBB2_8446
; %bb.8443:                             ;   in Loop: Header=BB2_7586 Depth=3
	v_cmp_eq_u16_sdwa s[36:37], v11, s96 src0_sel:BYTE_0 src1_sel:DWORD
	s_mov_b64 s[40:41], -1
	s_and_saveexec_b64 vcc, s[36:37]
; %bb.8444:                             ;   in Loop: Header=BB2_7586 Depth=3
	s_xor_b64 s[40:41], exec, -1
; %bb.8445:                             ;   in Loop: Header=BB2_7586 Depth=3
	s_or_b64 exec, exec, vcc
	s_and_b64 s[40:41], s[40:41], exec
.LBB2_8446:                             ;   in Loop: Header=BB2_7586 Depth=3
	s_or_saveexec_b64 s[42:43], s[42:43]
	v_bfrev_b32_e32 v3, 1
	s_xor_b64 exec, exec, s[42:43]
; %bb.8447:                             ;   in Loop: Header=BB2_7586 Depth=3
	v_cmp_ne_u16_sdwa vcc, v11, v29 src0_sel:BYTE_0 src1_sel:DWORD
	s_andn2_b64 s[40:41], s[40:41], exec
	s_and_b64 vcc, vcc, exec
	v_mov_b32_e32 v3, 0
	s_or_b64 s[40:41], s[40:41], vcc
; %bb.8448:                             ;   in Loop: Header=BB2_7586 Depth=3
	s_or_b64 exec, exec, s[42:43]
	v_mov_b32_e32 v4, v11
	v_mov_b32_e32 v5, v29
	s_and_saveexec_b64 s[36:37], s[40:41]
	s_cbranch_execz .LBB2_8450
; %bb.8449:                             ;   in Loop: Header=BB2_7586 Depth=3
	v_and_b32_e32 v3, 3, v11
	v_and_b32_e32 v8, 0x7c, v11
	v_cmp_eq_u32_e32 vcc, s85, v8
	v_ffbh_u32_e32 v8, v3
	v_min_u32_e32 v32, 32, v8
	v_subrev_u32_e32 v8, 29, v32
	v_bfe_u32 v30, v11, 2, 5
	v_lshlrev_b64 v[8:9], v8, v[4:5]
	v_cmp_eq_u32_e64 s[40:41], 0, v30
	v_sub_u32_e32 v5, 30, v32
	v_lshlrev_b32_e32 v9, 24, v11
	v_and_b32_e32 v8, 3, v8
	v_cndmask_b32_e64 v5, v30, v5, s[40:41]
	v_and_b32_e32 v9, 0x80000000, v9
	v_cndmask_b32_e64 v8, v3, v8, s[40:41]
	v_lshl_add_u32 v5, v5, 23, v9
	v_cmp_gt_i16_sdwa s[42:43], sext(v11), v48 src0_sel:BYTE_0 src1_sel:DWORD
	v_lshl_or_b32 v5, v8, 21, v5
	v_cmp_eq_u32_e64 s[40:41], 0, v3
	v_cndmask_b32_e64 v3, v7, v0, s[42:43]
	v_add_u32_e32 v5, 0x38000000, v5
	v_cndmask_b32_e64 v3, v35, v3, s[40:41]
	v_cndmask_b32_e32 v3, v5, v3, vcc
.LBB2_8450:                             ;   in Loop: Header=BB2_7586 Depth=3
	s_or_b64 exec, exec, s[36:37]
	v_add_f32_e32 v8, v2, v3
	v_and_b32_e32 v38, 0x7f800000, v8
	v_mov_b32_e32 v39, v29
	v_cmp_ne_u64_e32 vcc, s[76:77], v[38:39]
	v_and_b32_e32 v2, 0x7fffff, v8
	v_mov_b32_e32 v3, v29
                                        ; implicit-def: $vgpr5
	s_and_saveexec_b64 s[40:41], vcc
	s_xor_b64 s[42:43], exec, s[40:41]
	s_cbranch_execz .LBB2_8464
; %bb.8451:                             ;   in Loop: Header=BB2_7586 Depth=3
	v_and_b32_e32 v38, 0x7fffffff, v8
	v_mov_b32_e32 v39, v29
	v_cmp_gt_u64_e32 vcc, s[78:79], v[38:39]
	v_and_b32_sdwa v32, v8, s96 dst_sel:DWORD dst_unused:UNUSED_PAD src0_sel:BYTE_3 src1_sel:DWORD
                                        ; implicit-def: $vgpr5
	s_and_saveexec_b64 s[40:41], vcc
	s_xor_b64 s[36:37], exec, s[40:41]
	s_cbranch_execz .LBB2_8461
; %bb.8452:                             ;   in Loop: Header=BB2_7586 Depth=3
	v_mov_b32_e32 v5, 0
	v_cmp_ne_u32_e32 vcc, 0, v8
	s_and_saveexec_b64 s[38:39], vcc
	s_cbranch_execz .LBB2_8460
; %bb.8453:                             ;   in Loop: Header=BB2_7586 Depth=3
	v_bfe_u32 v5, v8, 23, 8
	v_cmp_gt_u32_e64 s[40:41], s46, v5
	v_sub_u32_e32 v8, 0x71, v5
	v_cmp_eq_u32_e32 vcc, 0, v5
	v_cndmask_b32_e64 v8, 0, v8, s[40:41]
	v_mov_b32_e32 v30, 0x70
	v_cndmask_b32_e32 v51, v8, v30, vcc
	v_or_b32_e32 v9, 0x800000, v2
	v_add_u32_e32 v8, 21, v51
	v_cndmask_b32_e32 v2, v9, v2, vcc
	v_lshlrev_b64 v[8:9], v8, -1
	v_add_u32_e32 v30, 20, v51
	v_bfi_b32 v8, v8, 0, v2
	v_lshlrev_b64 v[38:39], v30, 1
	v_lshrrev_b64 v[2:3], v51, v[2:3]
	v_bfi_b32 v9, v9, 0, 0
	v_cmp_eq_u64_e64 s[40:41], v[8:9], v[38:39]
	v_mov_b32_e32 v9, v3
	v_mov_b32_e32 v8, v2
	s_and_saveexec_b64 s[48:49], s[40:41]
; %bb.8454:                             ;   in Loop: Header=BB2_7586 Depth=3
	v_bfe_u32 v3, v2, 21, 1
	v_add_co_u32_e64 v3, s[40:41], v2, v3
	v_add_co_u32_e64 v8, s[40:41], -1, v3
; %bb.8455:                             ;   in Loop: Header=BB2_7586 Depth=3
	s_or_b64 exec, exec, s[48:49]
	v_add_u32_e32 v3, 0xffffff81, v5
	v_cndmask_b32_e32 v3, v3, v1, vcc
	v_lshrrev_b32_e32 v5, 23, v2
	v_add3_u32 v51, v51, v3, v5
	v_add_u32_e32 v9, 14, v51
	v_and_b32_e32 v3, 0x1fffff, v8
	v_add_u32_e32 v2, v3, v2
	v_mov_b32_e32 v3, v29
	v_cmp_ne_u32_e32 vcc, 0, v9
                                        ; implicit-def: $vgpr5
	s_and_saveexec_b64 s[40:41], vcc
	s_xor_b64 s[40:41], exec, s[40:41]
; %bb.8456:                             ;   in Loop: Header=BB2_7586 Depth=3
	v_cmp_lt_u64_e32 vcc, s[88:89], v[2:3]
	v_add_u32_e32 v5, 15, v51
	v_cndmask_b32_e64 v8, 0, 1, vcc
	v_cndmask_b32_e32 v5, v9, v5, vcc
	v_lshrrev_b64 v[2:3], v8, v[2:3]
; %bb.8457:                             ;   in Loop: Header=BB2_7586 Depth=3
	s_andn2_saveexec_b64 s[40:41], s[40:41]
; %bb.8458:                             ;   in Loop: Header=BB2_7586 Depth=3
	v_bfe_u32 v5, v2, 23, 1
; %bb.8459:                             ;   in Loop: Header=BB2_7586 Depth=3
	s_or_b64 exec, exec, s[40:41]
	v_lshrrev_b64 v[2:3], 21, v[2:3]
	v_cmp_gt_i32_e32 vcc, 32, v5
	v_cndmask_b32_e32 v3, 0, v3, vcc
	v_cndmask_b32_e32 v2, 3, v2, vcc
	v_cmp_eq_u64_e64 s[40:41], 0, v[2:3]
	v_min_i32_e32 v3, 31, v5
	v_lshlrev_b32_e32 v3, 2, v3
	v_cmp_eq_u32_e32 vcc, 0, v5
	v_and_b32_e32 v3, 0xfc, v3
	v_and_or_b32 v2, v2, 3, v3
	s_and_b64 s[40:41], vcc, s[40:41]
	v_cndmask_b32_e64 v2, v2, 0, s[40:41]
	v_or_b32_e32 v5, v2, v32
.LBB2_8460:                             ;   in Loop: Header=BB2_7586 Depth=3
	s_or_b64 exec, exec, s[38:39]
                                        ; implicit-def: $vgpr32
.LBB2_8461:                             ;   in Loop: Header=BB2_7586 Depth=3
	s_andn2_saveexec_b64 s[40:41], s[36:37]
; %bb.8462:                             ;   in Loop: Header=BB2_7586 Depth=3
	v_or_b32_e32 v5, 0x7b, v32
; %bb.8463:                             ;   in Loop: Header=BB2_7586 Depth=3
	s_or_b64 exec, exec, s[40:41]
                                        ; implicit-def: $vgpr8
                                        ; implicit-def: $vgpr2_vgpr3
.LBB2_8464:                             ;   in Loop: Header=BB2_7586 Depth=3
	s_andn2_saveexec_b64 s[40:41], s[42:43]
	s_cbranch_execz .LBB2_8470
; %bb.8465:                             ;   in Loop: Header=BB2_7586 Depth=3
	v_cmp_ne_u64_e32 vcc, 0, v[2:3]
                                        ; implicit-def: $vgpr5
	s_and_saveexec_b64 s[42:43], vcc
	s_xor_b64 s[42:43], exec, s[42:43]
; %bb.8466:                             ;   in Loop: Header=BB2_7586 Depth=3
	v_or_b32_sdwa v5, v8, s47 dst_sel:DWORD dst_unused:UNUSED_PAD src0_sel:BYTE_3 src1_sel:DWORD
                                        ; implicit-def: $vgpr8
; %bb.8467:                             ;   in Loop: Header=BB2_7586 Depth=3
	s_andn2_saveexec_b64 s[42:43], s[42:43]
; %bb.8468:                             ;   in Loop: Header=BB2_7586 Depth=3
	v_cmp_lt_i32_e32 vcc, -1, v8
	v_cndmask_b32_e32 v5, v6, v22, vcc
; %bb.8469:                             ;   in Loop: Header=BB2_7586 Depth=3
	s_or_b64 exec, exec, s[42:43]
.LBB2_8470:                             ;   in Loop: Header=BB2_7586 Depth=3
	s_or_b64 exec, exec, s[40:41]
	v_lshrrev_b16_e32 v2, 8, v49
	v_cmp_ne_u16_e32 vcc, 0, v2
	v_mov_b32_e32 v8, 0
	s_and_saveexec_b64 s[40:41], vcc
	s_cbranch_execz .LBB2_8478
; %bb.8471:                             ;   in Loop: Header=BB2_7586 Depth=3
	v_cmp_ne_u16_e32 vcc, s96, v2
	v_bfrev_b32_e32 v8, 1
	s_and_saveexec_b64 s[42:43], vcc
	s_cbranch_execz .LBB2_8477
; %bb.8472:                             ;   in Loop: Header=BB2_7586 Depth=3
	v_and_b32_e32 v3, 0x7c, v2
	v_and_b32_e32 v9, 3, v2
	v_cmp_ne_u32_e32 vcc, s85, v3
                                        ; implicit-def: $vgpr8
	s_and_saveexec_b64 s[36:37], vcc
	s_xor_b64 s[36:37], exec, s[36:37]
	s_cbranch_execz .LBB2_8474
; %bb.8473:                             ;   in Loop: Header=BB2_7586 Depth=3
	v_ffbh_u32_e32 v30, v9
	v_min_u32_e32 v30, 32, v30
	v_mov_b32_e32 v3, v29
	v_subrev_u32_e32 v32, 29, v30
	v_bfe_u32 v8, v2, 2, 5
	v_lshlrev_b64 v[2:3], v32, v[2:3]
	v_sub_u32_e32 v3, 30, v30
	v_cmp_eq_u32_e32 vcc, 0, v8
	v_cndmask_b32_e32 v3, v8, v3, vcc
	v_lshlrev_b32_e32 v8, 16, v49
	v_and_b32_e32 v2, 3, v2
	v_and_b32_e32 v8, 0x80000000, v8
	v_cndmask_b32_e32 v2, v9, v2, vcc
	v_lshl_add_u32 v3, v3, 23, v8
	v_lshl_or_b32 v2, v2, 21, v3
	v_add_u32_e32 v8, 0x38000000, v2
                                        ; implicit-def: $vgpr9
                                        ; implicit-def: $vgpr49
.LBB2_8474:                             ;   in Loop: Header=BB2_7586 Depth=3
	s_andn2_saveexec_b64 s[36:37], s[36:37]
; %bb.8475:                             ;   in Loop: Header=BB2_7586 Depth=3
	v_cmp_lt_i16_e32 vcc, -1, v49
	v_cndmask_b32_e32 v2, v7, v0, vcc
	v_cmp_eq_u32_e32 vcc, 0, v9
	v_cndmask_b32_e32 v8, v35, v2, vcc
; %bb.8476:                             ;   in Loop: Header=BB2_7586 Depth=3
	s_or_b64 exec, exec, s[36:37]
.LBB2_8477:                             ;   in Loop: Header=BB2_7586 Depth=3
	s_or_b64 exec, exec, s[42:43]
.LBB2_8478:                             ;   in Loop: Header=BB2_7586 Depth=3
	s_or_b64 exec, exec, s[40:41]
	v_lshrrev_b16_e32 v2, 8, v4
	v_cmp_lt_i16_e32 vcc, s47, v2
	s_mov_b64 s[40:41], 0
	s_and_saveexec_b64 s[42:43], vcc
	s_xor_b64 s[42:43], exec, s[42:43]
	s_cbranch_execz .LBB2_8581
; %bb.8479:                             ;   in Loop: Header=BB2_7586 Depth=3
	v_cmp_eq_u16_e32 vcc, s96, v2
	s_mov_b64 s[40:41], -1
	s_and_saveexec_b64 s[36:37], vcc
; %bb.8480:                             ;   in Loop: Header=BB2_7586 Depth=3
	s_xor_b64 s[40:41], exec, -1
; %bb.8481:                             ;   in Loop: Header=BB2_7586 Depth=3
	s_or_b64 exec, exec, s[36:37]
	s_and_b64 s[40:41], s[40:41], exec
	s_or_saveexec_b64 s[42:43], s[42:43]
	v_bfrev_b32_e32 v3, 1
	s_xor_b64 exec, exec, s[42:43]
	s_cbranch_execnz .LBB2_8582
.LBB2_8482:                             ;   in Loop: Header=BB2_7586 Depth=3
	s_or_b64 exec, exec, s[42:43]
	s_and_saveexec_b64 s[36:37], s[40:41]
	s_cbranch_execz .LBB2_8484
.LBB2_8483:                             ;   in Loop: Header=BB2_7586 Depth=3
	v_and_b32_e32 v9, 3, v2
	v_and_b32_e32 v32, 0x7c, v2
	v_cmp_eq_u32_e32 vcc, s85, v32
	v_ffbh_u32_e32 v32, v9
	v_min_u32_e32 v32, 32, v32
	v_mov_b32_e32 v3, v29
	v_subrev_u32_e32 v38, 29, v32
	v_bfe_u32 v30, v2, 2, 5
	v_lshlrev_b64 v[38:39], v38, v[2:3]
	v_cmp_eq_u32_e64 s[40:41], 0, v30
	v_sub_u32_e32 v3, 30, v32
	v_lshlrev_b32_e32 v2, 24, v2
	v_and_b32_e32 v32, 3, v38
	v_cndmask_b32_e64 v3, v30, v3, s[40:41]
	v_and_b32_e32 v2, 0x80000000, v2
	v_cndmask_b32_e64 v30, v9, v32, s[40:41]
	v_lshl_add_u32 v2, v3, 23, v2
	v_cmp_lt_i16_e64 s[42:43], -1, v4
	v_lshl_or_b32 v2, v30, 21, v2
	v_cmp_eq_u32_e64 s[40:41], 0, v9
	v_cndmask_b32_e64 v3, v7, v0, s[42:43]
	v_add_u32_e32 v2, 0x38000000, v2
	v_cndmask_b32_e64 v3, v35, v3, s[40:41]
	v_cndmask_b32_e32 v3, v2, v3, vcc
.LBB2_8484:                             ;   in Loop: Header=BB2_7586 Depth=3
	s_or_b64 exec, exec, s[36:37]
	v_add_f32_e32 v4, v8, v3
	v_and_b32_e32 v8, 0x7f800000, v4
	v_mov_b32_e32 v9, v29
	v_cmp_ne_u64_e32 vcc, s[76:77], v[8:9]
	v_and_b32_e32 v2, 0x7fffff, v4
	v_mov_b32_e32 v3, v29
                                        ; implicit-def: $vgpr8
	s_and_saveexec_b64 s[40:41], vcc
	s_xor_b64 s[42:43], exec, s[40:41]
	s_cbranch_execz .LBB2_8498
; %bb.8485:                             ;   in Loop: Header=BB2_7586 Depth=3
	v_and_b32_e32 v8, 0x7fffffff, v4
	v_mov_b32_e32 v9, v29
	v_cmp_gt_u64_e32 vcc, s[78:79], v[8:9]
	v_and_b32_sdwa v9, v4, s96 dst_sel:DWORD dst_unused:UNUSED_PAD src0_sel:BYTE_3 src1_sel:DWORD
                                        ; implicit-def: $vgpr8
	s_and_saveexec_b64 s[40:41], vcc
	s_xor_b64 s[36:37], exec, s[40:41]
	s_cbranch_execz .LBB2_8495
; %bb.8486:                             ;   in Loop: Header=BB2_7586 Depth=3
	v_mov_b32_e32 v8, 0
	v_cmp_ne_u32_e32 vcc, 0, v4
	s_and_saveexec_b64 s[38:39], vcc
	s_cbranch_execz .LBB2_8494
; %bb.8487:                             ;   in Loop: Header=BB2_7586 Depth=3
	v_bfe_u32 v8, v4, 23, 8
	v_cmp_gt_u32_e64 s[40:41], s46, v8
	v_sub_u32_e32 v4, 0x71, v8
	v_cmp_eq_u32_e32 vcc, 0, v8
	v_cndmask_b32_e64 v4, 0, v4, s[40:41]
	v_mov_b32_e32 v32, 0x70
	v_cndmask_b32_e32 v32, v4, v32, vcc
	v_add_u32_e32 v4, 21, v32
	v_or_b32_e32 v30, 0x800000, v2
	v_lshlrev_b64 v[38:39], v4, -1
	v_cndmask_b32_e32 v2, v30, v2, vcc
	v_add_u32_e32 v4, 20, v32
	v_bfi_b32 v38, v38, 0, v2
	v_lshlrev_b64 v[59:60], v4, 1
	v_lshrrev_b64 v[2:3], v32, v[2:3]
	v_bfi_b32 v39, v39, 0, 0
	v_cmp_eq_u64_e64 s[40:41], v[38:39], v[59:60]
	v_mov_b32_e32 v4, v3
	v_mov_b32_e32 v3, v2
	s_and_saveexec_b64 s[48:49], s[40:41]
; %bb.8488:                             ;   in Loop: Header=BB2_7586 Depth=3
	v_bfe_u32 v3, v2, 21, 1
	v_add_co_u32_e64 v3, s[40:41], v2, v3
	v_add_co_u32_e64 v3, s[40:41], -1, v3
; %bb.8489:                             ;   in Loop: Header=BB2_7586 Depth=3
	s_or_b64 exec, exec, s[48:49]
	v_add_u32_e32 v4, 0xffffff81, v8
	v_cndmask_b32_e32 v4, v4, v1, vcc
	v_lshrrev_b32_e32 v8, 23, v2
	v_add3_u32 v32, v32, v4, v8
	v_add_u32_e32 v8, 14, v32
	v_and_b32_e32 v3, 0x1fffff, v3
	v_add_u32_e32 v2, v3, v2
	v_mov_b32_e32 v3, v29
	v_cmp_ne_u32_e32 vcc, 0, v8
                                        ; implicit-def: $vgpr4
	s_and_saveexec_b64 s[40:41], vcc
	s_xor_b64 s[40:41], exec, s[40:41]
; %bb.8490:                             ;   in Loop: Header=BB2_7586 Depth=3
	v_cmp_lt_u64_e32 vcc, s[88:89], v[2:3]
	v_add_u32_e32 v4, 15, v32
	v_cndmask_b32_e32 v4, v8, v4, vcc
	v_cndmask_b32_e64 v8, 0, 1, vcc
	v_lshrrev_b64 v[2:3], v8, v[2:3]
; %bb.8491:                             ;   in Loop: Header=BB2_7586 Depth=3
	s_andn2_saveexec_b64 s[40:41], s[40:41]
; %bb.8492:                             ;   in Loop: Header=BB2_7586 Depth=3
	v_bfe_u32 v4, v2, 23, 1
; %bb.8493:                             ;   in Loop: Header=BB2_7586 Depth=3
	s_or_b64 exec, exec, s[40:41]
	v_lshrrev_b64 v[2:3], 21, v[2:3]
	v_cmp_gt_i32_e32 vcc, 32, v4
	v_cndmask_b32_e32 v3, 0, v3, vcc
	v_cndmask_b32_e32 v2, 3, v2, vcc
	v_cmp_eq_u64_e64 s[40:41], 0, v[2:3]
	v_min_i32_e32 v3, 31, v4
	v_lshlrev_b32_e32 v3, 2, v3
	v_cmp_eq_u32_e32 vcc, 0, v4
	v_and_b32_e32 v3, 0xfc, v3
	v_and_or_b32 v2, v2, 3, v3
	s_and_b64 s[40:41], vcc, s[40:41]
	v_cndmask_b32_e64 v2, v2, 0, s[40:41]
	v_or_b32_e32 v8, v2, v9
.LBB2_8494:                             ;   in Loop: Header=BB2_7586 Depth=3
	s_or_b64 exec, exec, s[38:39]
                                        ; implicit-def: $vgpr9
.LBB2_8495:                             ;   in Loop: Header=BB2_7586 Depth=3
	s_andn2_saveexec_b64 s[40:41], s[36:37]
; %bb.8496:                             ;   in Loop: Header=BB2_7586 Depth=3
	v_or_b32_e32 v8, 0x7b, v9
; %bb.8497:                             ;   in Loop: Header=BB2_7586 Depth=3
	s_or_b64 exec, exec, s[40:41]
                                        ; implicit-def: $vgpr4
                                        ; implicit-def: $vgpr2_vgpr3
.LBB2_8498:                             ;   in Loop: Header=BB2_7586 Depth=3
	s_andn2_saveexec_b64 s[40:41], s[42:43]
	s_cbranch_execz .LBB2_8504
; %bb.8499:                             ;   in Loop: Header=BB2_7586 Depth=3
	v_cmp_ne_u64_e32 vcc, 0, v[2:3]
                                        ; implicit-def: $vgpr8
	s_and_saveexec_b64 s[42:43], vcc
	s_xor_b64 s[42:43], exec, s[42:43]
; %bb.8500:                             ;   in Loop: Header=BB2_7586 Depth=3
	v_or_b32_sdwa v8, v4, s47 dst_sel:DWORD dst_unused:UNUSED_PAD src0_sel:BYTE_3 src1_sel:DWORD
                                        ; implicit-def: $vgpr4
; %bb.8501:                             ;   in Loop: Header=BB2_7586 Depth=3
	s_andn2_saveexec_b64 s[42:43], s[42:43]
; %bb.8502:                             ;   in Loop: Header=BB2_7586 Depth=3
	v_cmp_lt_i32_e32 vcc, -1, v4
	v_cndmask_b32_e32 v8, v6, v22, vcc
; %bb.8503:                             ;   in Loop: Header=BB2_7586 Depth=3
	s_or_b64 exec, exec, s[42:43]
.LBB2_8504:                             ;   in Loop: Header=BB2_7586 Depth=3
	s_or_b64 exec, exec, s[40:41]
	v_and_b32_sdwa v4, v28, s87 dst_sel:DWORD dst_unused:UNUSED_PAD src0_sel:WORD_1 src1_sel:DWORD
	v_lshrrev_b32_e32 v2, 16, v28
	v_cmp_ne_u16_e32 vcc, 0, v4
	v_mov_b32_e32 v3, 0
	s_and_saveexec_b64 s[40:41], vcc
	s_cbranch_execz .LBB2_8512
; %bb.8505:                             ;   in Loop: Header=BB2_7586 Depth=3
	v_cmp_ne_u16_e32 vcc, s96, v4
	v_bfrev_b32_e32 v3, 1
	s_and_saveexec_b64 s[42:43], vcc
	s_cbranch_execz .LBB2_8511
; %bb.8506:                             ;   in Loop: Header=BB2_7586 Depth=3
	v_and_b32_e32 v3, 0x7c0000, v28
	v_bfe_u32 v4, v28, 16, 2
	v_cmp_ne_u32_e32 vcc, s44, v3
                                        ; implicit-def: $vgpr3
	s_and_saveexec_b64 s[36:37], vcc
	s_xor_b64 s[36:37], exec, s[36:37]
	s_cbranch_execz .LBB2_8508
; %bb.8507:                             ;   in Loop: Header=BB2_7586 Depth=3
	v_ffbh_u32_e32 v3, v4
	v_min_u32_e32 v30, 32, v3
	v_subrev_u32_e32 v3, 29, v30
	v_lshlrev_b64 v[2:3], v3, v[2:3]
	v_bfe_u32 v9, v28, 18, 5
	v_and_b32_e32 v2, 3, v2
	v_cmp_eq_u32_e32 vcc, 0, v9
	v_sub_u32_e32 v3, 30, v30
	v_cndmask_b32_e32 v2, v4, v2, vcc
	v_lshlrev_b32_e32 v4, 8, v28
	v_cndmask_b32_e32 v3, v9, v3, vcc
	v_and_b32_e32 v4, 0x80000000, v4
	v_lshl_add_u32 v3, v3, 23, v4
	v_lshl_or_b32 v2, v2, 21, v3
	v_add_u32_e32 v3, 0x38000000, v2
                                        ; implicit-def: $vgpr4
                                        ; implicit-def: $vgpr2
.LBB2_8508:                             ;   in Loop: Header=BB2_7586 Depth=3
	s_andn2_saveexec_b64 s[36:37], s[36:37]
; %bb.8509:                             ;   in Loop: Header=BB2_7586 Depth=3
	v_cmp_gt_i16_sdwa vcc, sext(v2), v48 src0_sel:BYTE_0 src1_sel:DWORD
	v_cndmask_b32_e32 v2, v7, v0, vcc
	v_cmp_eq_u32_e32 vcc, 0, v4
	v_cndmask_b32_e32 v3, v35, v2, vcc
; %bb.8510:                             ;   in Loop: Header=BB2_7586 Depth=3
	s_or_b64 exec, exec, s[36:37]
.LBB2_8511:                             ;   in Loop: Header=BB2_7586 Depth=3
	s_or_b64 exec, exec, s[42:43]
.LBB2_8512:                             ;   in Loop: Header=BB2_7586 Depth=3
	s_or_b64 exec, exec, s[40:41]
	v_lshrrev_b32_e32 v2, 16, v11
	v_cmp_gt_i16_sdwa s[42:43], v2, s47 src0_sel:BYTE_0 src1_sel:DWORD
	s_mov_b64 s[40:41], 0
	s_and_saveexec_b64 vcc, s[42:43]
	s_xor_b64 s[42:43], exec, vcc
	s_cbranch_execz .LBB2_8583
; %bb.8513:                             ;   in Loop: Header=BB2_7586 Depth=3
	v_cmp_eq_u16_sdwa s[36:37], v2, s96 src0_sel:BYTE_0 src1_sel:DWORD
	s_mov_b64 s[40:41], -1
	s_and_saveexec_b64 vcc, s[36:37]
; %bb.8514:                             ;   in Loop: Header=BB2_7586 Depth=3
	s_xor_b64 s[40:41], exec, -1
; %bb.8515:                             ;   in Loop: Header=BB2_7586 Depth=3
	s_or_b64 exec, exec, vcc
	s_and_b64 s[40:41], s[40:41], exec
	s_or_saveexec_b64 s[42:43], s[42:43]
	v_bfrev_b32_e32 v4, 1
	s_xor_b64 exec, exec, s[42:43]
	s_cbranch_execnz .LBB2_8584
.LBB2_8516:                             ;   in Loop: Header=BB2_7586 Depth=3
	s_or_b64 exec, exec, s[42:43]
	s_and_saveexec_b64 s[36:37], s[40:41]
	s_cbranch_execz .LBB2_8518
.LBB2_8517:                             ;   in Loop: Header=BB2_7586 Depth=3
	v_and_b32_e32 v4, 3, v2
	v_and_b32_e32 v30, 0x7c0000, v11
	v_cmp_eq_u32_e32 vcc, s44, v30
	v_ffbh_u32_e32 v30, v4
	v_min_u32_e32 v30, 32, v30
	v_subrev_u32_e32 v32, 29, v30
	v_lshlrev_b64 v[38:39], v32, v[2:3]
	v_bfe_u32 v9, v11, 18, 5
	v_cmp_eq_u32_e64 s[40:41], 0, v9
	v_sub_u32_e32 v30, 30, v30
	v_and_b32_e32 v32, 3, v38
	v_cndmask_b32_e64 v9, v9, v30, s[40:41]
	v_cndmask_b32_e64 v30, v4, v32, s[40:41]
	v_lshlrev_b32_e32 v32, 24, v2
	v_and_b32_e32 v32, 0x80000000, v32
	v_lshl_add_u32 v9, v9, 23, v32
	v_cmp_gt_i16_sdwa s[42:43], sext(v2), v48 src0_sel:BYTE_0 src1_sel:DWORD
	v_lshl_or_b32 v9, v30, 21, v9
	v_cmp_eq_u32_e64 s[40:41], 0, v4
	v_cndmask_b32_e64 v2, v7, v0, s[42:43]
	v_add_u32_e32 v9, 0x38000000, v9
	v_cndmask_b32_e64 v2, v35, v2, s[40:41]
	v_cndmask_b32_e32 v4, v9, v2, vcc
.LBB2_8518:                             ;   in Loop: Header=BB2_7586 Depth=3
	s_or_b64 exec, exec, s[36:37]
	v_add_f32_e32 v4, v3, v4
	v_and_b32_e32 v38, 0x7f800000, v4
	v_mov_b32_e32 v39, v29
	v_cmp_ne_u64_e32 vcc, s[76:77], v[38:39]
	v_and_b32_e32 v2, 0x7fffff, v4
	v_mov_b32_e32 v3, v29
                                        ; implicit-def: $vgpr9
	s_and_saveexec_b64 s[40:41], vcc
	s_xor_b64 s[42:43], exec, s[40:41]
	s_cbranch_execz .LBB2_8532
; %bb.8519:                             ;   in Loop: Header=BB2_7586 Depth=3
	v_and_b32_e32 v38, 0x7fffffff, v4
	v_mov_b32_e32 v39, v29
	v_cmp_gt_u64_e32 vcc, s[78:79], v[38:39]
	v_and_b32_sdwa v32, v4, s96 dst_sel:DWORD dst_unused:UNUSED_PAD src0_sel:BYTE_3 src1_sel:DWORD
                                        ; implicit-def: $vgpr9
	s_and_saveexec_b64 s[40:41], vcc
	s_xor_b64 s[36:37], exec, s[40:41]
	s_cbranch_execz .LBB2_8529
; %bb.8520:                             ;   in Loop: Header=BB2_7586 Depth=3
	v_mov_b32_e32 v9, 0
	v_cmp_ne_u32_e32 vcc, 0, v4
	s_and_saveexec_b64 s[38:39], vcc
	s_cbranch_execz .LBB2_8528
; %bb.8521:                             ;   in Loop: Header=BB2_7586 Depth=3
	v_bfe_u32 v9, v4, 23, 8
	v_cmp_gt_u32_e64 s[40:41], s46, v9
	v_sub_u32_e32 v4, 0x71, v9
	v_cmp_eq_u32_e32 vcc, 0, v9
	v_cndmask_b32_e64 v4, 0, v4, s[40:41]
	v_mov_b32_e32 v38, 0x70
	v_cndmask_b32_e32 v49, v4, v38, vcc
	v_add_u32_e32 v4, 21, v49
	v_or_b32_e32 v30, 0x800000, v2
	v_lshlrev_b64 v[38:39], v4, -1
	v_cndmask_b32_e32 v2, v30, v2, vcc
	v_add_u32_e32 v4, 20, v49
	v_bfi_b32 v38, v38, 0, v2
	v_lshlrev_b64 v[59:60], v4, 1
	v_lshrrev_b64 v[2:3], v49, v[2:3]
	v_bfi_b32 v39, v39, 0, 0
	v_cmp_eq_u64_e64 s[40:41], v[38:39], v[59:60]
	v_mov_b32_e32 v4, v3
	v_mov_b32_e32 v3, v2
	s_and_saveexec_b64 s[48:49], s[40:41]
; %bb.8522:                             ;   in Loop: Header=BB2_7586 Depth=3
	v_bfe_u32 v3, v2, 21, 1
	v_add_co_u32_e64 v3, s[40:41], v2, v3
	v_add_co_u32_e64 v3, s[40:41], -1, v3
; %bb.8523:                             ;   in Loop: Header=BB2_7586 Depth=3
	s_or_b64 exec, exec, s[48:49]
	v_add_u32_e32 v4, 0xffffff81, v9
	v_cndmask_b32_e32 v4, v4, v1, vcc
	v_lshrrev_b32_e32 v9, 23, v2
	v_add3_u32 v49, v49, v4, v9
	v_add_u32_e32 v9, 14, v49
	v_and_b32_e32 v3, 0x1fffff, v3
	v_add_u32_e32 v2, v3, v2
	v_mov_b32_e32 v3, v29
	v_cmp_ne_u32_e32 vcc, 0, v9
                                        ; implicit-def: $vgpr4
	s_and_saveexec_b64 s[40:41], vcc
	s_xor_b64 s[40:41], exec, s[40:41]
; %bb.8524:                             ;   in Loop: Header=BB2_7586 Depth=3
	v_cmp_lt_u64_e32 vcc, s[88:89], v[2:3]
	v_add_u32_e32 v4, 15, v49
	v_cndmask_b32_e32 v4, v9, v4, vcc
	v_cndmask_b32_e64 v9, 0, 1, vcc
	v_lshrrev_b64 v[2:3], v9, v[2:3]
; %bb.8525:                             ;   in Loop: Header=BB2_7586 Depth=3
	s_andn2_saveexec_b64 s[40:41], s[40:41]
; %bb.8526:                             ;   in Loop: Header=BB2_7586 Depth=3
	v_bfe_u32 v4, v2, 23, 1
; %bb.8527:                             ;   in Loop: Header=BB2_7586 Depth=3
	s_or_b64 exec, exec, s[40:41]
	v_lshrrev_b64 v[2:3], 21, v[2:3]
	v_cmp_gt_i32_e32 vcc, 32, v4
	v_cndmask_b32_e32 v3, 0, v3, vcc
	v_cndmask_b32_e32 v2, 3, v2, vcc
	v_cmp_eq_u64_e64 s[40:41], 0, v[2:3]
	v_min_i32_e32 v3, 31, v4
	v_lshlrev_b32_e32 v3, 2, v3
	v_cmp_eq_u32_e32 vcc, 0, v4
	v_and_b32_e32 v3, 0xfc, v3
	v_and_or_b32 v2, v2, 3, v3
	s_and_b64 s[40:41], vcc, s[40:41]
	v_cndmask_b32_e64 v2, v2, 0, s[40:41]
	v_or_b32_e32 v9, v2, v32
.LBB2_8528:                             ;   in Loop: Header=BB2_7586 Depth=3
	s_or_b64 exec, exec, s[38:39]
                                        ; implicit-def: $vgpr32
.LBB2_8529:                             ;   in Loop: Header=BB2_7586 Depth=3
	s_andn2_saveexec_b64 s[40:41], s[36:37]
; %bb.8530:                             ;   in Loop: Header=BB2_7586 Depth=3
	v_or_b32_e32 v9, 0x7b, v32
; %bb.8531:                             ;   in Loop: Header=BB2_7586 Depth=3
	s_or_b64 exec, exec, s[40:41]
                                        ; implicit-def: $vgpr4
                                        ; implicit-def: $vgpr2_vgpr3
.LBB2_8532:                             ;   in Loop: Header=BB2_7586 Depth=3
	s_andn2_saveexec_b64 s[40:41], s[42:43]
	s_cbranch_execz .LBB2_8538
; %bb.8533:                             ;   in Loop: Header=BB2_7586 Depth=3
	v_cmp_ne_u64_e32 vcc, 0, v[2:3]
                                        ; implicit-def: $vgpr9
	s_and_saveexec_b64 s[42:43], vcc
	s_xor_b64 s[42:43], exec, s[42:43]
; %bb.8534:                             ;   in Loop: Header=BB2_7586 Depth=3
	v_or_b32_sdwa v9, v4, s47 dst_sel:DWORD dst_unused:UNUSED_PAD src0_sel:BYTE_3 src1_sel:DWORD
                                        ; implicit-def: $vgpr4
; %bb.8535:                             ;   in Loop: Header=BB2_7586 Depth=3
	s_andn2_saveexec_b64 s[42:43], s[42:43]
; %bb.8536:                             ;   in Loop: Header=BB2_7586 Depth=3
	v_cmp_lt_i32_e32 vcc, -1, v4
	v_cndmask_b32_e32 v9, v6, v22, vcc
; %bb.8537:                             ;   in Loop: Header=BB2_7586 Depth=3
	s_or_b64 exec, exec, s[42:43]
.LBB2_8538:                             ;   in Loop: Header=BB2_7586 Depth=3
	s_or_b64 exec, exec, s[40:41]
	v_cmp_lt_u32_e32 vcc, s57, v28
	v_mov_b32_e32 v3, 0
	s_and_saveexec_b64 s[40:41], vcc
	s_cbranch_execz .LBB2_8546
; %bb.8539:                             ;   in Loop: Header=BB2_7586 Depth=3
	v_lshrrev_b32_e32 v2, 24, v28
	v_cmp_ne_u32_e32 vcc, s96, v2
	v_bfrev_b32_e32 v3, 1
	s_and_saveexec_b64 s[42:43], vcc
	s_cbranch_execz .LBB2_8545
; %bb.8540:                             ;   in Loop: Header=BB2_7586 Depth=3
	v_and_b32_e32 v3, 0x7c000000, v28
	v_bfe_u32 v4, v28, 24, 2
	v_cmp_ne_u32_e32 vcc, s45, v3
                                        ; implicit-def: $vgpr3
	s_and_saveexec_b64 s[36:37], vcc
	s_xor_b64 s[36:37], exec, s[36:37]
	s_cbranch_execz .LBB2_8542
; %bb.8541:                             ;   in Loop: Header=BB2_7586 Depth=3
	v_ffbh_u32_e32 v3, v4
	v_min_u32_e32 v32, 32, v3
	v_subrev_u32_e32 v3, 29, v32
	v_lshlrev_b64 v[2:3], v3, v[2:3]
	v_bfe_u32 v30, v28, 26, 5
	v_sub_u32_e32 v3, 30, v32
	v_and_b32_e32 v2, 3, v2
	v_cmp_eq_u32_e32 vcc, 0, v30
	v_cndmask_b32_e32 v3, v30, v3, vcc
	v_cndmask_b32_e32 v2, v4, v2, vcc
	v_and_b32_e32 v4, 0x80000000, v28
	v_lshl_add_u32 v3, v3, 23, v4
	v_lshl_or_b32 v2, v2, 21, v3
	v_add_u32_e32 v3, 0x38000000, v2
                                        ; implicit-def: $vgpr4
.LBB2_8542:                             ;   in Loop: Header=BB2_7586 Depth=3
	s_andn2_saveexec_b64 s[36:37], s[36:37]
; %bb.8543:                             ;   in Loop: Header=BB2_7586 Depth=3
	v_cmp_lt_i32_e32 vcc, -1, v28
	v_cndmask_b32_e32 v2, v7, v0, vcc
	v_cmp_eq_u32_e32 vcc, 0, v4
	v_cndmask_b32_e32 v3, v35, v2, vcc
; %bb.8544:                             ;   in Loop: Header=BB2_7586 Depth=3
	s_or_b64 exec, exec, s[36:37]
.LBB2_8545:                             ;   in Loop: Header=BB2_7586 Depth=3
	s_or_b64 exec, exec, s[42:43]
.LBB2_8546:                             ;   in Loop: Header=BB2_7586 Depth=3
	s_or_b64 exec, exec, s[40:41]
	v_bfe_u32 v4, v11, 24, 2
	v_and_b32_e32 v30, 0x7c000000, v11
	v_cmp_eq_u32_e32 vcc, s45, v30
	v_ffbh_u32_e32 v30, v4
	v_min_u32_e32 v30, 32, v30
	v_lshrrev_b32_e32 v2, 24, v11
	v_subrev_u32_e32 v32, 29, v30
	v_lshlrev_b64 v[38:39], v32, v[2:3]
	v_bfe_u32 v28, v11, 26, 5
	v_cmp_eq_u32_e64 s[40:41], 0, v28
	v_sub_u32_e32 v30, 30, v30
	v_and_b32_e32 v32, 3, v38
	v_cndmask_b32_e64 v28, v28, v30, s[40:41]
	v_cndmask_b32_e64 v30, v4, v32, s[40:41]
	v_and_b32_e32 v32, 0x80000000, v11
	v_cmp_lt_i64_e64 s[42:43], -1, v[10:11]
	v_lshl_add_u32 v28, v28, 23, v32
	v_lshl_or_b32 v28, v30, 21, v28
	v_cmp_eq_u32_e64 s[40:41], 0, v4
	v_cndmask_b32_e64 v4, v7, v0, s[42:43]
	v_add_u32_e32 v28, 0x38000000, v28
	v_cndmask_b32_e64 v4, v35, v4, s[40:41]
	v_cndmask_b32_e32 v4, v28, v4, vcc
	v_cmp_ne_u32_e32 vcc, s96, v2
	v_bfrev_b32_e32 v2, 1
	v_cndmask_b32_e32 v2, v2, v4, vcc
	v_cmp_lt_u64_e32 vcc, s[56:57], v[10:11]
	v_mov_b32_e32 v11, v29
	v_cndmask_b32_e32 v2, 0, v2, vcc
	v_add_f32_e32 v3, v2, v3
	v_and_b32_e32 v10, 0x7f800000, v3
	v_cmp_ne_u64_e32 vcc, s[76:77], v[10:11]
	v_and_b32_e32 v28, 0x7fffff, v3
                                        ; implicit-def: $vgpr2
	s_and_saveexec_b64 s[40:41], vcc
	s_xor_b64 s[42:43], exec, s[40:41]
	s_cbranch_execz .LBB2_8560
; %bb.8547:                             ;   in Loop: Header=BB2_7586 Depth=3
	v_and_b32_e32 v10, 0x7fffffff, v3
	v_mov_b32_e32 v11, v29
	v_cmp_gt_u64_e32 vcc, s[78:79], v[10:11]
	v_and_b32_sdwa v10, v3, s96 dst_sel:DWORD dst_unused:UNUSED_PAD src0_sel:BYTE_3 src1_sel:DWORD
                                        ; implicit-def: $vgpr2
	s_and_saveexec_b64 s[40:41], vcc
	s_xor_b64 s[36:37], exec, s[40:41]
	s_cbranch_execz .LBB2_8557
; %bb.8548:                             ;   in Loop: Header=BB2_7586 Depth=3
	v_mov_b32_e32 v2, 0
	v_cmp_ne_u32_e32 vcc, 0, v3
	s_and_saveexec_b64 s[38:39], vcc
	s_cbranch_execz .LBB2_8556
; %bb.8549:                             ;   in Loop: Header=BB2_7586 Depth=3
	v_bfe_u32 v11, v3, 23, 8
	v_cmp_gt_u32_e64 s[40:41], s46, v11
	v_sub_u32_e32 v2, 0x71, v11
	v_cmp_eq_u32_e32 vcc, 0, v11
	v_cndmask_b32_e64 v2, 0, v2, s[40:41]
	v_mov_b32_e32 v4, 0x70
	v_cndmask_b32_e32 v32, v2, v4, vcc
	v_add_u32_e32 v4, 21, v32
	v_or_b32_e32 v3, 0x800000, v28
	v_lshlrev_b64 v[38:39], v4, -1
	v_cndmask_b32_e32 v2, v3, v28, vcc
	v_mov_b32_e32 v3, v29
	v_add_u32_e32 v4, 20, v32
	v_bfi_b32 v38, v38, 0, v2
	v_lshlrev_b64 v[59:60], v4, 1
	v_lshrrev_b64 v[2:3], v32, v[2:3]
	v_bfi_b32 v39, v39, 0, 0
	v_cmp_eq_u64_e64 s[40:41], v[38:39], v[59:60]
	v_mov_b32_e32 v4, v3
	v_mov_b32_e32 v3, v2
	s_and_saveexec_b64 s[48:49], s[40:41]
; %bb.8550:                             ;   in Loop: Header=BB2_7586 Depth=3
	v_bfe_u32 v3, v2, 21, 1
	v_add_co_u32_e64 v3, s[40:41], v2, v3
	v_add_co_u32_e64 v3, s[40:41], -1, v3
; %bb.8551:                             ;   in Loop: Header=BB2_7586 Depth=3
	s_or_b64 exec, exec, s[48:49]
	v_add_u32_e32 v4, 0xffffff81, v11
	v_cndmask_b32_e32 v4, v4, v1, vcc
	v_lshrrev_b32_e32 v11, 23, v2
	v_add3_u32 v32, v32, v4, v11
	v_add_u32_e32 v11, 14, v32
	v_and_b32_e32 v3, 0x1fffff, v3
	v_add_u32_e32 v28, v3, v2
	v_cmp_ne_u32_e32 vcc, 0, v11
                                        ; implicit-def: $vgpr2_vgpr3
                                        ; implicit-def: $vgpr4
	s_and_saveexec_b64 s[40:41], vcc
	s_xor_b64 s[40:41], exec, s[40:41]
; %bb.8552:                             ;   in Loop: Header=BB2_7586 Depth=3
	v_cmp_lt_u64_e32 vcc, s[88:89], v[28:29]
	v_add_u32_e32 v2, 15, v32
	v_cndmask_b32_e32 v4, v11, v2, vcc
	v_cndmask_b32_e64 v2, 0, 1, vcc
	v_lshrrev_b64 v[2:3], v2, v[28:29]
; %bb.8553:                             ;   in Loop: Header=BB2_7586 Depth=3
	s_andn2_saveexec_b64 s[40:41], s[40:41]
; %bb.8554:                             ;   in Loop: Header=BB2_7586 Depth=3
	v_mov_b32_e32 v2, v28
	v_mov_b32_e32 v3, v29
	v_bfe_u32 v4, v28, 23, 1
; %bb.8555:                             ;   in Loop: Header=BB2_7586 Depth=3
	s_or_b64 exec, exec, s[40:41]
	v_lshrrev_b64 v[2:3], 21, v[2:3]
	v_cmp_gt_i32_e32 vcc, 32, v4
	v_cndmask_b32_e32 v3, 0, v3, vcc
	v_cndmask_b32_e32 v2, 3, v2, vcc
	v_cmp_eq_u64_e64 s[40:41], 0, v[2:3]
	v_min_i32_e32 v3, 31, v4
	v_lshlrev_b32_e32 v3, 2, v3
	v_cmp_eq_u32_e32 vcc, 0, v4
	v_and_b32_e32 v3, 0xfc, v3
	v_and_or_b32 v2, v2, 3, v3
	s_and_b64 s[40:41], vcc, s[40:41]
	v_cndmask_b32_e64 v2, v2, 0, s[40:41]
	v_or_b32_e32 v2, v2, v10
.LBB2_8556:                             ;   in Loop: Header=BB2_7586 Depth=3
	s_or_b64 exec, exec, s[38:39]
                                        ; implicit-def: $vgpr10
.LBB2_8557:                             ;   in Loop: Header=BB2_7586 Depth=3
	s_andn2_saveexec_b64 s[40:41], s[36:37]
; %bb.8558:                             ;   in Loop: Header=BB2_7586 Depth=3
	v_or_b32_e32 v2, 0x7b, v10
; %bb.8559:                             ;   in Loop: Header=BB2_7586 Depth=3
	s_or_b64 exec, exec, s[40:41]
                                        ; implicit-def: $vgpr3
.LBB2_8560:                             ;   in Loop: Header=BB2_7586 Depth=3
	s_andn2_saveexec_b64 s[40:41], s[42:43]
	s_cbranch_execz .LBB2_7585
; %bb.8561:                             ;   in Loop: Header=BB2_7586 Depth=3
	v_cmp_ne_u64_e32 vcc, 0, v[28:29]
                                        ; implicit-def: $vgpr2
	s_and_saveexec_b64 s[42:43], vcc
	s_xor_b64 s[42:43], exec, s[42:43]
; %bb.8562:                             ;   in Loop: Header=BB2_7586 Depth=3
	v_or_b32_sdwa v2, v3, s47 dst_sel:DWORD dst_unused:UNUSED_PAD src0_sel:BYTE_3 src1_sel:DWORD
                                        ; implicit-def: $vgpr3
; %bb.8563:                             ;   in Loop: Header=BB2_7586 Depth=3
	s_andn2_saveexec_b64 s[42:43], s[42:43]
	s_cbranch_execz .LBB2_7584
; %bb.8564:                             ;   in Loop: Header=BB2_7586 Depth=3
	v_cmp_lt_i32_e32 vcc, -1, v3
	v_cndmask_b32_e32 v2, v6, v22, vcc
	s_branch .LBB2_7584
.LBB2_8565:                             ;   in Loop: Header=BB2_7586 Depth=3
	s_or_saveexec_b64 s[42:43], s[42:43]
	v_bfrev_b32_e32 v3, 1
	s_xor_b64 exec, exec, s[42:43]
	s_cbranch_execz .LBB2_8054
.LBB2_8566:                             ;   in Loop: Header=BB2_7586 Depth=3
	v_cmp_ne_u16_sdwa vcc, v8, v29 src0_sel:BYTE_0 src1_sel:DWORD
	s_andn2_b64 s[40:41], s[40:41], exec
	s_and_b64 vcc, vcc, exec
	v_mov_b32_e32 v3, 0
	s_or_b64 s[40:41], s[40:41], vcc
	s_or_b64 exec, exec, s[42:43]
	s_and_saveexec_b64 s[36:37], s[40:41]
	s_cbranch_execnz .LBB2_8055
	s_branch .LBB2_8056
.LBB2_8567:                             ;   in Loop: Header=BB2_7586 Depth=3
	s_or_saveexec_b64 s[42:43], s[42:43]
	v_bfrev_b32_e32 v3, 1
	s_xor_b64 exec, exec, s[42:43]
	s_cbranch_execz .LBB2_8088
.LBB2_8568:                             ;   in Loop: Header=BB2_7586 Depth=3
	v_cmp_ne_u16_e32 vcc, 0, v2
	s_andn2_b64 s[40:41], s[40:41], exec
	s_and_b64 vcc, vcc, exec
	v_mov_b32_e32 v3, 0
	s_or_b64 s[40:41], s[40:41], vcc
	s_or_b64 exec, exec, s[42:43]
	s_and_saveexec_b64 s[36:37], s[40:41]
	s_cbranch_execnz .LBB2_8089
	s_branch .LBB2_8090
.LBB2_8569:                             ;   in Loop: Header=BB2_7586 Depth=3
	s_or_saveexec_b64 s[42:43], s[42:43]
	v_bfrev_b32_e32 v4, 1
	s_xor_b64 exec, exec, s[42:43]
	s_cbranch_execz .LBB2_8122
.LBB2_8570:                             ;   in Loop: Header=BB2_7586 Depth=3
	v_cmp_ne_u16_sdwa vcc, v2, v29 src0_sel:BYTE_0 src1_sel:DWORD
	s_andn2_b64 s[40:41], s[40:41], exec
	s_and_b64 vcc, vcc, exec
	v_mov_b32_e32 v4, 0
	s_or_b64 s[40:41], s[40:41], vcc
	s_or_b64 exec, exec, s[42:43]
	s_and_saveexec_b64 s[36:37], s[40:41]
	s_cbranch_execnz .LBB2_8123
	s_branch .LBB2_8124
.LBB2_8571:                             ;   in Loop: Header=BB2_7586 Depth=3
	s_or_saveexec_b64 s[42:43], s[42:43]
	v_bfrev_b32_e32 v3, 1
	s_xor_b64 exec, exec, s[42:43]
	s_cbranch_execz .LBB2_8220
.LBB2_8572:                             ;   in Loop: Header=BB2_7586 Depth=3
	v_cmp_ne_u16_e32 vcc, 0, v2
	s_andn2_b64 s[40:41], s[40:41], exec
	s_and_b64 vcc, vcc, exec
	v_mov_b32_e32 v3, 0
	s_or_b64 s[40:41], s[40:41], vcc
	s_or_b64 exec, exec, s[42:43]
	s_and_saveexec_b64 s[36:37], s[40:41]
	s_cbranch_execnz .LBB2_8221
	s_branch .LBB2_8222
.LBB2_8573:                             ;   in Loop: Header=BB2_7586 Depth=3
	s_or_saveexec_b64 s[42:43], s[42:43]
	v_bfrev_b32_e32 v4, 1
	s_xor_b64 exec, exec, s[42:43]
	s_cbranch_execz .LBB2_8254
.LBB2_8574:                             ;   in Loop: Header=BB2_7586 Depth=3
	v_cmp_ne_u16_sdwa vcc, v2, v29 src0_sel:BYTE_0 src1_sel:DWORD
	s_andn2_b64 s[40:41], s[40:41], exec
	s_and_b64 vcc, vcc, exec
	v_mov_b32_e32 v4, 0
	s_or_b64 s[40:41], s[40:41], vcc
	s_or_b64 exec, exec, s[42:43]
	s_and_saveexec_b64 s[36:37], s[40:41]
	s_cbranch_execnz .LBB2_8255
	s_branch .LBB2_8256
.LBB2_8575:                             ;   in Loop: Header=BB2_7586 Depth=3
	s_or_saveexec_b64 s[42:43], s[42:43]
	v_bfrev_b32_e32 v3, 1
	s_xor_b64 exec, exec, s[42:43]
	s_cbranch_execz .LBB2_8316
.LBB2_8576:                             ;   in Loop: Header=BB2_7586 Depth=3
	v_cmp_ne_u16_sdwa vcc, v10, v29 src0_sel:BYTE_0 src1_sel:DWORD
	s_andn2_b64 s[40:41], s[40:41], exec
	s_and_b64 vcc, vcc, exec
	v_mov_b32_e32 v3, 0
	s_or_b64 s[40:41], s[40:41], vcc
	s_or_b64 exec, exec, s[42:43]
	s_and_saveexec_b64 s[36:37], s[40:41]
	s_cbranch_execnz .LBB2_8317
	s_branch .LBB2_8318
.LBB2_8577:                             ;   in Loop: Header=BB2_7586 Depth=3
	s_or_saveexec_b64 s[42:43], s[42:43]
	v_bfrev_b32_e32 v3, 1
	s_xor_b64 exec, exec, s[42:43]
	s_cbranch_execz .LBB2_8350
.LBB2_8578:                             ;   in Loop: Header=BB2_7586 Depth=3
	v_cmp_ne_u16_e32 vcc, 0, v2
	s_andn2_b64 s[40:41], s[40:41], exec
	s_and_b64 vcc, vcc, exec
	v_mov_b32_e32 v3, 0
	s_or_b64 s[40:41], s[40:41], vcc
	s_or_b64 exec, exec, s[42:43]
	s_and_saveexec_b64 s[36:37], s[40:41]
	s_cbranch_execnz .LBB2_8351
	s_branch .LBB2_8352
.LBB2_8579:                             ;   in Loop: Header=BB2_7586 Depth=3
	s_or_saveexec_b64 s[42:43], s[42:43]
	v_bfrev_b32_e32 v4, 1
	s_xor_b64 exec, exec, s[42:43]
	s_cbranch_execz .LBB2_8384
.LBB2_8580:                             ;   in Loop: Header=BB2_7586 Depth=3
	v_cmp_ne_u16_sdwa vcc, v2, v29 src0_sel:BYTE_0 src1_sel:DWORD
	s_andn2_b64 s[40:41], s[40:41], exec
	s_and_b64 vcc, vcc, exec
	v_mov_b32_e32 v4, 0
	s_or_b64 s[40:41], s[40:41], vcc
	s_or_b64 exec, exec, s[42:43]
	s_and_saveexec_b64 s[36:37], s[40:41]
	s_cbranch_execnz .LBB2_8385
	s_branch .LBB2_8386
.LBB2_8581:                             ;   in Loop: Header=BB2_7586 Depth=3
	s_or_saveexec_b64 s[42:43], s[42:43]
	v_bfrev_b32_e32 v3, 1
	s_xor_b64 exec, exec, s[42:43]
	s_cbranch_execz .LBB2_8482
.LBB2_8582:                             ;   in Loop: Header=BB2_7586 Depth=3
	v_cmp_ne_u16_e32 vcc, 0, v2
	s_andn2_b64 s[40:41], s[40:41], exec
	s_and_b64 vcc, vcc, exec
	v_mov_b32_e32 v3, 0
	s_or_b64 s[40:41], s[40:41], vcc
	s_or_b64 exec, exec, s[42:43]
	s_and_saveexec_b64 s[36:37], s[40:41]
	s_cbranch_execnz .LBB2_8483
	s_branch .LBB2_8484
.LBB2_8583:                             ;   in Loop: Header=BB2_7586 Depth=3
	s_or_saveexec_b64 s[42:43], s[42:43]
	v_bfrev_b32_e32 v4, 1
	s_xor_b64 exec, exec, s[42:43]
	s_cbranch_execz .LBB2_8516
.LBB2_8584:                             ;   in Loop: Header=BB2_7586 Depth=3
	v_cmp_ne_u16_sdwa vcc, v2, v29 src0_sel:BYTE_0 src1_sel:DWORD
	s_andn2_b64 s[40:41], s[40:41], exec
	s_and_b64 vcc, vcc, exec
	v_mov_b32_e32 v4, 0
	s_or_b64 s[40:41], s[40:41], vcc
	s_or_b64 exec, exec, s[42:43]
	s_and_saveexec_b64 s[36:37], s[40:41]
	s_cbranch_execnz .LBB2_8517
	s_branch .LBB2_8518
.LBB2_8585:                             ;   in Loop: Header=BB2_4813 Depth=2
	s_or_b64 exec, exec, s[34:35]
	buffer_load_dword v41, off, s[0:3], s33 offset:188 ; 4-byte Folded Reload
	buffer_load_dword v42, off, s[0:3], s33 offset:192 ; 4-byte Folded Reload
	;; [unrolled: 1-line block ×4, first 2 shown]
.LBB2_8586:                             ;   in Loop: Header=BB2_4813 Depth=2
	s_or_b64 exec, exec, s[30:31]
	buffer_load_dword v2, off, s[0:3], s33 offset:144 ; 4-byte Folded Reload
	v_mov_b32_e32 v47, 0
	s_mov_b64 s[42:43], 0
                                        ; implicit-def: $vgpr37
                                        ; implicit-def: $vgpr56
	s_waitcnt vmcnt(0)
	v_and_b32_e32 v2, 15, v2
	v_cndmask_b32_e64 v8, v61, v2, s[28:29]
	v_cmp_ne_u32_e32 vcc, 0, v8
	s_and_saveexec_b64 s[30:31], vcc
	s_cbranch_execz .LBB2_9592
; %bb.8587:                             ;   in Loop: Header=BB2_4813 Depth=2
	buffer_load_dword v3, off, s[0:3], s33 offset:216 ; 4-byte Folded Reload
	v_sub_u32_e32 v2, v61, v2
	v_cndmask_b32_e64 v2, 0, v2, s[28:29]
	v_cmp_lt_i32_e32 vcc, 0, v18
	v_add_u32_e32 v9, v2, v17
	v_cndmask_b32_e32 v2, 0, v36, vcc
	v_sub_u32_e32 v2, v2, v18
	s_waitcnt vmcnt(0)
	v_lshl_or_b32 v2, v2, 6, v3
	v_ashrrev_i32_e32 v3, 31, v2
	v_lshrrev_b32_e32 v3, 26, v3
	v_add_u32_e32 v3, v2, v3
	v_ashrrev_i32_e32 v4, 6, v3
	v_and_b32_e32 v3, 0xffffffc0, v3
	v_sub_u32_e32 v10, v2, v3
	v_ashrrev_i32_e32 v3, 31, v8
	v_lshrrev_b32_e32 v3, 22, v3
	v_add_u32_e32 v3, v8, v3
	v_and_b32_e32 v11, 0xfffffc00, v3
	v_lshlrev_b32_e32 v2, 4, v10
	v_sub_u32_e32 v14, v8, v11
	v_lshl_add_u32 v2, v4, 10, v2
	v_ashrrev_i32_e32 v5, 10, v3
	v_cmp_lt_i32_e64 s[28:29], 15, v14
	v_sub_u32_e32 v33, v8, v2
	v_addc_co_u32_e64 v3, vcc, 0, v5, s[28:29]
	v_sub_u32_e32 v32, v3, v4
	v_cmp_lt_i32_e32 vcc, 15, v33
	s_and_saveexec_b64 s[34:35], vcc
	s_cbranch_execz .LBB2_9591
; %bb.8588:                             ;   in Loop: Header=BB2_4813 Depth=2
	v_add_u32_e32 v4, v2, v9
	buffer_store_dword v14, off, s[0:3], s33 offset:248 ; 4-byte Folded Spill
	buffer_store_dword v11, off, s[0:3], s33 offset:244 ; 4-byte Folded Spill
	;; [unrolled: 1-line block ×5, first 2 shown]
	s_trap 2
	ds_read_b64 v[2:3], v0
	v_add_co_u32_e32 v40, vcc, v4, v43
	buffer_store_dword v43, off, s[0:3], s33 offset:196 ; 4-byte Folded Spill
	s_nop 0
	buffer_store_dword v44, off, s[0:3], s33 offset:200 ; 4-byte Folded Spill
	v_ashrrev_i32_e32 v5, 31, v4
	v_mov_b32_e32 v8, v41
	v_mov_b32_e32 v9, v42
	s_waitcnt lgkmcnt(0)
	v_readfirstlane_b32 s42, v2
	s_bfe_i32 s38, s42, 0x80000
	s_and_b32 s43, s42, 3
	s_bfe_u32 s40, s42, 0x50002
	s_and_b32 s41, s42, 0x7c
	s_cmpk_eq_i32 s41, 0x7c
	s_flbit_i32_b32 s41, s43
	v_addc_co_u32_e32 v41, vcc, v5, v44, vcc
	v_add_co_u32_e32 v42, vcc, v2, v4
	v_addc_co_u32_e32 v43, vcc, v3, v5, vcc
	v_add_co_u32_e32 v44, vcc, v4, v8
	buffer_store_dword v8, off, s[0:3], s33 offset:188 ; 4-byte Folded Spill
	s_nop 0
	buffer_store_dword v9, off, s[0:3], s33 offset:192 ; 4-byte Folded Spill
	v_addc_co_u32_e32 v45, vcc, v5, v9, vcc
	s_cselect_b64 vcc, -1, 0
	s_min_u32 s41, s41, 32
	s_sub_i32 s36, s41, 29
	v_lshlrev_b64 v[2:3], s36, v[2:3]
	s_sub_i32 s41, 30, s41
	s_cmp_eq_u32 s40, 0
	v_and_b32_e32 v2, 3, v2
	s_cselect_b32 s36, s41, s40
	v_mov_b32_e32 v3, s43
	s_cselect_b64 s[40:41], -1, 0
	v_cndmask_b32_e64 v2, v3, v2, s[40:41]
	s_lshl_b32 s40, s42, 24
	s_and_b32 s40, s40, 0x80000000
	s_lshl_b32 s41, s36, 23
	s_add_i32 s41, s41, s40
	v_lshlrev_b32_e32 v2, 21, v2
	s_cmp_eq_u32 s43, 0
	s_sext_i32_i8 s42, s42
	v_or_b32_e32 v2, s41, v2
	s_cselect_b64 s[40:41], -1, 0
	s_cmp_gt_i32 s42, -1
	s_cselect_b64 s[42:43], -1, 0
	v_cndmask_b32_e64 v3, v7, v0, s[42:43]
	v_add_u32_e32 v2, 0x38000000, v2
	v_cndmask_b32_e64 v3, v35, v3, s[40:41]
	v_cndmask_b32_e32 v18, v2, v3, vcc
	s_mov_b64 s[36:37], 0
	s_and_b32 s52, s38, 0xff
	s_branch .LBB2_8591
.LBB2_8589:                             ;   in Loop: Header=BB2_8591 Depth=3
	s_or_b64 exec, exec, s[42:43]
.LBB2_8590:                             ;   in Loop: Header=BB2_8591 Depth=3
	s_or_b64 exec, exec, s[40:41]
	v_lshl_or_b32 v3, v15, 8, v14
	v_lshlrev_b32_e32 v4, 16, v60
	v_lshlrev_b32_e32 v10, 24, v61
	v_or3_b32 v15, v3, v4, v10
	v_lshl_or_b32 v3, v51, 8, v23
	v_lshlrev_b32_e32 v4, 16, v54
	v_lshlrev_b32_e32 v10, 24, v57
	v_or3_b32 v14, v3, v4, v10
	;; [unrolled: 4-line block ×3, first 2 shown]
	v_lshlrev_b32_e32 v2, 24, v2
	v_lshlrev_b32_e32 v3, 16, v9
	v_lshl_or_b32 v4, v8, 8, v5
	v_or3_b32 v17, v4, v3, v2
	buffer_load_dword v2, off, s[0:3], s33 offset:56 ; 4-byte Folded Reload
	v_sub_u32_e32 v32, v32, v36
	global_store_dwordx4 v[44:45], v[14:17], off glc slc
	s_waitcnt vmcnt(1)
	v_add_co_u32_e32 v40, vcc, v40, v2
	v_addc_co_u32_e32 v41, vcc, 0, v41, vcc
	v_add_co_u32_e32 v42, vcc, v42, v2
	v_addc_co_u32_e32 v43, vcc, 0, v43, vcc
	;; [unrolled: 2-line block ×3, first 2 shown]
	v_sub_u32_e32 v33, v33, v2
	v_cmp_gt_i32_e32 vcc, 16, v33
	s_or_b64 s[36:37], vcc, s[36:37]
	s_andn2_b64 exec, exec, s[36:37]
	s_cbranch_execz .LBB2_9590
.LBB2_8591:                             ;   Parent Loop BB2_47 Depth=1
                                        ;     Parent Loop BB2_4813 Depth=2
                                        ; =>    This Inner Loop Header: Depth=3
	s_cmpk_lt_i32 s52, 0x80
	s_cbranch_scc1 .LBB2_8595
; %bb.8592:                             ;   in Loop: Header=BB2_8591 Depth=3
	s_and_b32 s42, 0xffff, s52
	s_mov_b64 s[40:41], -1
	s_cmpk_eq_i32 s42, 0x80
	s_cbranch_scc0 .LBB2_8594
; %bb.8593:                             ;   in Loop: Header=BB2_8591 Depth=3
	s_mov_b64 s[40:41], 0
.LBB2_8594:                             ;   in Loop: Header=BB2_8591 Depth=3
	s_brev_b32 s38, 1
	s_branch .LBB2_8597
.LBB2_8595:                             ;   in Loop: Header=BB2_8591 Depth=3
	s_mov_b64 s[40:41], 0
	s_brev_b32 s38, 1
	s_cbranch_execz .LBB2_8597
; %bb.8596:                             ;   in Loop: Header=BB2_8591 Depth=3
	s_and_b32 s40, 0xffff, s52
	s_cmp_lg_u32 s40, 0
	s_mov_b32 s38, 0
	s_cselect_b64 s[40:41], -1, 0
.LBB2_8597:                             ;   in Loop: Header=BB2_8591 Depth=3
	s_andn2_b64 vcc, exec, s[40:41]
	v_mov_b32_e32 v23, s38
	s_cbranch_vccnz .LBB2_8599
; %bb.8598:                             ;   in Loop: Header=BB2_8591 Depth=3
	v_mov_b32_e32 v23, v18
.LBB2_8599:                             ;   in Loop: Header=BB2_8591 Depth=3
	global_load_dwordx4 v[8:11], v[40:41], off glc slc
	v_mov_b32_e32 v2, 0
	s_waitcnt vmcnt(0)
	v_cmp_ne_u16_sdwa s[42:43], v8, v29 src0_sel:BYTE_0 src1_sel:DWORD
	s_and_saveexec_b64 s[40:41], s[42:43]
	s_cbranch_execz .LBB2_8607
; %bb.8600:                             ;   in Loop: Header=BB2_8591 Depth=3
	v_cmp_ne_u16_sdwa vcc, sext(v8), s97 src0_sel:BYTE_0 src1_sel:DWORD
	v_bfrev_b32_e32 v2, 1
	s_and_saveexec_b64 s[42:43], vcc
	s_cbranch_execz .LBB2_8606
; %bb.8601:                             ;   in Loop: Header=BB2_8591 Depth=3
	v_and_b32_e32 v2, 0x7c, v8
	v_and_b32_e32 v3, 3, v8
	v_cmp_ne_u32_e32 vcc, s85, v2
                                        ; implicit-def: $vgpr2
	s_and_saveexec_b64 s[38:39], vcc
	s_xor_b64 s[38:39], exec, s[38:39]
	s_cbranch_execz .LBB2_8603
; %bb.8602:                             ;   in Loop: Header=BB2_8591 Depth=3
	v_ffbh_u32_e32 v4, v3
	v_min_u32_e32 v14, 32, v4
	v_subrev_u32_e32 v4, 29, v14
	v_lshlrev_b64 v[4:5], v4, v[8:9]
	v_bfe_u32 v2, v8, 2, 5
	v_and_b32_e32 v4, 3, v4
	v_cmp_eq_u32_e32 vcc, 0, v2
	v_sub_u32_e32 v5, 30, v14
	v_cndmask_b32_e32 v3, v3, v4, vcc
	v_lshlrev_b32_e32 v4, 24, v8
	v_cndmask_b32_e32 v2, v2, v5, vcc
	v_and_b32_e32 v4, 0x80000000, v4
	v_lshl_add_u32 v2, v2, 23, v4
	v_lshl_or_b32 v2, v3, 21, v2
	v_add_u32_e32 v2, 0x38000000, v2
                                        ; implicit-def: $vgpr3
.LBB2_8603:                             ;   in Loop: Header=BB2_8591 Depth=3
	s_andn2_saveexec_b64 s[38:39], s[38:39]
; %bb.8604:                             ;   in Loop: Header=BB2_8591 Depth=3
	v_cmp_gt_i16_sdwa vcc, sext(v8), v48 src0_sel:BYTE_0 src1_sel:DWORD
	v_cndmask_b32_e32 v2, v7, v0, vcc
	v_cmp_eq_u32_e32 vcc, 0, v3
	v_cndmask_b32_e32 v2, v35, v2, vcc
; %bb.8605:                             ;   in Loop: Header=BB2_8591 Depth=3
	s_or_b64 exec, exec, s[38:39]
.LBB2_8606:                             ;   in Loop: Header=BB2_8591 Depth=3
	s_or_b64 exec, exec, s[42:43]
.LBB2_8607:                             ;   in Loop: Header=BB2_8591 Depth=3
	s_or_b64 exec, exec, s[40:41]
	v_mul_f32_e32 v2, v23, v2
	v_and_b32_e32 v3, 0x7f800000, v2
	v_mov_b32_e32 v4, v29
	v_cmp_ne_u64_e32 vcc, s[76:77], v[3:4]
	v_and_b32_e32 v28, 0x7fffff, v2
                                        ; implicit-def: $vgpr14
	s_and_saveexec_b64 s[40:41], vcc
	s_xor_b64 s[42:43], exec, s[40:41]
	s_cbranch_execz .LBB2_8621
; %bb.8608:                             ;   in Loop: Header=BB2_8591 Depth=3
	v_and_b32_e32 v3, 0x7fffffff, v2
	v_mov_b32_e32 v4, v29
	v_cmp_gt_u64_e32 vcc, s[78:79], v[3:4]
	v_and_b32_sdwa v5, v2, s96 dst_sel:DWORD dst_unused:UNUSED_PAD src0_sel:BYTE_3 src1_sel:DWORD
                                        ; implicit-def: $vgpr14
	s_and_saveexec_b64 s[40:41], vcc
	s_xor_b64 s[38:39], exec, s[40:41]
	s_cbranch_execz .LBB2_8618
; %bb.8609:                             ;   in Loop: Header=BB2_8591 Depth=3
	v_mov_b32_e32 v14, 0
	v_cmp_ne_u32_e32 vcc, 0, v2
	s_and_saveexec_b64 s[48:49], vcc
	s_cbranch_execz .LBB2_8617
; %bb.8610:                             ;   in Loop: Header=BB2_8591 Depth=3
	v_bfe_u32 v14, v2, 23, 8
	v_cmp_gt_u32_e64 s[40:41], s46, v14
	v_sub_u32_e32 v2, 0x71, v14
	v_cmp_eq_u32_e32 vcc, 0, v14
	v_cndmask_b32_e64 v2, 0, v2, s[40:41]
	v_mov_b32_e32 v4, 0x70
	v_cndmask_b32_e32 v15, v2, v4, vcc
	v_add_u32_e32 v4, 21, v15
	v_or_b32_e32 v3, 0x800000, v28
	v_lshlrev_b64 v[16:17], v4, -1
	v_cndmask_b32_e32 v2, v3, v28, vcc
	v_mov_b32_e32 v3, v29
	v_add_u32_e32 v4, 20, v15
	v_bfi_b32 v16, v16, 0, v2
	v_lshlrev_b64 v[37:38], v4, 1
	v_lshrrev_b64 v[2:3], v15, v[2:3]
	v_bfi_b32 v17, v17, 0, 0
	v_cmp_eq_u64_e64 s[40:41], v[16:17], v[37:38]
	v_mov_b32_e32 v4, v3
	v_mov_b32_e32 v3, v2
	s_and_saveexec_b64 s[50:51], s[40:41]
; %bb.8611:                             ;   in Loop: Header=BB2_8591 Depth=3
	v_bfe_u32 v3, v2, 21, 1
	v_add_co_u32_e64 v3, s[40:41], v2, v3
	v_add_co_u32_e64 v3, s[40:41], -1, v3
; %bb.8612:                             ;   in Loop: Header=BB2_8591 Depth=3
	s_or_b64 exec, exec, s[50:51]
	v_add_u32_e32 v4, 0xffffff81, v14
	v_cndmask_b32_e32 v4, v4, v1, vcc
	v_lshrrev_b32_e32 v14, 23, v2
	v_add3_u32 v15, v15, v4, v14
	v_add_u32_e32 v14, 14, v15
	v_and_b32_e32 v3, 0x1fffff, v3
	v_add_u32_e32 v28, v3, v2
	v_cmp_ne_u32_e32 vcc, 0, v14
                                        ; implicit-def: $vgpr2_vgpr3
                                        ; implicit-def: $vgpr4
	s_and_saveexec_b64 s[40:41], vcc
	s_xor_b64 s[40:41], exec, s[40:41]
; %bb.8613:                             ;   in Loop: Header=BB2_8591 Depth=3
	v_cmp_lt_u64_e32 vcc, s[88:89], v[28:29]
	v_add_u32_e32 v2, 15, v15
	v_cndmask_b32_e32 v4, v14, v2, vcc
	v_cndmask_b32_e64 v2, 0, 1, vcc
	v_lshrrev_b64 v[2:3], v2, v[28:29]
; %bb.8614:                             ;   in Loop: Header=BB2_8591 Depth=3
	s_andn2_saveexec_b64 s[40:41], s[40:41]
; %bb.8615:                             ;   in Loop: Header=BB2_8591 Depth=3
	v_mov_b32_e32 v2, v28
	v_mov_b32_e32 v3, v29
	v_bfe_u32 v4, v28, 23, 1
; %bb.8616:                             ;   in Loop: Header=BB2_8591 Depth=3
	s_or_b64 exec, exec, s[40:41]
	v_lshrrev_b64 v[2:3], 21, v[2:3]
	v_cmp_gt_i32_e32 vcc, 32, v4
	v_cndmask_b32_e32 v3, 0, v3, vcc
	v_cndmask_b32_e32 v2, 3, v2, vcc
	v_cmp_eq_u64_e64 s[40:41], 0, v[2:3]
	v_min_i32_e32 v3, 31, v4
	v_lshlrev_b32_e32 v3, 2, v3
	v_cmp_eq_u32_e32 vcc, 0, v4
	v_and_b32_e32 v3, 0xfc, v3
	v_and_or_b32 v2, v2, 3, v3
	s_and_b64 s[40:41], vcc, s[40:41]
	v_cndmask_b32_e64 v2, v2, 0, s[40:41]
	v_or_b32_e32 v14, v2, v5
.LBB2_8617:                             ;   in Loop: Header=BB2_8591 Depth=3
	s_or_b64 exec, exec, s[48:49]
                                        ; implicit-def: $vgpr5
.LBB2_8618:                             ;   in Loop: Header=BB2_8591 Depth=3
	s_andn2_saveexec_b64 s[40:41], s[38:39]
; %bb.8619:                             ;   in Loop: Header=BB2_8591 Depth=3
	v_or_b32_e32 v14, 0x7b, v5
; %bb.8620:                             ;   in Loop: Header=BB2_8591 Depth=3
	s_or_b64 exec, exec, s[40:41]
                                        ; implicit-def: $vgpr2
.LBB2_8621:                             ;   in Loop: Header=BB2_8591 Depth=3
	s_andn2_saveexec_b64 s[40:41], s[42:43]
	s_cbranch_execz .LBB2_8627
; %bb.8622:                             ;   in Loop: Header=BB2_8591 Depth=3
	v_cmp_ne_u64_e32 vcc, 0, v[28:29]
                                        ; implicit-def: $vgpr14
	s_and_saveexec_b64 s[42:43], vcc
	s_xor_b64 s[42:43], exec, s[42:43]
; %bb.8623:                             ;   in Loop: Header=BB2_8591 Depth=3
	v_or_b32_sdwa v14, v2, s47 dst_sel:DWORD dst_unused:UNUSED_PAD src0_sel:BYTE_3 src1_sel:DWORD
                                        ; implicit-def: $vgpr2
; %bb.8624:                             ;   in Loop: Header=BB2_8591 Depth=3
	s_andn2_saveexec_b64 s[42:43], s[42:43]
; %bb.8625:                             ;   in Loop: Header=BB2_8591 Depth=3
	v_cmp_lt_i32_e32 vcc, -1, v2
	v_cndmask_b32_e32 v14, v6, v22, vcc
; %bb.8626:                             ;   in Loop: Header=BB2_8591 Depth=3
	s_or_b64 exec, exec, s[42:43]
.LBB2_8627:                             ;   in Loop: Header=BB2_8591 Depth=3
	s_or_b64 exec, exec, s[40:41]
	v_lshrrev_b16_e32 v2, 8, v8
	v_cmp_ne_u16_e32 vcc, 0, v2
	v_mov_b32_e32 v3, 0
	s_and_saveexec_b64 s[40:41], vcc
	s_cbranch_execz .LBB2_8635
; %bb.8628:                             ;   in Loop: Header=BB2_8591 Depth=3
	v_cmp_ne_u16_e32 vcc, s96, v2
	v_bfrev_b32_e32 v3, 1
	s_and_saveexec_b64 s[42:43], vcc
	s_cbranch_execz .LBB2_8634
; %bb.8629:                             ;   in Loop: Header=BB2_8591 Depth=3
	v_and_b32_e32 v3, 0x7c, v2
	v_and_b32_e32 v4, 3, v2
	v_cmp_ne_u32_e32 vcc, s85, v3
                                        ; implicit-def: $vgpr3
	s_and_saveexec_b64 s[38:39], vcc
	s_xor_b64 s[38:39], exec, s[38:39]
	s_cbranch_execz .LBB2_8631
; %bb.8630:                             ;   in Loop: Header=BB2_8591 Depth=3
	v_ffbh_u32_e32 v15, v4
	v_min_u32_e32 v15, 32, v15
	v_mov_b32_e32 v3, v29
	v_subrev_u32_e32 v16, 29, v15
	v_bfe_u32 v5, v2, 2, 5
	v_lshlrev_b64 v[2:3], v16, v[2:3]
	v_cmp_eq_u32_e32 vcc, 0, v5
	v_and_b32_e32 v2, 3, v2
	v_sub_u32_e32 v3, 30, v15
	v_cndmask_b32_e32 v2, v4, v2, vcc
	v_lshlrev_b32_e32 v4, 16, v8
	v_cndmask_b32_e32 v3, v5, v3, vcc
	v_and_b32_e32 v4, 0x80000000, v4
	v_lshl_add_u32 v3, v3, 23, v4
	v_lshl_or_b32 v2, v2, 21, v3
	v_add_u32_e32 v3, 0x38000000, v2
                                        ; implicit-def: $vgpr4
.LBB2_8631:                             ;   in Loop: Header=BB2_8591 Depth=3
	s_andn2_saveexec_b64 s[38:39], s[38:39]
; %bb.8632:                             ;   in Loop: Header=BB2_8591 Depth=3
	v_cmp_lt_i16_e32 vcc, -1, v8
	v_cndmask_b32_e32 v2, v7, v0, vcc
	v_cmp_eq_u32_e32 vcc, 0, v4
	v_cndmask_b32_e32 v3, v35, v2, vcc
; %bb.8633:                             ;   in Loop: Header=BB2_8591 Depth=3
	s_or_b64 exec, exec, s[38:39]
.LBB2_8634:                             ;   in Loop: Header=BB2_8591 Depth=3
	s_or_b64 exec, exec, s[42:43]
.LBB2_8635:                             ;   in Loop: Header=BB2_8591 Depth=3
	s_or_b64 exec, exec, s[40:41]
	v_mul_f32_e32 v2, v23, v3
	v_and_b32_e32 v3, 0x7f800000, v2
	v_mov_b32_e32 v4, v29
	v_cmp_ne_u64_e32 vcc, s[76:77], v[3:4]
	v_and_b32_e32 v28, 0x7fffff, v2
                                        ; implicit-def: $vgpr51
	s_and_saveexec_b64 s[40:41], vcc
	s_xor_b64 s[42:43], exec, s[40:41]
	s_cbranch_execz .LBB2_8649
; %bb.8636:                             ;   in Loop: Header=BB2_8591 Depth=3
	v_and_b32_e32 v3, 0x7fffffff, v2
	v_mov_b32_e32 v4, v29
	v_cmp_gt_u64_e32 vcc, s[78:79], v[3:4]
	v_and_b32_sdwa v5, v2, s96 dst_sel:DWORD dst_unused:UNUSED_PAD src0_sel:BYTE_3 src1_sel:DWORD
                                        ; implicit-def: $vgpr51
	s_and_saveexec_b64 s[40:41], vcc
	s_xor_b64 s[38:39], exec, s[40:41]
	s_cbranch_execz .LBB2_8646
; %bb.8637:                             ;   in Loop: Header=BB2_8591 Depth=3
	v_mov_b32_e32 v51, 0
	v_cmp_ne_u32_e32 vcc, 0, v2
	s_and_saveexec_b64 s[48:49], vcc
	s_cbranch_execz .LBB2_8645
; %bb.8638:                             ;   in Loop: Header=BB2_8591 Depth=3
	v_bfe_u32 v15, v2, 23, 8
	v_cmp_gt_u32_e64 s[40:41], s46, v15
	v_sub_u32_e32 v2, 0x71, v15
	v_cmp_eq_u32_e32 vcc, 0, v15
	v_cndmask_b32_e64 v2, 0, v2, s[40:41]
	v_mov_b32_e32 v4, 0x70
	v_cndmask_b32_e32 v17, v2, v4, vcc
	v_add_u32_e32 v4, 21, v17
	v_or_b32_e32 v3, 0x800000, v28
	v_lshlrev_b64 v[37:38], v4, -1
	v_cndmask_b32_e32 v2, v3, v28, vcc
	v_mov_b32_e32 v3, v29
	v_add_u32_e32 v4, 20, v17
	v_bfi_b32 v37, v37, 0, v2
	v_lshlrev_b64 v[51:52], v4, 1
	v_lshrrev_b64 v[2:3], v17, v[2:3]
	v_bfi_b32 v38, v38, 0, 0
	v_cmp_eq_u64_e64 s[40:41], v[37:38], v[51:52]
	v_mov_b32_e32 v4, v3
	v_mov_b32_e32 v3, v2
	s_and_saveexec_b64 s[50:51], s[40:41]
; %bb.8639:                             ;   in Loop: Header=BB2_8591 Depth=3
	v_bfe_u32 v3, v2, 21, 1
	v_add_co_u32_e64 v3, s[40:41], v2, v3
	v_add_co_u32_e64 v3, s[40:41], -1, v3
; %bb.8640:                             ;   in Loop: Header=BB2_8591 Depth=3
	s_or_b64 exec, exec, s[50:51]
	v_add_u32_e32 v4, 0xffffff81, v15
	v_cndmask_b32_e32 v4, v4, v1, vcc
	v_lshrrev_b32_e32 v15, 23, v2
	v_add3_u32 v17, v17, v4, v15
	v_add_u32_e32 v15, 14, v17
	v_and_b32_e32 v3, 0x1fffff, v3
	v_add_u32_e32 v28, v3, v2
	v_cmp_ne_u32_e32 vcc, 0, v15
                                        ; implicit-def: $vgpr2_vgpr3
                                        ; implicit-def: $vgpr4
	s_and_saveexec_b64 s[40:41], vcc
	s_xor_b64 s[40:41], exec, s[40:41]
; %bb.8641:                             ;   in Loop: Header=BB2_8591 Depth=3
	v_cmp_lt_u64_e32 vcc, s[88:89], v[28:29]
	v_add_u32_e32 v2, 15, v17
	v_cndmask_b32_e32 v4, v15, v2, vcc
	v_cndmask_b32_e64 v2, 0, 1, vcc
	v_lshrrev_b64 v[2:3], v2, v[28:29]
; %bb.8642:                             ;   in Loop: Header=BB2_8591 Depth=3
	s_andn2_saveexec_b64 s[40:41], s[40:41]
; %bb.8643:                             ;   in Loop: Header=BB2_8591 Depth=3
	v_mov_b32_e32 v2, v28
	v_mov_b32_e32 v3, v29
	v_bfe_u32 v4, v28, 23, 1
; %bb.8644:                             ;   in Loop: Header=BB2_8591 Depth=3
	s_or_b64 exec, exec, s[40:41]
	v_lshrrev_b64 v[2:3], 21, v[2:3]
	v_cmp_gt_i32_e32 vcc, 32, v4
	v_cndmask_b32_e32 v3, 0, v3, vcc
	v_cndmask_b32_e32 v2, 3, v2, vcc
	v_cmp_eq_u64_e64 s[40:41], 0, v[2:3]
	v_min_i32_e32 v3, 31, v4
	v_lshlrev_b32_e32 v3, 2, v3
	v_cmp_eq_u32_e32 vcc, 0, v4
	v_and_b32_e32 v3, 0xfc, v3
	v_and_or_b32 v2, v2, 3, v3
	s_and_b64 s[40:41], vcc, s[40:41]
	v_cndmask_b32_e64 v2, v2, 0, s[40:41]
	v_or_b32_e32 v51, v2, v5
.LBB2_8645:                             ;   in Loop: Header=BB2_8591 Depth=3
	s_or_b64 exec, exec, s[48:49]
                                        ; implicit-def: $vgpr5
.LBB2_8646:                             ;   in Loop: Header=BB2_8591 Depth=3
	s_andn2_saveexec_b64 s[40:41], s[38:39]
; %bb.8647:                             ;   in Loop: Header=BB2_8591 Depth=3
	v_or_b32_e32 v51, 0x7b, v5
; %bb.8648:                             ;   in Loop: Header=BB2_8591 Depth=3
	s_or_b64 exec, exec, s[40:41]
                                        ; implicit-def: $vgpr2
.LBB2_8649:                             ;   in Loop: Header=BB2_8591 Depth=3
	s_andn2_saveexec_b64 s[40:41], s[42:43]
	s_cbranch_execz .LBB2_8655
; %bb.8650:                             ;   in Loop: Header=BB2_8591 Depth=3
	v_cmp_ne_u64_e32 vcc, 0, v[28:29]
                                        ; implicit-def: $vgpr51
	s_and_saveexec_b64 s[42:43], vcc
	s_xor_b64 s[42:43], exec, s[42:43]
; %bb.8651:                             ;   in Loop: Header=BB2_8591 Depth=3
	v_or_b32_sdwa v51, v2, s47 dst_sel:DWORD dst_unused:UNUSED_PAD src0_sel:BYTE_3 src1_sel:DWORD
                                        ; implicit-def: $vgpr2
; %bb.8652:                             ;   in Loop: Header=BB2_8591 Depth=3
	s_andn2_saveexec_b64 s[42:43], s[42:43]
; %bb.8653:                             ;   in Loop: Header=BB2_8591 Depth=3
	v_cmp_lt_i32_e32 vcc, -1, v2
	v_cndmask_b32_e32 v51, v6, v22, vcc
; %bb.8654:                             ;   in Loop: Header=BB2_8591 Depth=3
	s_or_b64 exec, exec, s[42:43]
.LBB2_8655:                             ;   in Loop: Header=BB2_8591 Depth=3
	s_or_b64 exec, exec, s[40:41]
	v_lshrrev_b32_e32 v2, 16, v8
	v_cmp_ne_u16_sdwa s[42:43], v2, v29 src0_sel:BYTE_0 src1_sel:DWORD
	v_mov_b32_e32 v3, 0
	s_and_saveexec_b64 s[40:41], s[42:43]
	s_cbranch_execz .LBB2_8663
; %bb.8656:                             ;   in Loop: Header=BB2_8591 Depth=3
	v_cmp_ne_u16_sdwa vcc, v2, s96 src0_sel:BYTE_0 src1_sel:DWORD
	v_bfrev_b32_e32 v3, 1
	s_and_saveexec_b64 s[42:43], vcc
	s_cbranch_execz .LBB2_8662
; %bb.8657:                             ;   in Loop: Header=BB2_8591 Depth=3
	v_and_b32_e32 v3, 0x7c0000, v8
	v_bfe_u32 v4, v8, 16, 2
	v_cmp_ne_u32_e32 vcc, s44, v3
                                        ; implicit-def: $vgpr3
	s_and_saveexec_b64 s[38:39], vcc
	s_xor_b64 s[38:39], exec, s[38:39]
	s_cbranch_execz .LBB2_8659
; %bb.8658:                             ;   in Loop: Header=BB2_8591 Depth=3
	v_ffbh_u32_e32 v3, v4
	v_min_u32_e32 v15, 32, v3
	v_subrev_u32_e32 v3, 29, v15
	v_lshlrev_b64 v[2:3], v3, v[2:3]
	v_bfe_u32 v5, v8, 18, 5
	v_and_b32_e32 v2, 3, v2
	v_cmp_eq_u32_e32 vcc, 0, v5
	v_sub_u32_e32 v3, 30, v15
	v_cndmask_b32_e32 v2, v4, v2, vcc
	v_lshlrev_b32_e32 v4, 8, v8
	v_cndmask_b32_e32 v3, v5, v3, vcc
	v_and_b32_e32 v4, 0x80000000, v4
	v_lshl_add_u32 v3, v3, 23, v4
	v_lshl_or_b32 v2, v2, 21, v3
	v_add_u32_e32 v3, 0x38000000, v2
                                        ; implicit-def: $vgpr4
                                        ; implicit-def: $vgpr2
.LBB2_8659:                             ;   in Loop: Header=BB2_8591 Depth=3
	s_andn2_saveexec_b64 s[38:39], s[38:39]
; %bb.8660:                             ;   in Loop: Header=BB2_8591 Depth=3
	v_cmp_gt_i16_sdwa vcc, sext(v2), v48 src0_sel:BYTE_0 src1_sel:DWORD
	v_cndmask_b32_e32 v2, v7, v0, vcc
	v_cmp_eq_u32_e32 vcc, 0, v4
	v_cndmask_b32_e32 v3, v35, v2, vcc
; %bb.8661:                             ;   in Loop: Header=BB2_8591 Depth=3
	s_or_b64 exec, exec, s[38:39]
.LBB2_8662:                             ;   in Loop: Header=BB2_8591 Depth=3
	s_or_b64 exec, exec, s[42:43]
.LBB2_8663:                             ;   in Loop: Header=BB2_8591 Depth=3
	s_or_b64 exec, exec, s[40:41]
	v_mul_f32_e32 v2, v23, v3
	v_and_b32_e32 v3, 0x7f800000, v2
	v_mov_b32_e32 v4, v29
	v_cmp_ne_u64_e32 vcc, s[76:77], v[3:4]
	v_and_b32_e32 v28, 0x7fffff, v2
                                        ; implicit-def: $vgpr54
	s_and_saveexec_b64 s[40:41], vcc
	s_xor_b64 s[42:43], exec, s[40:41]
	s_cbranch_execz .LBB2_8677
; %bb.8664:                             ;   in Loop: Header=BB2_8591 Depth=3
	v_and_b32_e32 v3, 0x7fffffff, v2
	v_mov_b32_e32 v4, v29
	v_cmp_gt_u64_e32 vcc, s[78:79], v[3:4]
	v_and_b32_sdwa v5, v2, s96 dst_sel:DWORD dst_unused:UNUSED_PAD src0_sel:BYTE_3 src1_sel:DWORD
                                        ; implicit-def: $vgpr54
	s_and_saveexec_b64 s[40:41], vcc
	s_xor_b64 s[38:39], exec, s[40:41]
	s_cbranch_execz .LBB2_8674
; %bb.8665:                             ;   in Loop: Header=BB2_8591 Depth=3
	v_mov_b32_e32 v54, 0
	v_cmp_ne_u32_e32 vcc, 0, v2
	s_and_saveexec_b64 s[48:49], vcc
	s_cbranch_execz .LBB2_8673
; %bb.8666:                             ;   in Loop: Header=BB2_8591 Depth=3
	v_bfe_u32 v15, v2, 23, 8
	v_cmp_gt_u32_e64 s[40:41], s46, v15
	v_sub_u32_e32 v2, 0x71, v15
	v_cmp_eq_u32_e32 vcc, 0, v15
	v_cndmask_b32_e64 v2, 0, v2, s[40:41]
	v_mov_b32_e32 v4, 0x70
	v_cndmask_b32_e32 v17, v2, v4, vcc
	v_add_u32_e32 v4, 21, v17
	v_or_b32_e32 v3, 0x800000, v28
	v_lshlrev_b64 v[37:38], v4, -1
	v_cndmask_b32_e32 v2, v3, v28, vcc
	v_mov_b32_e32 v3, v29
	v_add_u32_e32 v4, 20, v17
	v_bfi_b32 v37, v37, 0, v2
	v_lshlrev_b64 v[52:53], v4, 1
	v_lshrrev_b64 v[2:3], v17, v[2:3]
	v_bfi_b32 v38, v38, 0, 0
	v_cmp_eq_u64_e64 s[40:41], v[37:38], v[52:53]
	v_mov_b32_e32 v4, v3
	v_mov_b32_e32 v3, v2
	s_and_saveexec_b64 s[50:51], s[40:41]
; %bb.8667:                             ;   in Loop: Header=BB2_8591 Depth=3
	v_bfe_u32 v3, v2, 21, 1
	v_add_co_u32_e64 v3, s[40:41], v2, v3
	v_add_co_u32_e64 v3, s[40:41], -1, v3
; %bb.8668:                             ;   in Loop: Header=BB2_8591 Depth=3
	s_or_b64 exec, exec, s[50:51]
	v_add_u32_e32 v4, 0xffffff81, v15
	v_cndmask_b32_e32 v4, v4, v1, vcc
	v_lshrrev_b32_e32 v15, 23, v2
	v_add3_u32 v17, v17, v4, v15
	v_add_u32_e32 v15, 14, v17
	v_and_b32_e32 v3, 0x1fffff, v3
	v_add_u32_e32 v28, v3, v2
	v_cmp_ne_u32_e32 vcc, 0, v15
                                        ; implicit-def: $vgpr2_vgpr3
                                        ; implicit-def: $vgpr4
	s_and_saveexec_b64 s[40:41], vcc
	s_xor_b64 s[40:41], exec, s[40:41]
; %bb.8669:                             ;   in Loop: Header=BB2_8591 Depth=3
	v_cmp_lt_u64_e32 vcc, s[88:89], v[28:29]
	v_add_u32_e32 v2, 15, v17
	v_cndmask_b32_e32 v4, v15, v2, vcc
	v_cndmask_b32_e64 v2, 0, 1, vcc
	v_lshrrev_b64 v[2:3], v2, v[28:29]
; %bb.8670:                             ;   in Loop: Header=BB2_8591 Depth=3
	s_andn2_saveexec_b64 s[40:41], s[40:41]
; %bb.8671:                             ;   in Loop: Header=BB2_8591 Depth=3
	v_mov_b32_e32 v2, v28
	v_mov_b32_e32 v3, v29
	v_bfe_u32 v4, v28, 23, 1
; %bb.8672:                             ;   in Loop: Header=BB2_8591 Depth=3
	s_or_b64 exec, exec, s[40:41]
	v_lshrrev_b64 v[2:3], 21, v[2:3]
	v_cmp_gt_i32_e32 vcc, 32, v4
	v_cndmask_b32_e32 v3, 0, v3, vcc
	v_cndmask_b32_e32 v2, 3, v2, vcc
	v_cmp_eq_u64_e64 s[40:41], 0, v[2:3]
	v_min_i32_e32 v3, 31, v4
	v_lshlrev_b32_e32 v3, 2, v3
	v_cmp_eq_u32_e32 vcc, 0, v4
	v_and_b32_e32 v3, 0xfc, v3
	v_and_or_b32 v2, v2, 3, v3
	s_and_b64 s[40:41], vcc, s[40:41]
	v_cndmask_b32_e64 v2, v2, 0, s[40:41]
	v_or_b32_e32 v54, v2, v5
.LBB2_8673:                             ;   in Loop: Header=BB2_8591 Depth=3
	s_or_b64 exec, exec, s[48:49]
                                        ; implicit-def: $vgpr5
.LBB2_8674:                             ;   in Loop: Header=BB2_8591 Depth=3
	s_andn2_saveexec_b64 s[40:41], s[38:39]
; %bb.8675:                             ;   in Loop: Header=BB2_8591 Depth=3
	v_or_b32_e32 v54, 0x7b, v5
; %bb.8676:                             ;   in Loop: Header=BB2_8591 Depth=3
	s_or_b64 exec, exec, s[40:41]
                                        ; implicit-def: $vgpr2
.LBB2_8677:                             ;   in Loop: Header=BB2_8591 Depth=3
	s_andn2_saveexec_b64 s[40:41], s[42:43]
	s_cbranch_execz .LBB2_8683
; %bb.8678:                             ;   in Loop: Header=BB2_8591 Depth=3
	v_cmp_ne_u64_e32 vcc, 0, v[28:29]
                                        ; implicit-def: $vgpr54
	s_and_saveexec_b64 s[42:43], vcc
	s_xor_b64 s[42:43], exec, s[42:43]
; %bb.8679:                             ;   in Loop: Header=BB2_8591 Depth=3
	v_or_b32_sdwa v54, v2, s47 dst_sel:DWORD dst_unused:UNUSED_PAD src0_sel:BYTE_3 src1_sel:DWORD
                                        ; implicit-def: $vgpr2
; %bb.8680:                             ;   in Loop: Header=BB2_8591 Depth=3
	s_andn2_saveexec_b64 s[42:43], s[42:43]
; %bb.8681:                             ;   in Loop: Header=BB2_8591 Depth=3
	v_cmp_lt_i32_e32 vcc, -1, v2
	v_cndmask_b32_e32 v54, v6, v22, vcc
; %bb.8682:                             ;   in Loop: Header=BB2_8591 Depth=3
	s_or_b64 exec, exec, s[42:43]
.LBB2_8683:                             ;   in Loop: Header=BB2_8591 Depth=3
	s_or_b64 exec, exec, s[40:41]
	v_cmp_lt_u32_e32 vcc, s57, v8
	v_mov_b32_e32 v3, 0
	s_and_saveexec_b64 s[40:41], vcc
	s_cbranch_execz .LBB2_8691
; %bb.8684:                             ;   in Loop: Header=BB2_8591 Depth=3
	v_lshrrev_b32_e32 v2, 24, v8
	v_cmp_ne_u32_e32 vcc, s96, v2
	v_bfrev_b32_e32 v3, 1
	s_and_saveexec_b64 s[42:43], vcc
	s_cbranch_execz .LBB2_8690
; %bb.8685:                             ;   in Loop: Header=BB2_8591 Depth=3
	v_and_b32_e32 v3, 0x7c000000, v8
	v_bfe_u32 v4, v8, 24, 2
	v_cmp_ne_u32_e32 vcc, s45, v3
                                        ; implicit-def: $vgpr3
	s_and_saveexec_b64 s[38:39], vcc
	s_xor_b64 s[38:39], exec, s[38:39]
	s_cbranch_execz .LBB2_8687
; %bb.8686:                             ;   in Loop: Header=BB2_8591 Depth=3
	v_ffbh_u32_e32 v3, v4
	v_min_u32_e32 v15, 32, v3
	v_subrev_u32_e32 v3, 29, v15
	v_lshlrev_b64 v[2:3], v3, v[2:3]
	v_bfe_u32 v5, v8, 26, 5
	v_sub_u32_e32 v3, 30, v15
	v_and_b32_e32 v2, 3, v2
	v_cmp_eq_u32_e32 vcc, 0, v5
	v_cndmask_b32_e32 v3, v5, v3, vcc
	v_cndmask_b32_e32 v2, v4, v2, vcc
	v_and_b32_e32 v4, 0x80000000, v8
	v_lshl_add_u32 v3, v3, 23, v4
	v_lshl_or_b32 v2, v2, 21, v3
	v_add_u32_e32 v3, 0x38000000, v2
                                        ; implicit-def: $vgpr4
.LBB2_8687:                             ;   in Loop: Header=BB2_8591 Depth=3
	s_andn2_saveexec_b64 s[38:39], s[38:39]
; %bb.8688:                             ;   in Loop: Header=BB2_8591 Depth=3
	v_cmp_lt_i32_e32 vcc, -1, v8
	v_cndmask_b32_e32 v2, v7, v0, vcc
	v_cmp_eq_u32_e32 vcc, 0, v4
	v_cndmask_b32_e32 v3, v35, v2, vcc
; %bb.8689:                             ;   in Loop: Header=BB2_8591 Depth=3
	s_or_b64 exec, exec, s[38:39]
.LBB2_8690:                             ;   in Loop: Header=BB2_8591 Depth=3
	s_or_b64 exec, exec, s[42:43]
.LBB2_8691:                             ;   in Loop: Header=BB2_8591 Depth=3
	s_or_b64 exec, exec, s[40:41]
	v_mul_f32_e32 v2, v23, v3
	v_and_b32_e32 v3, 0x7f800000, v2
	v_mov_b32_e32 v4, v29
	v_cmp_ne_u64_e32 vcc, s[76:77], v[3:4]
	v_and_b32_e32 v28, 0x7fffff, v2
                                        ; implicit-def: $vgpr57
	s_and_saveexec_b64 s[40:41], vcc
	s_xor_b64 s[42:43], exec, s[40:41]
	s_cbranch_execz .LBB2_8705
; %bb.8692:                             ;   in Loop: Header=BB2_8591 Depth=3
	v_and_b32_e32 v3, 0x7fffffff, v2
	v_mov_b32_e32 v4, v29
	v_cmp_gt_u64_e32 vcc, s[78:79], v[3:4]
	v_and_b32_sdwa v5, v2, s96 dst_sel:DWORD dst_unused:UNUSED_PAD src0_sel:BYTE_3 src1_sel:DWORD
                                        ; implicit-def: $vgpr57
	s_and_saveexec_b64 s[40:41], vcc
	s_xor_b64 s[38:39], exec, s[40:41]
	s_cbranch_execz .LBB2_8702
; %bb.8693:                             ;   in Loop: Header=BB2_8591 Depth=3
	v_mov_b32_e32 v57, 0
	v_cmp_ne_u32_e32 vcc, 0, v2
	s_and_saveexec_b64 s[48:49], vcc
	s_cbranch_execz .LBB2_8701
; %bb.8694:                             ;   in Loop: Header=BB2_8591 Depth=3
	v_bfe_u32 v15, v2, 23, 8
	v_cmp_gt_u32_e64 s[40:41], s46, v15
	v_sub_u32_e32 v2, 0x71, v15
	v_cmp_eq_u32_e32 vcc, 0, v15
	v_cndmask_b32_e64 v2, 0, v2, s[40:41]
	v_mov_b32_e32 v4, 0x70
	v_cndmask_b32_e32 v17, v2, v4, vcc
	v_add_u32_e32 v4, 21, v17
	v_or_b32_e32 v3, 0x800000, v28
	v_lshlrev_b64 v[37:38], v4, -1
	v_cndmask_b32_e32 v2, v3, v28, vcc
	v_mov_b32_e32 v3, v29
	v_add_u32_e32 v4, 20, v17
	v_bfi_b32 v37, v37, 0, v2
	v_lshlrev_b64 v[52:53], v4, 1
	v_lshrrev_b64 v[2:3], v17, v[2:3]
	v_bfi_b32 v38, v38, 0, 0
	v_cmp_eq_u64_e64 s[40:41], v[37:38], v[52:53]
	v_mov_b32_e32 v4, v3
	v_mov_b32_e32 v3, v2
	s_and_saveexec_b64 s[50:51], s[40:41]
; %bb.8695:                             ;   in Loop: Header=BB2_8591 Depth=3
	v_bfe_u32 v3, v2, 21, 1
	v_add_co_u32_e64 v3, s[40:41], v2, v3
	v_add_co_u32_e64 v3, s[40:41], -1, v3
; %bb.8696:                             ;   in Loop: Header=BB2_8591 Depth=3
	s_or_b64 exec, exec, s[50:51]
	v_add_u32_e32 v4, 0xffffff81, v15
	v_cndmask_b32_e32 v4, v4, v1, vcc
	v_lshrrev_b32_e32 v15, 23, v2
	v_add3_u32 v17, v17, v4, v15
	v_add_u32_e32 v15, 14, v17
	v_and_b32_e32 v3, 0x1fffff, v3
	v_add_u32_e32 v28, v3, v2
	v_cmp_ne_u32_e32 vcc, 0, v15
                                        ; implicit-def: $vgpr2_vgpr3
                                        ; implicit-def: $vgpr4
	s_and_saveexec_b64 s[40:41], vcc
	s_xor_b64 s[40:41], exec, s[40:41]
; %bb.8697:                             ;   in Loop: Header=BB2_8591 Depth=3
	v_cmp_lt_u64_e32 vcc, s[88:89], v[28:29]
	v_add_u32_e32 v2, 15, v17
	v_cndmask_b32_e32 v4, v15, v2, vcc
	v_cndmask_b32_e64 v2, 0, 1, vcc
	v_lshrrev_b64 v[2:3], v2, v[28:29]
; %bb.8698:                             ;   in Loop: Header=BB2_8591 Depth=3
	s_andn2_saveexec_b64 s[40:41], s[40:41]
; %bb.8699:                             ;   in Loop: Header=BB2_8591 Depth=3
	v_mov_b32_e32 v2, v28
	v_mov_b32_e32 v3, v29
	v_bfe_u32 v4, v28, 23, 1
; %bb.8700:                             ;   in Loop: Header=BB2_8591 Depth=3
	s_or_b64 exec, exec, s[40:41]
	v_lshrrev_b64 v[2:3], 21, v[2:3]
	v_cmp_gt_i32_e32 vcc, 32, v4
	v_cndmask_b32_e32 v3, 0, v3, vcc
	v_cndmask_b32_e32 v2, 3, v2, vcc
	v_cmp_eq_u64_e64 s[40:41], 0, v[2:3]
	v_min_i32_e32 v3, 31, v4
	v_lshlrev_b32_e32 v3, 2, v3
	v_cmp_eq_u32_e32 vcc, 0, v4
	v_and_b32_e32 v3, 0xfc, v3
	v_and_or_b32 v2, v2, 3, v3
	s_and_b64 s[40:41], vcc, s[40:41]
	v_cndmask_b32_e64 v2, v2, 0, s[40:41]
	v_or_b32_e32 v57, v2, v5
.LBB2_8701:                             ;   in Loop: Header=BB2_8591 Depth=3
	s_or_b64 exec, exec, s[48:49]
                                        ; implicit-def: $vgpr5
.LBB2_8702:                             ;   in Loop: Header=BB2_8591 Depth=3
	s_andn2_saveexec_b64 s[40:41], s[38:39]
; %bb.8703:                             ;   in Loop: Header=BB2_8591 Depth=3
	v_or_b32_e32 v57, 0x7b, v5
; %bb.8704:                             ;   in Loop: Header=BB2_8591 Depth=3
	s_or_b64 exec, exec, s[40:41]
                                        ; implicit-def: $vgpr2
.LBB2_8705:                             ;   in Loop: Header=BB2_8591 Depth=3
	s_andn2_saveexec_b64 s[40:41], s[42:43]
	s_cbranch_execz .LBB2_8711
; %bb.8706:                             ;   in Loop: Header=BB2_8591 Depth=3
	v_cmp_ne_u64_e32 vcc, 0, v[28:29]
                                        ; implicit-def: $vgpr57
	s_and_saveexec_b64 s[42:43], vcc
	s_xor_b64 s[42:43], exec, s[42:43]
; %bb.8707:                             ;   in Loop: Header=BB2_8591 Depth=3
	v_or_b32_sdwa v57, v2, s47 dst_sel:DWORD dst_unused:UNUSED_PAD src0_sel:BYTE_3 src1_sel:DWORD
                                        ; implicit-def: $vgpr2
; %bb.8708:                             ;   in Loop: Header=BB2_8591 Depth=3
	s_andn2_saveexec_b64 s[42:43], s[42:43]
; %bb.8709:                             ;   in Loop: Header=BB2_8591 Depth=3
	v_cmp_lt_i32_e32 vcc, -1, v2
	v_cndmask_b32_e32 v57, v6, v22, vcc
; %bb.8710:                             ;   in Loop: Header=BB2_8591 Depth=3
	s_or_b64 exec, exec, s[42:43]
.LBB2_8711:                             ;   in Loop: Header=BB2_8591 Depth=3
	s_or_b64 exec, exec, s[40:41]
	v_mov_b32_e32 v28, v9
	v_cmp_ne_u16_sdwa s[42:43], v9, v29 src0_sel:BYTE_0 src1_sel:DWORD
	v_mov_b32_e32 v2, 0
	s_and_saveexec_b64 s[40:41], s[42:43]
	s_cbranch_execz .LBB2_8719
; %bb.8712:                             ;   in Loop: Header=BB2_8591 Depth=3
	v_cmp_ne_u16_sdwa vcc, v9, s96 src0_sel:BYTE_0 src1_sel:DWORD
	v_bfrev_b32_e32 v2, 1
	s_and_saveexec_b64 s[42:43], vcc
	s_cbranch_execz .LBB2_8718
; %bb.8713:                             ;   in Loop: Header=BB2_8591 Depth=3
	v_and_b32_e32 v2, 0x7c, v9
	v_and_b32_e32 v3, 3, v9
	v_cmp_ne_u32_e32 vcc, s85, v2
                                        ; implicit-def: $vgpr2
	s_and_saveexec_b64 s[38:39], vcc
	s_xor_b64 s[38:39], exec, s[38:39]
	s_cbranch_execz .LBB2_8715
; %bb.8714:                             ;   in Loop: Header=BB2_8591 Depth=3
	v_ffbh_u32_e32 v4, v3
	v_min_u32_e32 v15, 32, v4
	v_subrev_u32_e32 v4, 29, v15
	v_lshlrev_b64 v[4:5], v4, v[28:29]
	v_bfe_u32 v2, v9, 2, 5
	v_and_b32_e32 v4, 3, v4
	v_cmp_eq_u32_e32 vcc, 0, v2
	v_sub_u32_e32 v5, 30, v15
	v_cndmask_b32_e32 v3, v3, v4, vcc
	v_lshlrev_b32_e32 v4, 24, v9
	v_cndmask_b32_e32 v2, v2, v5, vcc
	v_and_b32_e32 v4, 0x80000000, v4
	v_lshl_add_u32 v2, v2, 23, v4
	v_lshl_or_b32 v2, v3, 21, v2
	v_add_u32_e32 v2, 0x38000000, v2
                                        ; implicit-def: $vgpr3
.LBB2_8715:                             ;   in Loop: Header=BB2_8591 Depth=3
	s_andn2_saveexec_b64 s[38:39], s[38:39]
; %bb.8716:                             ;   in Loop: Header=BB2_8591 Depth=3
	v_cmp_gt_i16_sdwa vcc, sext(v9), v48 src0_sel:BYTE_0 src1_sel:DWORD
	v_cndmask_b32_e32 v2, v7, v0, vcc
	v_cmp_eq_u32_e32 vcc, 0, v3
	v_cndmask_b32_e32 v2, v35, v2, vcc
; %bb.8717:                             ;   in Loop: Header=BB2_8591 Depth=3
	s_or_b64 exec, exec, s[38:39]
.LBB2_8718:                             ;   in Loop: Header=BB2_8591 Depth=3
	s_or_b64 exec, exec, s[42:43]
.LBB2_8719:                             ;   in Loop: Header=BB2_8591 Depth=3
	s_or_b64 exec, exec, s[40:41]
	v_mul_f32_e32 v4, v23, v2
	v_and_b32_e32 v15, 0x7f800000, v4
	v_mov_b32_e32 v16, v29
	v_cmp_ne_u64_e32 vcc, s[76:77], v[15:16]
	v_and_b32_e32 v2, 0x7fffff, v4
	v_mov_b32_e32 v3, v29
                                        ; implicit-def: $vgpr5
	s_and_saveexec_b64 s[40:41], vcc
	s_xor_b64 s[42:43], exec, s[40:41]
	s_cbranch_execz .LBB2_8733
; %bb.8720:                             ;   in Loop: Header=BB2_8591 Depth=3
	v_and_b32_e32 v15, 0x7fffffff, v4
	v_mov_b32_e32 v16, v29
	v_cmp_gt_u64_e32 vcc, s[78:79], v[15:16]
	v_and_b32_sdwa v15, v4, s96 dst_sel:DWORD dst_unused:UNUSED_PAD src0_sel:BYTE_3 src1_sel:DWORD
                                        ; implicit-def: $vgpr5
	s_and_saveexec_b64 s[40:41], vcc
	s_xor_b64 s[38:39], exec, s[40:41]
	s_cbranch_execz .LBB2_8730
; %bb.8721:                             ;   in Loop: Header=BB2_8591 Depth=3
	v_mov_b32_e32 v5, 0
	v_cmp_ne_u32_e32 vcc, 0, v4
	s_and_saveexec_b64 s[48:49], vcc
	s_cbranch_execz .LBB2_8729
; %bb.8722:                             ;   in Loop: Header=BB2_8591 Depth=3
	v_bfe_u32 v5, v4, 23, 8
	v_cmp_gt_u32_e64 s[40:41], s46, v5
	v_sub_u32_e32 v4, 0x71, v5
	v_cmp_eq_u32_e32 vcc, 0, v5
	v_cndmask_b32_e64 v4, 0, v4, s[40:41]
	v_mov_b32_e32 v17, 0x70
	v_cndmask_b32_e32 v17, v4, v17, vcc
	v_add_u32_e32 v4, 21, v17
	v_or_b32_e32 v16, 0x800000, v2
	v_lshlrev_b64 v[37:38], v4, -1
	v_cndmask_b32_e32 v2, v16, v2, vcc
	v_add_u32_e32 v4, 20, v17
	v_bfi_b32 v37, v37, 0, v2
	v_lshlrev_b64 v[52:53], v4, 1
	v_lshrrev_b64 v[2:3], v17, v[2:3]
	v_bfi_b32 v38, v38, 0, 0
	v_cmp_eq_u64_e64 s[40:41], v[37:38], v[52:53]
	v_mov_b32_e32 v4, v3
	v_mov_b32_e32 v3, v2
	s_and_saveexec_b64 s[50:51], s[40:41]
; %bb.8723:                             ;   in Loop: Header=BB2_8591 Depth=3
	v_bfe_u32 v3, v2, 21, 1
	v_add_co_u32_e64 v3, s[40:41], v2, v3
	v_add_co_u32_e64 v3, s[40:41], -1, v3
; %bb.8724:                             ;   in Loop: Header=BB2_8591 Depth=3
	s_or_b64 exec, exec, s[50:51]
	v_add_u32_e32 v4, 0xffffff81, v5
	v_cndmask_b32_e32 v4, v4, v1, vcc
	v_lshrrev_b32_e32 v5, 23, v2
	v_add3_u32 v17, v17, v4, v5
	v_add_u32_e32 v5, 14, v17
	v_and_b32_e32 v3, 0x1fffff, v3
	v_add_u32_e32 v2, v3, v2
	v_mov_b32_e32 v3, v29
	v_cmp_ne_u32_e32 vcc, 0, v5
                                        ; implicit-def: $vgpr4
	s_and_saveexec_b64 s[40:41], vcc
	s_xor_b64 s[40:41], exec, s[40:41]
; %bb.8725:                             ;   in Loop: Header=BB2_8591 Depth=3
	v_cmp_lt_u64_e32 vcc, s[88:89], v[2:3]
	v_add_u32_e32 v4, 15, v17
	v_cndmask_b32_e32 v4, v5, v4, vcc
	v_cndmask_b32_e64 v5, 0, 1, vcc
	v_lshrrev_b64 v[2:3], v5, v[2:3]
; %bb.8726:                             ;   in Loop: Header=BB2_8591 Depth=3
	s_andn2_saveexec_b64 s[40:41], s[40:41]
; %bb.8727:                             ;   in Loop: Header=BB2_8591 Depth=3
	v_bfe_u32 v4, v2, 23, 1
; %bb.8728:                             ;   in Loop: Header=BB2_8591 Depth=3
	s_or_b64 exec, exec, s[40:41]
	v_lshrrev_b64 v[2:3], 21, v[2:3]
	v_cmp_gt_i32_e32 vcc, 32, v4
	v_cndmask_b32_e32 v3, 0, v3, vcc
	v_cndmask_b32_e32 v2, 3, v2, vcc
	v_cmp_eq_u64_e64 s[40:41], 0, v[2:3]
	v_min_i32_e32 v3, 31, v4
	v_lshlrev_b32_e32 v3, 2, v3
	v_cmp_eq_u32_e32 vcc, 0, v4
	v_and_b32_e32 v3, 0xfc, v3
	v_and_or_b32 v2, v2, 3, v3
	s_and_b64 s[40:41], vcc, s[40:41]
	v_cndmask_b32_e64 v2, v2, 0, s[40:41]
	v_or_b32_e32 v5, v2, v15
.LBB2_8729:                             ;   in Loop: Header=BB2_8591 Depth=3
	s_or_b64 exec, exec, s[48:49]
                                        ; implicit-def: $vgpr15
.LBB2_8730:                             ;   in Loop: Header=BB2_8591 Depth=3
	s_andn2_saveexec_b64 s[40:41], s[38:39]
; %bb.8731:                             ;   in Loop: Header=BB2_8591 Depth=3
	v_or_b32_e32 v5, 0x7b, v15
; %bb.8732:                             ;   in Loop: Header=BB2_8591 Depth=3
	s_or_b64 exec, exec, s[40:41]
                                        ; implicit-def: $vgpr4
                                        ; implicit-def: $vgpr2_vgpr3
.LBB2_8733:                             ;   in Loop: Header=BB2_8591 Depth=3
	s_andn2_saveexec_b64 s[40:41], s[42:43]
	s_cbranch_execz .LBB2_8739
; %bb.8734:                             ;   in Loop: Header=BB2_8591 Depth=3
	v_cmp_ne_u64_e32 vcc, 0, v[2:3]
                                        ; implicit-def: $vgpr5
	s_and_saveexec_b64 s[42:43], vcc
	s_xor_b64 s[42:43], exec, s[42:43]
; %bb.8735:                             ;   in Loop: Header=BB2_8591 Depth=3
	v_or_b32_sdwa v5, v4, s47 dst_sel:DWORD dst_unused:UNUSED_PAD src0_sel:BYTE_3 src1_sel:DWORD
                                        ; implicit-def: $vgpr4
; %bb.8736:                             ;   in Loop: Header=BB2_8591 Depth=3
	s_andn2_saveexec_b64 s[42:43], s[42:43]
; %bb.8737:                             ;   in Loop: Header=BB2_8591 Depth=3
	v_cmp_lt_i32_e32 vcc, -1, v4
	v_cndmask_b32_e32 v5, v6, v22, vcc
; %bb.8738:                             ;   in Loop: Header=BB2_8591 Depth=3
	s_or_b64 exec, exec, s[42:43]
.LBB2_8739:                             ;   in Loop: Header=BB2_8591 Depth=3
	s_or_b64 exec, exec, s[40:41]
	v_lshrrev_b16_e32 v2, 8, v28
	v_cmp_ne_u16_e32 vcc, 0, v2
	v_mov_b32_e32 v3, 0
	s_and_saveexec_b64 s[40:41], vcc
	s_cbranch_execz .LBB2_8747
; %bb.8740:                             ;   in Loop: Header=BB2_8591 Depth=3
	v_cmp_ne_u16_e32 vcc, s96, v2
	v_bfrev_b32_e32 v3, 1
	s_and_saveexec_b64 s[42:43], vcc
	s_cbranch_execz .LBB2_8746
; %bb.8741:                             ;   in Loop: Header=BB2_8591 Depth=3
	v_and_b32_e32 v3, 0x7c, v2
	v_and_b32_e32 v4, 3, v2
	v_cmp_ne_u32_e32 vcc, s85, v3
                                        ; implicit-def: $vgpr3
	s_and_saveexec_b64 s[38:39], vcc
	s_xor_b64 s[38:39], exec, s[38:39]
	s_cbranch_execz .LBB2_8743
; %bb.8742:                             ;   in Loop: Header=BB2_8591 Depth=3
	v_ffbh_u32_e32 v16, v4
	v_min_u32_e32 v16, 32, v16
	v_mov_b32_e32 v3, v29
	v_subrev_u32_e32 v17, 29, v16
	v_bfe_u32 v15, v2, 2, 5
	v_lshlrev_b64 v[2:3], v17, v[2:3]
	v_cmp_eq_u32_e32 vcc, 0, v15
	v_and_b32_e32 v2, 3, v2
	v_sub_u32_e32 v3, 30, v16
	v_cndmask_b32_e32 v2, v4, v2, vcc
	v_lshlrev_b32_e32 v4, 16, v28
	v_cndmask_b32_e32 v3, v15, v3, vcc
	v_and_b32_e32 v4, 0x80000000, v4
	v_lshl_add_u32 v3, v3, 23, v4
	v_lshl_or_b32 v2, v2, 21, v3
	v_add_u32_e32 v3, 0x38000000, v2
                                        ; implicit-def: $vgpr4
.LBB2_8743:                             ;   in Loop: Header=BB2_8591 Depth=3
	s_andn2_saveexec_b64 s[38:39], s[38:39]
; %bb.8744:                             ;   in Loop: Header=BB2_8591 Depth=3
	v_cmp_lt_i16_e32 vcc, -1, v28
	v_cndmask_b32_e32 v2, v7, v0, vcc
	v_cmp_eq_u32_e32 vcc, 0, v4
	v_cndmask_b32_e32 v3, v35, v2, vcc
; %bb.8745:                             ;   in Loop: Header=BB2_8591 Depth=3
	s_or_b64 exec, exec, s[38:39]
.LBB2_8746:                             ;   in Loop: Header=BB2_8591 Depth=3
	s_or_b64 exec, exec, s[42:43]
.LBB2_8747:                             ;   in Loop: Header=BB2_8591 Depth=3
	s_or_b64 exec, exec, s[40:41]
	v_mul_f32_e32 v2, v23, v3
	v_and_b32_e32 v3, 0x7f800000, v2
	v_mov_b32_e32 v4, v29
	v_cmp_ne_u64_e32 vcc, s[76:77], v[3:4]
	v_and_b32_e32 v28, 0x7fffff, v2
                                        ; implicit-def: $vgpr15
	s_and_saveexec_b64 s[40:41], vcc
	s_xor_b64 s[42:43], exec, s[40:41]
	s_cbranch_execz .LBB2_8761
; %bb.8748:                             ;   in Loop: Header=BB2_8591 Depth=3
	v_and_b32_e32 v3, 0x7fffffff, v2
	v_mov_b32_e32 v4, v29
	v_cmp_gt_u64_e32 vcc, s[78:79], v[3:4]
	v_and_b32_sdwa v17, v2, s96 dst_sel:DWORD dst_unused:UNUSED_PAD src0_sel:BYTE_3 src1_sel:DWORD
                                        ; implicit-def: $vgpr15
	s_and_saveexec_b64 s[40:41], vcc
	s_xor_b64 s[38:39], exec, s[40:41]
	s_cbranch_execz .LBB2_8758
; %bb.8749:                             ;   in Loop: Header=BB2_8591 Depth=3
	v_mov_b32_e32 v15, 0
	v_cmp_ne_u32_e32 vcc, 0, v2
	s_and_saveexec_b64 s[48:49], vcc
	s_cbranch_execz .LBB2_8757
; %bb.8750:                             ;   in Loop: Header=BB2_8591 Depth=3
	v_bfe_u32 v15, v2, 23, 8
	v_cmp_gt_u32_e64 s[40:41], s46, v15
	v_sub_u32_e32 v2, 0x71, v15
	v_cmp_eq_u32_e32 vcc, 0, v15
	v_cndmask_b32_e64 v2, 0, v2, s[40:41]
	v_mov_b32_e32 v4, 0x70
	v_cndmask_b32_e32 v37, v2, v4, vcc
	v_add_u32_e32 v4, 21, v37
	v_or_b32_e32 v3, 0x800000, v28
	v_lshlrev_b64 v[38:39], v4, -1
	v_cndmask_b32_e32 v2, v3, v28, vcc
	v_mov_b32_e32 v3, v29
	v_add_u32_e32 v4, 20, v37
	v_bfi_b32 v38, v38, 0, v2
	v_lshlrev_b64 v[52:53], v4, 1
	v_lshrrev_b64 v[2:3], v37, v[2:3]
	v_bfi_b32 v39, v39, 0, 0
	v_cmp_eq_u64_e64 s[40:41], v[38:39], v[52:53]
	v_mov_b32_e32 v4, v3
	v_mov_b32_e32 v3, v2
	s_and_saveexec_b64 s[50:51], s[40:41]
; %bb.8751:                             ;   in Loop: Header=BB2_8591 Depth=3
	v_bfe_u32 v3, v2, 21, 1
	v_add_co_u32_e64 v3, s[40:41], v2, v3
	v_add_co_u32_e64 v3, s[40:41], -1, v3
; %bb.8752:                             ;   in Loop: Header=BB2_8591 Depth=3
	s_or_b64 exec, exec, s[50:51]
	v_add_u32_e32 v4, 0xffffff81, v15
	v_cndmask_b32_e32 v4, v4, v1, vcc
	v_lshrrev_b32_e32 v15, 23, v2
	v_add3_u32 v37, v37, v4, v15
	v_add_u32_e32 v15, 14, v37
	v_and_b32_e32 v3, 0x1fffff, v3
	v_add_u32_e32 v28, v3, v2
	v_cmp_ne_u32_e32 vcc, 0, v15
                                        ; implicit-def: $vgpr2_vgpr3
                                        ; implicit-def: $vgpr4
	s_and_saveexec_b64 s[40:41], vcc
	s_xor_b64 s[40:41], exec, s[40:41]
; %bb.8753:                             ;   in Loop: Header=BB2_8591 Depth=3
	v_cmp_lt_u64_e32 vcc, s[88:89], v[28:29]
	v_add_u32_e32 v2, 15, v37
	v_cndmask_b32_e32 v4, v15, v2, vcc
	v_cndmask_b32_e64 v2, 0, 1, vcc
	v_lshrrev_b64 v[2:3], v2, v[28:29]
; %bb.8754:                             ;   in Loop: Header=BB2_8591 Depth=3
	s_andn2_saveexec_b64 s[40:41], s[40:41]
; %bb.8755:                             ;   in Loop: Header=BB2_8591 Depth=3
	v_mov_b32_e32 v2, v28
	v_mov_b32_e32 v3, v29
	v_bfe_u32 v4, v28, 23, 1
; %bb.8756:                             ;   in Loop: Header=BB2_8591 Depth=3
	s_or_b64 exec, exec, s[40:41]
	v_lshrrev_b64 v[2:3], 21, v[2:3]
	v_cmp_gt_i32_e32 vcc, 32, v4
	v_cndmask_b32_e32 v3, 0, v3, vcc
	v_cndmask_b32_e32 v2, 3, v2, vcc
	v_cmp_eq_u64_e64 s[40:41], 0, v[2:3]
	v_min_i32_e32 v3, 31, v4
	v_lshlrev_b32_e32 v3, 2, v3
	v_cmp_eq_u32_e32 vcc, 0, v4
	v_and_b32_e32 v3, 0xfc, v3
	v_and_or_b32 v2, v2, 3, v3
	s_and_b64 s[40:41], vcc, s[40:41]
	v_cndmask_b32_e64 v2, v2, 0, s[40:41]
	v_or_b32_e32 v15, v2, v17
.LBB2_8757:                             ;   in Loop: Header=BB2_8591 Depth=3
	s_or_b64 exec, exec, s[48:49]
                                        ; implicit-def: $vgpr17
.LBB2_8758:                             ;   in Loop: Header=BB2_8591 Depth=3
	s_andn2_saveexec_b64 s[40:41], s[38:39]
; %bb.8759:                             ;   in Loop: Header=BB2_8591 Depth=3
	v_or_b32_e32 v15, 0x7b, v17
; %bb.8760:                             ;   in Loop: Header=BB2_8591 Depth=3
	s_or_b64 exec, exec, s[40:41]
                                        ; implicit-def: $vgpr2
.LBB2_8761:                             ;   in Loop: Header=BB2_8591 Depth=3
	s_andn2_saveexec_b64 s[40:41], s[42:43]
	s_cbranch_execz .LBB2_8767
; %bb.8762:                             ;   in Loop: Header=BB2_8591 Depth=3
	v_cmp_ne_u64_e32 vcc, 0, v[28:29]
                                        ; implicit-def: $vgpr15
	s_and_saveexec_b64 s[42:43], vcc
	s_xor_b64 s[42:43], exec, s[42:43]
; %bb.8763:                             ;   in Loop: Header=BB2_8591 Depth=3
	v_or_b32_sdwa v15, v2, s47 dst_sel:DWORD dst_unused:UNUSED_PAD src0_sel:BYTE_3 src1_sel:DWORD
                                        ; implicit-def: $vgpr2
; %bb.8764:                             ;   in Loop: Header=BB2_8591 Depth=3
	s_andn2_saveexec_b64 s[42:43], s[42:43]
; %bb.8765:                             ;   in Loop: Header=BB2_8591 Depth=3
	v_cmp_lt_i32_e32 vcc, -1, v2
	v_cndmask_b32_e32 v15, v6, v22, vcc
; %bb.8766:                             ;   in Loop: Header=BB2_8591 Depth=3
	s_or_b64 exec, exec, s[42:43]
.LBB2_8767:                             ;   in Loop: Header=BB2_8591 Depth=3
	s_or_b64 exec, exec, s[40:41]
	v_lshrrev_b32_e32 v2, 16, v9
	v_cmp_ne_u16_sdwa s[42:43], v2, v29 src0_sel:BYTE_0 src1_sel:DWORD
	v_mov_b32_e32 v3, 0
	s_and_saveexec_b64 s[40:41], s[42:43]
	s_cbranch_execz .LBB2_8775
; %bb.8768:                             ;   in Loop: Header=BB2_8591 Depth=3
	v_cmp_ne_u16_sdwa vcc, v2, s96 src0_sel:BYTE_0 src1_sel:DWORD
	v_bfrev_b32_e32 v3, 1
	s_and_saveexec_b64 s[42:43], vcc
	s_cbranch_execz .LBB2_8774
; %bb.8769:                             ;   in Loop: Header=BB2_8591 Depth=3
	v_and_b32_e32 v3, 0x7c0000, v9
	v_bfe_u32 v4, v9, 16, 2
	v_cmp_ne_u32_e32 vcc, s44, v3
                                        ; implicit-def: $vgpr3
	s_and_saveexec_b64 s[38:39], vcc
	s_xor_b64 s[38:39], exec, s[38:39]
	s_cbranch_execz .LBB2_8771
; %bb.8770:                             ;   in Loop: Header=BB2_8591 Depth=3
	v_ffbh_u32_e32 v3, v4
	v_min_u32_e32 v17, 32, v3
	v_subrev_u32_e32 v3, 29, v17
	v_lshlrev_b64 v[2:3], v3, v[2:3]
	v_bfe_u32 v16, v9, 18, 5
	v_and_b32_e32 v2, 3, v2
	v_cmp_eq_u32_e32 vcc, 0, v16
	v_sub_u32_e32 v3, 30, v17
	v_cndmask_b32_e32 v2, v4, v2, vcc
	v_lshlrev_b32_e32 v4, 8, v9
	v_cndmask_b32_e32 v3, v16, v3, vcc
	v_and_b32_e32 v4, 0x80000000, v4
	v_lshl_add_u32 v3, v3, 23, v4
	v_lshl_or_b32 v2, v2, 21, v3
	v_add_u32_e32 v3, 0x38000000, v2
                                        ; implicit-def: $vgpr4
                                        ; implicit-def: $vgpr2
.LBB2_8771:                             ;   in Loop: Header=BB2_8591 Depth=3
	s_andn2_saveexec_b64 s[38:39], s[38:39]
; %bb.8772:                             ;   in Loop: Header=BB2_8591 Depth=3
	v_cmp_gt_i16_sdwa vcc, sext(v2), v48 src0_sel:BYTE_0 src1_sel:DWORD
	v_cndmask_b32_e32 v2, v7, v0, vcc
	v_cmp_eq_u32_e32 vcc, 0, v4
	v_cndmask_b32_e32 v3, v35, v2, vcc
; %bb.8773:                             ;   in Loop: Header=BB2_8591 Depth=3
	s_or_b64 exec, exec, s[38:39]
.LBB2_8774:                             ;   in Loop: Header=BB2_8591 Depth=3
	s_or_b64 exec, exec, s[42:43]
.LBB2_8775:                             ;   in Loop: Header=BB2_8591 Depth=3
	s_or_b64 exec, exec, s[40:41]
	v_mul_f32_e32 v2, v23, v3
	v_and_b32_e32 v3, 0x7f800000, v2
	v_mov_b32_e32 v4, v29
	v_cmp_ne_u64_e32 vcc, s[76:77], v[3:4]
	v_and_b32_e32 v28, 0x7fffff, v2
                                        ; implicit-def: $vgpr60
	s_and_saveexec_b64 s[40:41], vcc
	s_xor_b64 s[42:43], exec, s[40:41]
	s_cbranch_execz .LBB2_8789
; %bb.8776:                             ;   in Loop: Header=BB2_8591 Depth=3
	v_and_b32_e32 v3, 0x7fffffff, v2
	v_mov_b32_e32 v4, v29
	v_cmp_gt_u64_e32 vcc, s[78:79], v[3:4]
	v_and_b32_sdwa v17, v2, s96 dst_sel:DWORD dst_unused:UNUSED_PAD src0_sel:BYTE_3 src1_sel:DWORD
                                        ; implicit-def: $vgpr60
	s_and_saveexec_b64 s[40:41], vcc
	s_xor_b64 s[38:39], exec, s[40:41]
	s_cbranch_execz .LBB2_8786
; %bb.8777:                             ;   in Loop: Header=BB2_8591 Depth=3
	v_mov_b32_e32 v60, 0
	v_cmp_ne_u32_e32 vcc, 0, v2
	s_and_saveexec_b64 s[48:49], vcc
	s_cbranch_execz .LBB2_8785
; %bb.8778:                             ;   in Loop: Header=BB2_8591 Depth=3
	v_bfe_u32 v37, v2, 23, 8
	v_cmp_gt_u32_e64 s[40:41], s46, v37
	v_sub_u32_e32 v2, 0x71, v37
	v_cmp_eq_u32_e32 vcc, 0, v37
	v_cndmask_b32_e64 v2, 0, v2, s[40:41]
	v_mov_b32_e32 v4, 0x70
	v_cndmask_b32_e32 v49, v2, v4, vcc
	v_add_u32_e32 v4, 21, v49
	v_or_b32_e32 v3, 0x800000, v28
	v_lshlrev_b64 v[38:39], v4, -1
	v_cndmask_b32_e32 v2, v3, v28, vcc
	v_mov_b32_e32 v3, v29
	v_add_u32_e32 v4, 20, v49
	v_bfi_b32 v38, v38, 0, v2
	v_lshlrev_b64 v[52:53], v4, 1
	v_lshrrev_b64 v[2:3], v49, v[2:3]
	v_bfi_b32 v39, v39, 0, 0
	v_cmp_eq_u64_e64 s[40:41], v[38:39], v[52:53]
	v_mov_b32_e32 v4, v3
	v_mov_b32_e32 v3, v2
	s_and_saveexec_b64 s[50:51], s[40:41]
; %bb.8779:                             ;   in Loop: Header=BB2_8591 Depth=3
	v_bfe_u32 v3, v2, 21, 1
	v_add_co_u32_e64 v3, s[40:41], v2, v3
	v_add_co_u32_e64 v3, s[40:41], -1, v3
; %bb.8780:                             ;   in Loop: Header=BB2_8591 Depth=3
	s_or_b64 exec, exec, s[50:51]
	v_add_u32_e32 v4, 0xffffff81, v37
	v_cndmask_b32_e32 v4, v4, v1, vcc
	v_lshrrev_b32_e32 v16, 23, v2
	v_add3_u32 v49, v49, v4, v16
	v_add_u32_e32 v37, 14, v49
	v_and_b32_e32 v3, 0x1fffff, v3
	v_add_u32_e32 v28, v3, v2
	v_cmp_ne_u32_e32 vcc, 0, v37
                                        ; implicit-def: $vgpr2_vgpr3
                                        ; implicit-def: $vgpr4
	s_and_saveexec_b64 s[40:41], vcc
	s_xor_b64 s[40:41], exec, s[40:41]
; %bb.8781:                             ;   in Loop: Header=BB2_8591 Depth=3
	v_cmp_lt_u64_e32 vcc, s[88:89], v[28:29]
	v_add_u32_e32 v2, 15, v49
	v_cndmask_b32_e32 v4, v37, v2, vcc
	v_cndmask_b32_e64 v2, 0, 1, vcc
	v_lshrrev_b64 v[2:3], v2, v[28:29]
; %bb.8782:                             ;   in Loop: Header=BB2_8591 Depth=3
	s_andn2_saveexec_b64 s[40:41], s[40:41]
; %bb.8783:                             ;   in Loop: Header=BB2_8591 Depth=3
	v_mov_b32_e32 v2, v28
	v_mov_b32_e32 v3, v29
	v_bfe_u32 v4, v28, 23, 1
; %bb.8784:                             ;   in Loop: Header=BB2_8591 Depth=3
	s_or_b64 exec, exec, s[40:41]
	v_lshrrev_b64 v[2:3], 21, v[2:3]
	v_cmp_gt_i32_e32 vcc, 32, v4
	v_cndmask_b32_e32 v3, 0, v3, vcc
	v_cndmask_b32_e32 v2, 3, v2, vcc
	v_cmp_eq_u64_e64 s[40:41], 0, v[2:3]
	v_min_i32_e32 v3, 31, v4
	v_lshlrev_b32_e32 v3, 2, v3
	v_cmp_eq_u32_e32 vcc, 0, v4
	v_and_b32_e32 v3, 0xfc, v3
	v_and_or_b32 v2, v2, 3, v3
	s_and_b64 s[40:41], vcc, s[40:41]
	v_cndmask_b32_e64 v2, v2, 0, s[40:41]
	v_or_b32_e32 v60, v2, v17
.LBB2_8785:                             ;   in Loop: Header=BB2_8591 Depth=3
	s_or_b64 exec, exec, s[48:49]
                                        ; implicit-def: $vgpr17
.LBB2_8786:                             ;   in Loop: Header=BB2_8591 Depth=3
	s_andn2_saveexec_b64 s[40:41], s[38:39]
; %bb.8787:                             ;   in Loop: Header=BB2_8591 Depth=3
	v_or_b32_e32 v60, 0x7b, v17
; %bb.8788:                             ;   in Loop: Header=BB2_8591 Depth=3
	s_or_b64 exec, exec, s[40:41]
                                        ; implicit-def: $vgpr2
.LBB2_8789:                             ;   in Loop: Header=BB2_8591 Depth=3
	s_andn2_saveexec_b64 s[40:41], s[42:43]
	s_cbranch_execz .LBB2_8795
; %bb.8790:                             ;   in Loop: Header=BB2_8591 Depth=3
	v_cmp_ne_u64_e32 vcc, 0, v[28:29]
                                        ; implicit-def: $vgpr60
	s_and_saveexec_b64 s[42:43], vcc
	s_xor_b64 s[42:43], exec, s[42:43]
; %bb.8791:                             ;   in Loop: Header=BB2_8591 Depth=3
	v_or_b32_sdwa v60, v2, s47 dst_sel:DWORD dst_unused:UNUSED_PAD src0_sel:BYTE_3 src1_sel:DWORD
                                        ; implicit-def: $vgpr2
; %bb.8792:                             ;   in Loop: Header=BB2_8591 Depth=3
	s_andn2_saveexec_b64 s[42:43], s[42:43]
; %bb.8793:                             ;   in Loop: Header=BB2_8591 Depth=3
	v_cmp_lt_i32_e32 vcc, -1, v2
	v_cndmask_b32_e32 v60, v6, v22, vcc
; %bb.8794:                             ;   in Loop: Header=BB2_8591 Depth=3
	s_or_b64 exec, exec, s[42:43]
.LBB2_8795:                             ;   in Loop: Header=BB2_8591 Depth=3
	s_or_b64 exec, exec, s[40:41]
	v_cmp_lt_u64_e32 vcc, s[56:57], v[8:9]
	v_mov_b32_e32 v3, 0
	s_and_saveexec_b64 s[40:41], vcc
	s_cbranch_execz .LBB2_8803
; %bb.8796:                             ;   in Loop: Header=BB2_8591 Depth=3
	v_lshrrev_b32_e32 v2, 24, v9
	v_cmp_ne_u32_e32 vcc, s96, v2
	v_bfrev_b32_e32 v3, 1
	s_and_saveexec_b64 s[42:43], vcc
	s_cbranch_execz .LBB2_8802
; %bb.8797:                             ;   in Loop: Header=BB2_8591 Depth=3
	v_and_b32_e32 v3, 0x7c000000, v9
	v_bfe_u32 v4, v9, 24, 2
	v_cmp_ne_u32_e32 vcc, s45, v3
                                        ; implicit-def: $vgpr3
	s_and_saveexec_b64 s[38:39], vcc
	s_xor_b64 s[38:39], exec, s[38:39]
	s_cbranch_execz .LBB2_8799
; %bb.8798:                             ;   in Loop: Header=BB2_8591 Depth=3
	v_ffbh_u32_e32 v3, v4
	v_min_u32_e32 v17, 32, v3
	v_subrev_u32_e32 v3, 29, v17
	v_lshlrev_b64 v[2:3], v3, v[2:3]
	v_bfe_u32 v16, v9, 26, 5
	v_sub_u32_e32 v3, 30, v17
	v_and_b32_e32 v2, 3, v2
	v_cmp_eq_u32_e32 vcc, 0, v16
	v_cndmask_b32_e32 v3, v16, v3, vcc
	v_cndmask_b32_e32 v2, v4, v2, vcc
	v_and_b32_e32 v4, 0x80000000, v9
	v_lshl_add_u32 v3, v3, 23, v4
	v_lshl_or_b32 v2, v2, 21, v3
	v_add_u32_e32 v3, 0x38000000, v2
                                        ; implicit-def: $vgpr4
.LBB2_8799:                             ;   in Loop: Header=BB2_8591 Depth=3
	s_andn2_saveexec_b64 s[38:39], s[38:39]
; %bb.8800:                             ;   in Loop: Header=BB2_8591 Depth=3
	v_cmp_lt_i64_e32 vcc, -1, v[8:9]
	v_cndmask_b32_e32 v2, v7, v0, vcc
	v_cmp_eq_u32_e32 vcc, 0, v4
	v_cndmask_b32_e32 v3, v35, v2, vcc
; %bb.8801:                             ;   in Loop: Header=BB2_8591 Depth=3
	s_or_b64 exec, exec, s[38:39]
.LBB2_8802:                             ;   in Loop: Header=BB2_8591 Depth=3
	s_or_b64 exec, exec, s[42:43]
.LBB2_8803:                             ;   in Loop: Header=BB2_8591 Depth=3
	s_or_b64 exec, exec, s[40:41]
	v_mul_f32_e32 v2, v23, v3
	v_and_b32_e32 v3, 0x7f800000, v2
	v_mov_b32_e32 v4, v29
	v_cmp_ne_u64_e32 vcc, s[76:77], v[3:4]
	v_and_b32_e32 v28, 0x7fffff, v2
                                        ; implicit-def: $vgpr61
	s_and_saveexec_b64 s[40:41], vcc
	s_xor_b64 s[42:43], exec, s[40:41]
	s_cbranch_execz .LBB2_8817
; %bb.8804:                             ;   in Loop: Header=BB2_8591 Depth=3
	v_and_b32_e32 v3, 0x7fffffff, v2
	v_mov_b32_e32 v4, v29
	v_cmp_gt_u64_e32 vcc, s[78:79], v[3:4]
	v_and_b32_sdwa v8, v2, s96 dst_sel:DWORD dst_unused:UNUSED_PAD src0_sel:BYTE_3 src1_sel:DWORD
                                        ; implicit-def: $vgpr61
	s_and_saveexec_b64 s[40:41], vcc
	s_xor_b64 s[38:39], exec, s[40:41]
	s_cbranch_execz .LBB2_8814
; %bb.8805:                             ;   in Loop: Header=BB2_8591 Depth=3
	v_mov_b32_e32 v61, 0
	v_cmp_ne_u32_e32 vcc, 0, v2
	s_and_saveexec_b64 s[48:49], vcc
	s_cbranch_execz .LBB2_8813
; %bb.8806:                             ;   in Loop: Header=BB2_8591 Depth=3
	v_bfe_u32 v9, v2, 23, 8
	v_cmp_gt_u32_e64 s[40:41], s46, v9
	v_sub_u32_e32 v2, 0x71, v9
	v_cmp_eq_u32_e32 vcc, 0, v9
	v_cndmask_b32_e64 v2, 0, v2, s[40:41]
	v_mov_b32_e32 v4, 0x70
	v_cndmask_b32_e32 v17, v2, v4, vcc
	v_add_u32_e32 v4, 21, v17
	v_or_b32_e32 v3, 0x800000, v28
	v_lshlrev_b64 v[37:38], v4, -1
	v_cndmask_b32_e32 v2, v3, v28, vcc
	v_mov_b32_e32 v3, v29
	v_add_u32_e32 v4, 20, v17
	v_bfi_b32 v37, v37, 0, v2
	v_lshlrev_b64 v[52:53], v4, 1
	v_lshrrev_b64 v[2:3], v17, v[2:3]
	v_bfi_b32 v38, v38, 0, 0
	v_cmp_eq_u64_e64 s[40:41], v[37:38], v[52:53]
	v_mov_b32_e32 v4, v3
	v_mov_b32_e32 v3, v2
	s_and_saveexec_b64 s[50:51], s[40:41]
; %bb.8807:                             ;   in Loop: Header=BB2_8591 Depth=3
	v_bfe_u32 v3, v2, 21, 1
	v_add_co_u32_e64 v3, s[40:41], v2, v3
	v_add_co_u32_e64 v3, s[40:41], -1, v3
; %bb.8808:                             ;   in Loop: Header=BB2_8591 Depth=3
	s_or_b64 exec, exec, s[50:51]
	v_add_u32_e32 v4, 0xffffff81, v9
	v_cndmask_b32_e32 v4, v4, v1, vcc
	v_lshrrev_b32_e32 v9, 23, v2
	v_add3_u32 v17, v17, v4, v9
	v_add_u32_e32 v9, 14, v17
	v_and_b32_e32 v3, 0x1fffff, v3
	v_add_u32_e32 v28, v3, v2
	v_cmp_ne_u32_e32 vcc, 0, v9
                                        ; implicit-def: $vgpr2_vgpr3
                                        ; implicit-def: $vgpr4
	s_and_saveexec_b64 s[40:41], vcc
	s_xor_b64 s[40:41], exec, s[40:41]
; %bb.8809:                             ;   in Loop: Header=BB2_8591 Depth=3
	v_cmp_lt_u64_e32 vcc, s[88:89], v[28:29]
	v_add_u32_e32 v2, 15, v17
	v_cndmask_b32_e32 v4, v9, v2, vcc
	v_cndmask_b32_e64 v2, 0, 1, vcc
	v_lshrrev_b64 v[2:3], v2, v[28:29]
; %bb.8810:                             ;   in Loop: Header=BB2_8591 Depth=3
	s_andn2_saveexec_b64 s[40:41], s[40:41]
; %bb.8811:                             ;   in Loop: Header=BB2_8591 Depth=3
	v_mov_b32_e32 v2, v28
	v_mov_b32_e32 v3, v29
	v_bfe_u32 v4, v28, 23, 1
; %bb.8812:                             ;   in Loop: Header=BB2_8591 Depth=3
	s_or_b64 exec, exec, s[40:41]
	v_lshrrev_b64 v[2:3], 21, v[2:3]
	v_cmp_gt_i32_e32 vcc, 32, v4
	v_cndmask_b32_e32 v3, 0, v3, vcc
	v_cndmask_b32_e32 v2, 3, v2, vcc
	v_cmp_eq_u64_e64 s[40:41], 0, v[2:3]
	v_min_i32_e32 v3, 31, v4
	v_lshlrev_b32_e32 v3, 2, v3
	v_cmp_eq_u32_e32 vcc, 0, v4
	v_and_b32_e32 v3, 0xfc, v3
	v_and_or_b32 v2, v2, 3, v3
	s_and_b64 s[40:41], vcc, s[40:41]
	v_cndmask_b32_e64 v2, v2, 0, s[40:41]
	v_or_b32_e32 v61, v2, v8
.LBB2_8813:                             ;   in Loop: Header=BB2_8591 Depth=3
	s_or_b64 exec, exec, s[48:49]
                                        ; implicit-def: $vgpr8
.LBB2_8814:                             ;   in Loop: Header=BB2_8591 Depth=3
	s_andn2_saveexec_b64 s[40:41], s[38:39]
; %bb.8815:                             ;   in Loop: Header=BB2_8591 Depth=3
	v_or_b32_e32 v61, 0x7b, v8
; %bb.8816:                             ;   in Loop: Header=BB2_8591 Depth=3
	s_or_b64 exec, exec, s[40:41]
                                        ; implicit-def: $vgpr2
.LBB2_8817:                             ;   in Loop: Header=BB2_8591 Depth=3
	s_andn2_saveexec_b64 s[40:41], s[42:43]
	s_cbranch_execz .LBB2_8823
; %bb.8818:                             ;   in Loop: Header=BB2_8591 Depth=3
	v_cmp_ne_u64_e32 vcc, 0, v[28:29]
                                        ; implicit-def: $vgpr61
	s_and_saveexec_b64 s[42:43], vcc
	s_xor_b64 s[42:43], exec, s[42:43]
; %bb.8819:                             ;   in Loop: Header=BB2_8591 Depth=3
	v_or_b32_sdwa v61, v2, s47 dst_sel:DWORD dst_unused:UNUSED_PAD src0_sel:BYTE_3 src1_sel:DWORD
                                        ; implicit-def: $vgpr2
; %bb.8820:                             ;   in Loop: Header=BB2_8591 Depth=3
	s_andn2_saveexec_b64 s[42:43], s[42:43]
; %bb.8821:                             ;   in Loop: Header=BB2_8591 Depth=3
	v_cmp_lt_i32_e32 vcc, -1, v2
	v_cndmask_b32_e32 v61, v6, v22, vcc
; %bb.8822:                             ;   in Loop: Header=BB2_8591 Depth=3
	s_or_b64 exec, exec, s[42:43]
.LBB2_8823:                             ;   in Loop: Header=BB2_8591 Depth=3
	s_or_b64 exec, exec, s[40:41]
	v_cmp_ne_u16_sdwa s[42:43], v10, v29 src0_sel:BYTE_0 src1_sel:DWORD
	v_mov_b32_e32 v2, 0
	s_and_saveexec_b64 s[40:41], s[42:43]
	s_cbranch_execz .LBB2_8831
; %bb.8824:                             ;   in Loop: Header=BB2_8591 Depth=3
	v_cmp_ne_u16_sdwa vcc, sext(v10), s97 src0_sel:BYTE_0 src1_sel:DWORD
	v_bfrev_b32_e32 v2, 1
	s_and_saveexec_b64 s[42:43], vcc
	s_cbranch_execz .LBB2_8830
; %bb.8825:                             ;   in Loop: Header=BB2_8591 Depth=3
	v_and_b32_e32 v2, 0x7c, v10
	v_and_b32_e32 v3, 3, v10
	v_cmp_ne_u32_e32 vcc, s85, v2
                                        ; implicit-def: $vgpr2
	s_and_saveexec_b64 s[38:39], vcc
	s_xor_b64 s[38:39], exec, s[38:39]
	s_cbranch_execz .LBB2_8827
; %bb.8826:                             ;   in Loop: Header=BB2_8591 Depth=3
	v_ffbh_u32_e32 v4, v3
	v_min_u32_e32 v4, 32, v4
	v_bfe_u32 v2, v10, 2, 5
	v_subrev_u32_e32 v8, 29, v4
	v_lshlrev_b64 v[8:9], v8, v[10:11]
	v_sub_u32_e32 v4, 30, v4
	v_cmp_eq_u32_e32 vcc, 0, v2
	v_cndmask_b32_e32 v2, v2, v4, vcc
	v_lshlrev_b32_e32 v4, 24, v10
	v_and_b32_e32 v8, 3, v8
	v_and_b32_e32 v4, 0x80000000, v4
	v_cndmask_b32_e32 v3, v3, v8, vcc
	v_lshl_add_u32 v2, v2, 23, v4
	v_lshl_or_b32 v2, v3, 21, v2
	v_add_u32_e32 v2, 0x38000000, v2
                                        ; implicit-def: $vgpr3
.LBB2_8827:                             ;   in Loop: Header=BB2_8591 Depth=3
	s_andn2_saveexec_b64 s[38:39], s[38:39]
; %bb.8828:                             ;   in Loop: Header=BB2_8591 Depth=3
	v_cmp_gt_i16_sdwa vcc, sext(v10), v48 src0_sel:BYTE_0 src1_sel:DWORD
	v_cndmask_b32_e32 v2, v7, v0, vcc
	v_cmp_eq_u32_e32 vcc, 0, v3
	v_cndmask_b32_e32 v2, v35, v2, vcc
; %bb.8829:                             ;   in Loop: Header=BB2_8591 Depth=3
	s_or_b64 exec, exec, s[38:39]
.LBB2_8830:                             ;   in Loop: Header=BB2_8591 Depth=3
	s_or_b64 exec, exec, s[42:43]
.LBB2_8831:                             ;   in Loop: Header=BB2_8591 Depth=3
	s_or_b64 exec, exec, s[40:41]
	v_mul_f32_e32 v2, v23, v2
	v_and_b32_e32 v3, 0x7f800000, v2
	v_mov_b32_e32 v4, v29
	v_cmp_ne_u64_e32 vcc, s[76:77], v[3:4]
	v_and_b32_e32 v28, 0x7fffff, v2
                                        ; implicit-def: $vgpr52
	s_and_saveexec_b64 s[40:41], vcc
	s_xor_b64 s[42:43], exec, s[40:41]
	s_cbranch_execz .LBB2_8845
; %bb.8832:                             ;   in Loop: Header=BB2_8591 Depth=3
	v_and_b32_e32 v3, 0x7fffffff, v2
	v_mov_b32_e32 v4, v29
	v_cmp_gt_u64_e32 vcc, s[78:79], v[3:4]
	v_and_b32_sdwa v8, v2, s96 dst_sel:DWORD dst_unused:UNUSED_PAD src0_sel:BYTE_3 src1_sel:DWORD
                                        ; implicit-def: $vgpr52
	s_and_saveexec_b64 s[40:41], vcc
	s_xor_b64 s[38:39], exec, s[40:41]
	s_cbranch_execz .LBB2_8842
; %bb.8833:                             ;   in Loop: Header=BB2_8591 Depth=3
	v_mov_b32_e32 v52, 0
	v_cmp_ne_u32_e32 vcc, 0, v2
	s_and_saveexec_b64 s[48:49], vcc
	s_cbranch_execz .LBB2_8841
; %bb.8834:                             ;   in Loop: Header=BB2_8591 Depth=3
	v_bfe_u32 v9, v2, 23, 8
	v_cmp_gt_u32_e64 s[40:41], s46, v9
	v_sub_u32_e32 v2, 0x71, v9
	v_cmp_eq_u32_e32 vcc, 0, v9
	v_cndmask_b32_e64 v2, 0, v2, s[40:41]
	v_mov_b32_e32 v4, 0x70
	v_cndmask_b32_e32 v17, v2, v4, vcc
	v_add_u32_e32 v4, 21, v17
	v_or_b32_e32 v3, 0x800000, v28
	v_lshlrev_b64 v[37:38], v4, -1
	v_cndmask_b32_e32 v2, v3, v28, vcc
	v_mov_b32_e32 v3, v29
	v_add_u32_e32 v4, 20, v17
	v_bfi_b32 v37, v37, 0, v2
	v_lshlrev_b64 v[52:53], v4, 1
	v_lshrrev_b64 v[2:3], v17, v[2:3]
	v_bfi_b32 v38, v38, 0, 0
	v_cmp_eq_u64_e64 s[40:41], v[37:38], v[52:53]
	v_mov_b32_e32 v4, v3
	v_mov_b32_e32 v3, v2
	s_and_saveexec_b64 s[50:51], s[40:41]
; %bb.8835:                             ;   in Loop: Header=BB2_8591 Depth=3
	v_bfe_u32 v3, v2, 21, 1
	v_add_co_u32_e64 v3, s[40:41], v2, v3
	v_add_co_u32_e64 v3, s[40:41], -1, v3
; %bb.8836:                             ;   in Loop: Header=BB2_8591 Depth=3
	s_or_b64 exec, exec, s[50:51]
	v_add_u32_e32 v4, 0xffffff81, v9
	v_cndmask_b32_e32 v4, v4, v1, vcc
	v_lshrrev_b32_e32 v9, 23, v2
	v_add3_u32 v17, v17, v4, v9
	v_add_u32_e32 v9, 14, v17
	v_and_b32_e32 v3, 0x1fffff, v3
	v_add_u32_e32 v28, v3, v2
	v_cmp_ne_u32_e32 vcc, 0, v9
                                        ; implicit-def: $vgpr2_vgpr3
                                        ; implicit-def: $vgpr4
	s_and_saveexec_b64 s[40:41], vcc
	s_xor_b64 s[40:41], exec, s[40:41]
; %bb.8837:                             ;   in Loop: Header=BB2_8591 Depth=3
	v_cmp_lt_u64_e32 vcc, s[88:89], v[28:29]
	v_add_u32_e32 v2, 15, v17
	v_cndmask_b32_e32 v4, v9, v2, vcc
	v_cndmask_b32_e64 v2, 0, 1, vcc
	v_lshrrev_b64 v[2:3], v2, v[28:29]
; %bb.8838:                             ;   in Loop: Header=BB2_8591 Depth=3
	s_andn2_saveexec_b64 s[40:41], s[40:41]
; %bb.8839:                             ;   in Loop: Header=BB2_8591 Depth=3
	v_mov_b32_e32 v2, v28
	v_mov_b32_e32 v3, v29
	v_bfe_u32 v4, v28, 23, 1
; %bb.8840:                             ;   in Loop: Header=BB2_8591 Depth=3
	s_or_b64 exec, exec, s[40:41]
	v_lshrrev_b64 v[2:3], 21, v[2:3]
	v_cmp_gt_i32_e32 vcc, 32, v4
	v_cndmask_b32_e32 v3, 0, v3, vcc
	v_cndmask_b32_e32 v2, 3, v2, vcc
	v_cmp_eq_u64_e64 s[40:41], 0, v[2:3]
	v_min_i32_e32 v3, 31, v4
	v_lshlrev_b32_e32 v3, 2, v3
	v_cmp_eq_u32_e32 vcc, 0, v4
	v_and_b32_e32 v3, 0xfc, v3
	v_and_or_b32 v2, v2, 3, v3
	s_and_b64 s[40:41], vcc, s[40:41]
	v_cndmask_b32_e64 v2, v2, 0, s[40:41]
	v_or_b32_e32 v52, v2, v8
.LBB2_8841:                             ;   in Loop: Header=BB2_8591 Depth=3
	s_or_b64 exec, exec, s[48:49]
                                        ; implicit-def: $vgpr8
.LBB2_8842:                             ;   in Loop: Header=BB2_8591 Depth=3
	s_andn2_saveexec_b64 s[40:41], s[38:39]
; %bb.8843:                             ;   in Loop: Header=BB2_8591 Depth=3
	v_or_b32_e32 v52, 0x7b, v8
; %bb.8844:                             ;   in Loop: Header=BB2_8591 Depth=3
	s_or_b64 exec, exec, s[40:41]
                                        ; implicit-def: $vgpr2
.LBB2_8845:                             ;   in Loop: Header=BB2_8591 Depth=3
	s_andn2_saveexec_b64 s[40:41], s[42:43]
	s_cbranch_execz .LBB2_8851
; %bb.8846:                             ;   in Loop: Header=BB2_8591 Depth=3
	v_cmp_ne_u64_e32 vcc, 0, v[28:29]
                                        ; implicit-def: $vgpr52
	s_and_saveexec_b64 s[42:43], vcc
	s_xor_b64 s[42:43], exec, s[42:43]
; %bb.8847:                             ;   in Loop: Header=BB2_8591 Depth=3
	v_or_b32_sdwa v52, v2, s47 dst_sel:DWORD dst_unused:UNUSED_PAD src0_sel:BYTE_3 src1_sel:DWORD
                                        ; implicit-def: $vgpr2
; %bb.8848:                             ;   in Loop: Header=BB2_8591 Depth=3
	s_andn2_saveexec_b64 s[42:43], s[42:43]
; %bb.8849:                             ;   in Loop: Header=BB2_8591 Depth=3
	v_cmp_lt_i32_e32 vcc, -1, v2
	v_cndmask_b32_e32 v52, v6, v22, vcc
; %bb.8850:                             ;   in Loop: Header=BB2_8591 Depth=3
	s_or_b64 exec, exec, s[42:43]
.LBB2_8851:                             ;   in Loop: Header=BB2_8591 Depth=3
	s_or_b64 exec, exec, s[40:41]
	v_lshrrev_b16_e32 v2, 8, v10
	v_cmp_ne_u16_e32 vcc, 0, v2
	v_mov_b32_e32 v3, 0
	s_and_saveexec_b64 s[40:41], vcc
	s_cbranch_execz .LBB2_8859
; %bb.8852:                             ;   in Loop: Header=BB2_8591 Depth=3
	v_cmp_ne_u16_e32 vcc, s96, v2
	v_bfrev_b32_e32 v3, 1
	s_and_saveexec_b64 s[42:43], vcc
	s_cbranch_execz .LBB2_8858
; %bb.8853:                             ;   in Loop: Header=BB2_8591 Depth=3
	v_and_b32_e32 v3, 0x7c, v2
	v_and_b32_e32 v4, 3, v2
	v_cmp_ne_u32_e32 vcc, s85, v3
                                        ; implicit-def: $vgpr3
	s_and_saveexec_b64 s[38:39], vcc
	s_xor_b64 s[38:39], exec, s[38:39]
	s_cbranch_execz .LBB2_8855
; %bb.8854:                             ;   in Loop: Header=BB2_8591 Depth=3
	v_ffbh_u32_e32 v9, v4
	v_min_u32_e32 v9, 32, v9
	v_mov_b32_e32 v3, v29
	v_subrev_u32_e32 v16, 29, v9
	v_bfe_u32 v8, v2, 2, 5
	v_lshlrev_b64 v[2:3], v16, v[2:3]
	v_cmp_eq_u32_e32 vcc, 0, v8
	v_and_b32_e32 v2, 3, v2
	v_sub_u32_e32 v3, 30, v9
	v_cndmask_b32_e32 v2, v4, v2, vcc
	v_lshlrev_b32_e32 v4, 16, v10
	v_cndmask_b32_e32 v3, v8, v3, vcc
	v_and_b32_e32 v4, 0x80000000, v4
	v_lshl_add_u32 v3, v3, 23, v4
	v_lshl_or_b32 v2, v2, 21, v3
	v_add_u32_e32 v3, 0x38000000, v2
                                        ; implicit-def: $vgpr4
.LBB2_8855:                             ;   in Loop: Header=BB2_8591 Depth=3
	s_andn2_saveexec_b64 s[38:39], s[38:39]
; %bb.8856:                             ;   in Loop: Header=BB2_8591 Depth=3
	v_cmp_lt_i16_e32 vcc, -1, v10
	v_cndmask_b32_e32 v2, v7, v0, vcc
	v_cmp_eq_u32_e32 vcc, 0, v4
	v_cndmask_b32_e32 v3, v35, v2, vcc
; %bb.8857:                             ;   in Loop: Header=BB2_8591 Depth=3
	s_or_b64 exec, exec, s[38:39]
.LBB2_8858:                             ;   in Loop: Header=BB2_8591 Depth=3
	s_or_b64 exec, exec, s[42:43]
.LBB2_8859:                             ;   in Loop: Header=BB2_8591 Depth=3
	s_or_b64 exec, exec, s[40:41]
	v_mul_f32_e32 v2, v23, v3
	v_and_b32_e32 v3, 0x7f800000, v2
	v_mov_b32_e32 v4, v29
	v_cmp_ne_u64_e32 vcc, s[76:77], v[3:4]
	v_and_b32_e32 v28, 0x7fffff, v2
                                        ; implicit-def: $vgpr47
	s_and_saveexec_b64 s[40:41], vcc
	s_xor_b64 s[42:43], exec, s[40:41]
	s_cbranch_execz .LBB2_8873
; %bb.8860:                             ;   in Loop: Header=BB2_8591 Depth=3
	v_and_b32_e32 v3, 0x7fffffff, v2
	v_mov_b32_e32 v4, v29
	v_cmp_gt_u64_e32 vcc, s[78:79], v[3:4]
	v_and_b32_sdwa v8, v2, s96 dst_sel:DWORD dst_unused:UNUSED_PAD src0_sel:BYTE_3 src1_sel:DWORD
                                        ; implicit-def: $vgpr47
	s_and_saveexec_b64 s[40:41], vcc
	s_xor_b64 s[38:39], exec, s[40:41]
	s_cbranch_execz .LBB2_8870
; %bb.8861:                             ;   in Loop: Header=BB2_8591 Depth=3
	v_mov_b32_e32 v47, 0
	v_cmp_ne_u32_e32 vcc, 0, v2
	s_and_saveexec_b64 s[48:49], vcc
	s_cbranch_execz .LBB2_8869
; %bb.8862:                             ;   in Loop: Header=BB2_8591 Depth=3
	v_bfe_u32 v9, v2, 23, 8
	v_cmp_gt_u32_e64 s[40:41], s46, v9
	v_sub_u32_e32 v2, 0x71, v9
	v_cmp_eq_u32_e32 vcc, 0, v9
	v_cndmask_b32_e64 v2, 0, v2, s[40:41]
	v_mov_b32_e32 v4, 0x70
	v_cndmask_b32_e32 v17, v2, v4, vcc
	v_add_u32_e32 v4, 21, v17
	v_or_b32_e32 v3, 0x800000, v28
	v_lshlrev_b64 v[37:38], v4, -1
	v_cndmask_b32_e32 v2, v3, v28, vcc
	v_mov_b32_e32 v3, v29
	v_add_u32_e32 v4, 20, v17
	v_bfi_b32 v37, v37, 0, v2
	v_lshlrev_b64 v[46:47], v4, 1
	v_lshrrev_b64 v[2:3], v17, v[2:3]
	v_bfi_b32 v38, v38, 0, 0
	v_cmp_eq_u64_e64 s[40:41], v[37:38], v[46:47]
	v_mov_b32_e32 v4, v3
	v_mov_b32_e32 v3, v2
	s_and_saveexec_b64 s[50:51], s[40:41]
; %bb.8863:                             ;   in Loop: Header=BB2_8591 Depth=3
	v_bfe_u32 v3, v2, 21, 1
	v_add_co_u32_e64 v3, s[40:41], v2, v3
	v_add_co_u32_e64 v3, s[40:41], -1, v3
; %bb.8864:                             ;   in Loop: Header=BB2_8591 Depth=3
	s_or_b64 exec, exec, s[50:51]
	v_add_u32_e32 v4, 0xffffff81, v9
	v_cndmask_b32_e32 v4, v4, v1, vcc
	v_lshrrev_b32_e32 v9, 23, v2
	v_add3_u32 v17, v17, v4, v9
	v_add_u32_e32 v9, 14, v17
	v_and_b32_e32 v3, 0x1fffff, v3
	v_add_u32_e32 v28, v3, v2
	v_cmp_ne_u32_e32 vcc, 0, v9
                                        ; implicit-def: $vgpr2_vgpr3
                                        ; implicit-def: $vgpr4
	s_and_saveexec_b64 s[40:41], vcc
	s_xor_b64 s[40:41], exec, s[40:41]
; %bb.8865:                             ;   in Loop: Header=BB2_8591 Depth=3
	v_cmp_lt_u64_e32 vcc, s[88:89], v[28:29]
	v_add_u32_e32 v2, 15, v17
	v_cndmask_b32_e32 v4, v9, v2, vcc
	v_cndmask_b32_e64 v2, 0, 1, vcc
	v_lshrrev_b64 v[2:3], v2, v[28:29]
; %bb.8866:                             ;   in Loop: Header=BB2_8591 Depth=3
	s_andn2_saveexec_b64 s[40:41], s[40:41]
; %bb.8867:                             ;   in Loop: Header=BB2_8591 Depth=3
	v_mov_b32_e32 v2, v28
	v_mov_b32_e32 v3, v29
	v_bfe_u32 v4, v28, 23, 1
; %bb.8868:                             ;   in Loop: Header=BB2_8591 Depth=3
	s_or_b64 exec, exec, s[40:41]
	v_lshrrev_b64 v[2:3], 21, v[2:3]
	v_cmp_gt_i32_e32 vcc, 32, v4
	v_cndmask_b32_e32 v3, 0, v3, vcc
	v_cndmask_b32_e32 v2, 3, v2, vcc
	v_cmp_eq_u64_e64 s[40:41], 0, v[2:3]
	v_min_i32_e32 v3, 31, v4
	v_lshlrev_b32_e32 v3, 2, v3
	v_cmp_eq_u32_e32 vcc, 0, v4
	v_and_b32_e32 v3, 0xfc, v3
	v_and_or_b32 v2, v2, 3, v3
	s_and_b64 s[40:41], vcc, s[40:41]
	v_cndmask_b32_e64 v2, v2, 0, s[40:41]
	v_or_b32_e32 v47, v2, v8
.LBB2_8869:                             ;   in Loop: Header=BB2_8591 Depth=3
	s_or_b64 exec, exec, s[48:49]
                                        ; implicit-def: $vgpr8
.LBB2_8870:                             ;   in Loop: Header=BB2_8591 Depth=3
	s_andn2_saveexec_b64 s[40:41], s[38:39]
; %bb.8871:                             ;   in Loop: Header=BB2_8591 Depth=3
	v_or_b32_e32 v47, 0x7b, v8
; %bb.8872:                             ;   in Loop: Header=BB2_8591 Depth=3
	s_or_b64 exec, exec, s[40:41]
                                        ; implicit-def: $vgpr2
.LBB2_8873:                             ;   in Loop: Header=BB2_8591 Depth=3
	s_andn2_saveexec_b64 s[40:41], s[42:43]
	s_cbranch_execz .LBB2_8879
; %bb.8874:                             ;   in Loop: Header=BB2_8591 Depth=3
	v_cmp_ne_u64_e32 vcc, 0, v[28:29]
                                        ; implicit-def: $vgpr47
	s_and_saveexec_b64 s[42:43], vcc
	s_xor_b64 s[42:43], exec, s[42:43]
; %bb.8875:                             ;   in Loop: Header=BB2_8591 Depth=3
	v_or_b32_sdwa v47, v2, s47 dst_sel:DWORD dst_unused:UNUSED_PAD src0_sel:BYTE_3 src1_sel:DWORD
                                        ; implicit-def: $vgpr2
; %bb.8876:                             ;   in Loop: Header=BB2_8591 Depth=3
	s_andn2_saveexec_b64 s[42:43], s[42:43]
; %bb.8877:                             ;   in Loop: Header=BB2_8591 Depth=3
	v_cmp_lt_i32_e32 vcc, -1, v2
	v_cndmask_b32_e32 v47, v6, v22, vcc
; %bb.8878:                             ;   in Loop: Header=BB2_8591 Depth=3
	s_or_b64 exec, exec, s[42:43]
.LBB2_8879:                             ;   in Loop: Header=BB2_8591 Depth=3
	s_or_b64 exec, exec, s[40:41]
	v_lshrrev_b32_e32 v2, 16, v10
	v_cmp_ne_u16_sdwa s[42:43], v2, v29 src0_sel:BYTE_0 src1_sel:DWORD
	v_mov_b32_e32 v3, 0
	s_and_saveexec_b64 s[40:41], s[42:43]
	s_cbranch_execz .LBB2_8887
; %bb.8880:                             ;   in Loop: Header=BB2_8591 Depth=3
	v_cmp_ne_u16_sdwa vcc, v2, s96 src0_sel:BYTE_0 src1_sel:DWORD
	v_bfrev_b32_e32 v3, 1
	s_and_saveexec_b64 s[42:43], vcc
	s_cbranch_execz .LBB2_8886
; %bb.8881:                             ;   in Loop: Header=BB2_8591 Depth=3
	v_and_b32_e32 v3, 0x7c0000, v10
	v_bfe_u32 v4, v10, 16, 2
	v_cmp_ne_u32_e32 vcc, s44, v3
                                        ; implicit-def: $vgpr3
	s_and_saveexec_b64 s[38:39], vcc
	s_xor_b64 s[38:39], exec, s[38:39]
	s_cbranch_execz .LBB2_8883
; %bb.8882:                             ;   in Loop: Header=BB2_8591 Depth=3
	v_ffbh_u32_e32 v3, v4
	v_min_u32_e32 v9, 32, v3
	v_subrev_u32_e32 v3, 29, v9
	v_lshlrev_b64 v[2:3], v3, v[2:3]
	v_bfe_u32 v8, v10, 18, 5
	v_and_b32_e32 v2, 3, v2
	v_cmp_eq_u32_e32 vcc, 0, v8
	v_sub_u32_e32 v3, 30, v9
	v_cndmask_b32_e32 v2, v4, v2, vcc
	v_lshlrev_b32_e32 v4, 8, v10
	v_cndmask_b32_e32 v3, v8, v3, vcc
	v_and_b32_e32 v4, 0x80000000, v4
	v_lshl_add_u32 v3, v3, 23, v4
	v_lshl_or_b32 v2, v2, 21, v3
	v_add_u32_e32 v3, 0x38000000, v2
                                        ; implicit-def: $vgpr4
                                        ; implicit-def: $vgpr2
.LBB2_8883:                             ;   in Loop: Header=BB2_8591 Depth=3
	s_andn2_saveexec_b64 s[38:39], s[38:39]
; %bb.8884:                             ;   in Loop: Header=BB2_8591 Depth=3
	v_cmp_gt_i16_sdwa vcc, sext(v2), v48 src0_sel:BYTE_0 src1_sel:DWORD
	v_cndmask_b32_e32 v2, v7, v0, vcc
	v_cmp_eq_u32_e32 vcc, 0, v4
	v_cndmask_b32_e32 v3, v35, v2, vcc
; %bb.8885:                             ;   in Loop: Header=BB2_8591 Depth=3
	s_or_b64 exec, exec, s[38:39]
.LBB2_8886:                             ;   in Loop: Header=BB2_8591 Depth=3
	s_or_b64 exec, exec, s[42:43]
.LBB2_8887:                             ;   in Loop: Header=BB2_8591 Depth=3
	s_or_b64 exec, exec, s[40:41]
	v_mul_f32_e32 v2, v23, v3
	v_and_b32_e32 v3, 0x7f800000, v2
	v_mov_b32_e32 v4, v29
	v_cmp_ne_u64_e32 vcc, s[76:77], v[3:4]
	v_and_b32_e32 v28, 0x7fffff, v2
                                        ; implicit-def: $vgpr58
	s_and_saveexec_b64 s[40:41], vcc
	s_xor_b64 s[42:43], exec, s[40:41]
	s_cbranch_execz .LBB2_8901
; %bb.8888:                             ;   in Loop: Header=BB2_8591 Depth=3
	v_and_b32_e32 v3, 0x7fffffff, v2
	v_mov_b32_e32 v4, v29
	v_cmp_gt_u64_e32 vcc, s[78:79], v[3:4]
	v_and_b32_sdwa v8, v2, s96 dst_sel:DWORD dst_unused:UNUSED_PAD src0_sel:BYTE_3 src1_sel:DWORD
                                        ; implicit-def: $vgpr58
	s_and_saveexec_b64 s[40:41], vcc
	s_xor_b64 s[38:39], exec, s[40:41]
	s_cbranch_execz .LBB2_8898
; %bb.8889:                             ;   in Loop: Header=BB2_8591 Depth=3
	v_mov_b32_e32 v58, 0
	v_cmp_ne_u32_e32 vcc, 0, v2
	s_and_saveexec_b64 s[48:49], vcc
	s_cbranch_execz .LBB2_8897
; %bb.8890:                             ;   in Loop: Header=BB2_8591 Depth=3
	v_bfe_u32 v9, v2, 23, 8
	v_cmp_gt_u32_e64 s[40:41], s46, v9
	v_sub_u32_e32 v2, 0x71, v9
	v_cmp_eq_u32_e32 vcc, 0, v9
	v_cndmask_b32_e64 v2, 0, v2, s[40:41]
	v_mov_b32_e32 v4, 0x70
	v_cndmask_b32_e32 v17, v2, v4, vcc
	v_add_u32_e32 v4, 21, v17
	v_or_b32_e32 v3, 0x800000, v28
	v_lshlrev_b64 v[37:38], v4, -1
	v_cndmask_b32_e32 v2, v3, v28, vcc
	v_mov_b32_e32 v3, v29
	v_add_u32_e32 v4, 20, v17
	v_bfi_b32 v37, v37, 0, v2
	v_lshlrev_b64 v[58:59], v4, 1
	v_lshrrev_b64 v[2:3], v17, v[2:3]
	v_bfi_b32 v38, v38, 0, 0
	v_cmp_eq_u64_e64 s[40:41], v[37:38], v[58:59]
	v_mov_b32_e32 v4, v3
	v_mov_b32_e32 v3, v2
	s_and_saveexec_b64 s[50:51], s[40:41]
; %bb.8891:                             ;   in Loop: Header=BB2_8591 Depth=3
	v_bfe_u32 v3, v2, 21, 1
	v_add_co_u32_e64 v3, s[40:41], v2, v3
	v_add_co_u32_e64 v3, s[40:41], -1, v3
; %bb.8892:                             ;   in Loop: Header=BB2_8591 Depth=3
	s_or_b64 exec, exec, s[50:51]
	v_add_u32_e32 v4, 0xffffff81, v9
	v_cndmask_b32_e32 v4, v4, v1, vcc
	v_lshrrev_b32_e32 v9, 23, v2
	v_add3_u32 v17, v17, v4, v9
	v_add_u32_e32 v9, 14, v17
	v_and_b32_e32 v3, 0x1fffff, v3
	v_add_u32_e32 v28, v3, v2
	v_cmp_ne_u32_e32 vcc, 0, v9
                                        ; implicit-def: $vgpr2_vgpr3
                                        ; implicit-def: $vgpr4
	s_and_saveexec_b64 s[40:41], vcc
	s_xor_b64 s[40:41], exec, s[40:41]
; %bb.8893:                             ;   in Loop: Header=BB2_8591 Depth=3
	v_cmp_lt_u64_e32 vcc, s[88:89], v[28:29]
	v_add_u32_e32 v2, 15, v17
	v_cndmask_b32_e32 v4, v9, v2, vcc
	v_cndmask_b32_e64 v2, 0, 1, vcc
	v_lshrrev_b64 v[2:3], v2, v[28:29]
; %bb.8894:                             ;   in Loop: Header=BB2_8591 Depth=3
	s_andn2_saveexec_b64 s[40:41], s[40:41]
; %bb.8895:                             ;   in Loop: Header=BB2_8591 Depth=3
	v_mov_b32_e32 v2, v28
	v_mov_b32_e32 v3, v29
	v_bfe_u32 v4, v28, 23, 1
; %bb.8896:                             ;   in Loop: Header=BB2_8591 Depth=3
	s_or_b64 exec, exec, s[40:41]
	v_lshrrev_b64 v[2:3], 21, v[2:3]
	v_cmp_gt_i32_e32 vcc, 32, v4
	v_cndmask_b32_e32 v3, 0, v3, vcc
	v_cndmask_b32_e32 v2, 3, v2, vcc
	v_cmp_eq_u64_e64 s[40:41], 0, v[2:3]
	v_min_i32_e32 v3, 31, v4
	v_lshlrev_b32_e32 v3, 2, v3
	v_cmp_eq_u32_e32 vcc, 0, v4
	v_and_b32_e32 v3, 0xfc, v3
	v_and_or_b32 v2, v2, 3, v3
	s_and_b64 s[40:41], vcc, s[40:41]
	v_cndmask_b32_e64 v2, v2, 0, s[40:41]
	v_or_b32_e32 v58, v2, v8
.LBB2_8897:                             ;   in Loop: Header=BB2_8591 Depth=3
	s_or_b64 exec, exec, s[48:49]
                                        ; implicit-def: $vgpr8
.LBB2_8898:                             ;   in Loop: Header=BB2_8591 Depth=3
	s_andn2_saveexec_b64 s[40:41], s[38:39]
; %bb.8899:                             ;   in Loop: Header=BB2_8591 Depth=3
	v_or_b32_e32 v58, 0x7b, v8
; %bb.8900:                             ;   in Loop: Header=BB2_8591 Depth=3
	s_or_b64 exec, exec, s[40:41]
                                        ; implicit-def: $vgpr2
.LBB2_8901:                             ;   in Loop: Header=BB2_8591 Depth=3
	s_andn2_saveexec_b64 s[40:41], s[42:43]
	s_cbranch_execz .LBB2_8907
; %bb.8902:                             ;   in Loop: Header=BB2_8591 Depth=3
	v_cmp_ne_u64_e32 vcc, 0, v[28:29]
                                        ; implicit-def: $vgpr58
	s_and_saveexec_b64 s[42:43], vcc
	s_xor_b64 s[42:43], exec, s[42:43]
; %bb.8903:                             ;   in Loop: Header=BB2_8591 Depth=3
	v_or_b32_sdwa v58, v2, s47 dst_sel:DWORD dst_unused:UNUSED_PAD src0_sel:BYTE_3 src1_sel:DWORD
                                        ; implicit-def: $vgpr2
; %bb.8904:                             ;   in Loop: Header=BB2_8591 Depth=3
	s_andn2_saveexec_b64 s[42:43], s[42:43]
; %bb.8905:                             ;   in Loop: Header=BB2_8591 Depth=3
	v_cmp_lt_i32_e32 vcc, -1, v2
	v_cndmask_b32_e32 v58, v6, v22, vcc
; %bb.8906:                             ;   in Loop: Header=BB2_8591 Depth=3
	s_or_b64 exec, exec, s[42:43]
.LBB2_8907:                             ;   in Loop: Header=BB2_8591 Depth=3
	s_or_b64 exec, exec, s[40:41]
	v_cmp_lt_u32_e32 vcc, s57, v10
	v_mov_b32_e32 v3, 0
	s_and_saveexec_b64 s[40:41], vcc
	s_cbranch_execz .LBB2_8915
; %bb.8908:                             ;   in Loop: Header=BB2_8591 Depth=3
	v_lshrrev_b32_e32 v2, 24, v10
	v_cmp_ne_u32_e32 vcc, s96, v2
	v_bfrev_b32_e32 v3, 1
	s_and_saveexec_b64 s[42:43], vcc
	s_cbranch_execz .LBB2_8914
; %bb.8909:                             ;   in Loop: Header=BB2_8591 Depth=3
	v_and_b32_e32 v3, 0x7c000000, v10
	v_bfe_u32 v4, v10, 24, 2
	v_cmp_ne_u32_e32 vcc, s45, v3
                                        ; implicit-def: $vgpr3
	s_and_saveexec_b64 s[38:39], vcc
	s_xor_b64 s[38:39], exec, s[38:39]
	s_cbranch_execz .LBB2_8911
; %bb.8910:                             ;   in Loop: Header=BB2_8591 Depth=3
	v_ffbh_u32_e32 v3, v4
	v_min_u32_e32 v9, 32, v3
	v_subrev_u32_e32 v3, 29, v9
	v_lshlrev_b64 v[2:3], v3, v[2:3]
	v_bfe_u32 v8, v10, 26, 5
	v_sub_u32_e32 v3, 30, v9
	v_and_b32_e32 v2, 3, v2
	v_cmp_eq_u32_e32 vcc, 0, v8
	v_cndmask_b32_e32 v3, v8, v3, vcc
	v_cndmask_b32_e32 v2, v4, v2, vcc
	v_and_b32_e32 v4, 0x80000000, v10
	v_lshl_add_u32 v3, v3, 23, v4
	v_lshl_or_b32 v2, v2, 21, v3
	v_add_u32_e32 v3, 0x38000000, v2
                                        ; implicit-def: $vgpr4
.LBB2_8911:                             ;   in Loop: Header=BB2_8591 Depth=3
	s_andn2_saveexec_b64 s[38:39], s[38:39]
; %bb.8912:                             ;   in Loop: Header=BB2_8591 Depth=3
	v_cmp_lt_i32_e32 vcc, -1, v10
	v_cndmask_b32_e32 v2, v7, v0, vcc
	v_cmp_eq_u32_e32 vcc, 0, v4
	v_cndmask_b32_e32 v3, v35, v2, vcc
; %bb.8913:                             ;   in Loop: Header=BB2_8591 Depth=3
	s_or_b64 exec, exec, s[38:39]
.LBB2_8914:                             ;   in Loop: Header=BB2_8591 Depth=3
	s_or_b64 exec, exec, s[42:43]
.LBB2_8915:                             ;   in Loop: Header=BB2_8591 Depth=3
	s_or_b64 exec, exec, s[40:41]
	v_mul_f32_e32 v2, v23, v3
	v_and_b32_e32 v3, 0x7f800000, v2
	v_mov_b32_e32 v4, v29
	v_cmp_ne_u64_e32 vcc, s[76:77], v[3:4]
	v_and_b32_e32 v28, 0x7fffff, v2
                                        ; implicit-def: $vgpr59
	s_and_saveexec_b64 s[40:41], vcc
	s_xor_b64 s[42:43], exec, s[40:41]
	s_cbranch_execz .LBB2_8929
; %bb.8916:                             ;   in Loop: Header=BB2_8591 Depth=3
	v_and_b32_e32 v3, 0x7fffffff, v2
	v_mov_b32_e32 v4, v29
	v_cmp_gt_u64_e32 vcc, s[78:79], v[3:4]
	v_and_b32_sdwa v8, v2, s96 dst_sel:DWORD dst_unused:UNUSED_PAD src0_sel:BYTE_3 src1_sel:DWORD
                                        ; implicit-def: $vgpr59
	s_and_saveexec_b64 s[40:41], vcc
	s_xor_b64 s[38:39], exec, s[40:41]
	s_cbranch_execz .LBB2_8926
; %bb.8917:                             ;   in Loop: Header=BB2_8591 Depth=3
	v_mov_b32_e32 v59, 0
	v_cmp_ne_u32_e32 vcc, 0, v2
	s_and_saveexec_b64 s[48:49], vcc
	s_cbranch_execz .LBB2_8925
; %bb.8918:                             ;   in Loop: Header=BB2_8591 Depth=3
	v_bfe_u32 v9, v2, 23, 8
	v_cmp_gt_u32_e64 s[40:41], s46, v9
	v_sub_u32_e32 v2, 0x71, v9
	v_cmp_eq_u32_e32 vcc, 0, v9
	v_cndmask_b32_e64 v2, 0, v2, s[40:41]
	v_mov_b32_e32 v4, 0x70
	v_cndmask_b32_e32 v17, v2, v4, vcc
	v_add_u32_e32 v4, 21, v17
	v_or_b32_e32 v3, 0x800000, v28
	v_lshlrev_b64 v[37:38], v4, -1
	v_cndmask_b32_e32 v2, v3, v28, vcc
	v_mov_b32_e32 v3, v29
	v_add_u32_e32 v4, 20, v17
	v_bfi_b32 v37, v37, 0, v2
	v_lshlrev_b64 v[55:56], v4, 1
	v_lshrrev_b64 v[2:3], v17, v[2:3]
	v_bfi_b32 v38, v38, 0, 0
	v_cmp_eq_u64_e64 s[40:41], v[37:38], v[55:56]
	v_mov_b32_e32 v4, v3
	v_mov_b32_e32 v3, v2
	s_and_saveexec_b64 s[50:51], s[40:41]
; %bb.8919:                             ;   in Loop: Header=BB2_8591 Depth=3
	v_bfe_u32 v3, v2, 21, 1
	v_add_co_u32_e64 v3, s[40:41], v2, v3
	v_add_co_u32_e64 v3, s[40:41], -1, v3
; %bb.8920:                             ;   in Loop: Header=BB2_8591 Depth=3
	s_or_b64 exec, exec, s[50:51]
	v_add_u32_e32 v4, 0xffffff81, v9
	v_cndmask_b32_e32 v4, v4, v1, vcc
	v_lshrrev_b32_e32 v9, 23, v2
	v_add3_u32 v17, v17, v4, v9
	v_add_u32_e32 v9, 14, v17
	v_and_b32_e32 v3, 0x1fffff, v3
	v_add_u32_e32 v28, v3, v2
	v_cmp_ne_u32_e32 vcc, 0, v9
                                        ; implicit-def: $vgpr2_vgpr3
                                        ; implicit-def: $vgpr4
	s_and_saveexec_b64 s[40:41], vcc
	s_xor_b64 s[40:41], exec, s[40:41]
; %bb.8921:                             ;   in Loop: Header=BB2_8591 Depth=3
	v_cmp_lt_u64_e32 vcc, s[88:89], v[28:29]
	v_add_u32_e32 v2, 15, v17
	v_cndmask_b32_e32 v4, v9, v2, vcc
	v_cndmask_b32_e64 v2, 0, 1, vcc
	v_lshrrev_b64 v[2:3], v2, v[28:29]
; %bb.8922:                             ;   in Loop: Header=BB2_8591 Depth=3
	s_andn2_saveexec_b64 s[40:41], s[40:41]
; %bb.8923:                             ;   in Loop: Header=BB2_8591 Depth=3
	v_mov_b32_e32 v2, v28
	v_mov_b32_e32 v3, v29
	v_bfe_u32 v4, v28, 23, 1
; %bb.8924:                             ;   in Loop: Header=BB2_8591 Depth=3
	s_or_b64 exec, exec, s[40:41]
	v_lshrrev_b64 v[2:3], 21, v[2:3]
	v_cmp_gt_i32_e32 vcc, 32, v4
	v_cndmask_b32_e32 v3, 0, v3, vcc
	v_cndmask_b32_e32 v2, 3, v2, vcc
	v_cmp_eq_u64_e64 s[40:41], 0, v[2:3]
	v_min_i32_e32 v3, 31, v4
	v_lshlrev_b32_e32 v3, 2, v3
	v_cmp_eq_u32_e32 vcc, 0, v4
	v_and_b32_e32 v3, 0xfc, v3
	v_and_or_b32 v2, v2, 3, v3
	s_and_b64 s[40:41], vcc, s[40:41]
	v_cndmask_b32_e64 v2, v2, 0, s[40:41]
	v_or_b32_e32 v59, v2, v8
.LBB2_8925:                             ;   in Loop: Header=BB2_8591 Depth=3
	s_or_b64 exec, exec, s[48:49]
                                        ; implicit-def: $vgpr8
.LBB2_8926:                             ;   in Loop: Header=BB2_8591 Depth=3
	s_andn2_saveexec_b64 s[40:41], s[38:39]
; %bb.8927:                             ;   in Loop: Header=BB2_8591 Depth=3
	v_or_b32_e32 v59, 0x7b, v8
; %bb.8928:                             ;   in Loop: Header=BB2_8591 Depth=3
	s_or_b64 exec, exec, s[40:41]
                                        ; implicit-def: $vgpr2
.LBB2_8929:                             ;   in Loop: Header=BB2_8591 Depth=3
	s_andn2_saveexec_b64 s[40:41], s[42:43]
	s_cbranch_execz .LBB2_8935
; %bb.8930:                             ;   in Loop: Header=BB2_8591 Depth=3
	v_cmp_ne_u64_e32 vcc, 0, v[28:29]
                                        ; implicit-def: $vgpr59
	s_and_saveexec_b64 s[42:43], vcc
	s_xor_b64 s[42:43], exec, s[42:43]
; %bb.8931:                             ;   in Loop: Header=BB2_8591 Depth=3
	v_or_b32_sdwa v59, v2, s47 dst_sel:DWORD dst_unused:UNUSED_PAD src0_sel:BYTE_3 src1_sel:DWORD
                                        ; implicit-def: $vgpr2
; %bb.8932:                             ;   in Loop: Header=BB2_8591 Depth=3
	s_andn2_saveexec_b64 s[42:43], s[42:43]
; %bb.8933:                             ;   in Loop: Header=BB2_8591 Depth=3
	v_cmp_lt_i32_e32 vcc, -1, v2
	v_cndmask_b32_e32 v59, v6, v22, vcc
; %bb.8934:                             ;   in Loop: Header=BB2_8591 Depth=3
	s_or_b64 exec, exec, s[42:43]
.LBB2_8935:                             ;   in Loop: Header=BB2_8591 Depth=3
	s_or_b64 exec, exec, s[40:41]
	v_mov_b32_e32 v28, v11
	v_cmp_ne_u16_sdwa s[42:43], v11, v29 src0_sel:BYTE_0 src1_sel:DWORD
	v_mov_b32_e32 v2, 0
	s_and_saveexec_b64 s[40:41], s[42:43]
	s_cbranch_execz .LBB2_8943
; %bb.8936:                             ;   in Loop: Header=BB2_8591 Depth=3
	v_cmp_ne_u16_sdwa vcc, v11, s96 src0_sel:BYTE_0 src1_sel:DWORD
	v_bfrev_b32_e32 v2, 1
	s_and_saveexec_b64 s[42:43], vcc
	s_cbranch_execz .LBB2_8942
; %bb.8937:                             ;   in Loop: Header=BB2_8591 Depth=3
	v_and_b32_e32 v2, 0x7c, v11
	v_and_b32_e32 v3, 3, v11
	v_cmp_ne_u32_e32 vcc, s85, v2
                                        ; implicit-def: $vgpr2
	s_and_saveexec_b64 s[38:39], vcc
	s_xor_b64 s[38:39], exec, s[38:39]
	s_cbranch_execz .LBB2_8939
; %bb.8938:                             ;   in Loop: Header=BB2_8591 Depth=3
	v_ffbh_u32_e32 v4, v3
	v_min_u32_e32 v4, 32, v4
	v_bfe_u32 v2, v11, 2, 5
	v_subrev_u32_e32 v8, 29, v4
	v_lshlrev_b64 v[8:9], v8, v[28:29]
	v_sub_u32_e32 v4, 30, v4
	v_cmp_eq_u32_e32 vcc, 0, v2
	v_cndmask_b32_e32 v2, v2, v4, vcc
	v_lshlrev_b32_e32 v4, 24, v11
	v_and_b32_e32 v8, 3, v8
	v_and_b32_e32 v4, 0x80000000, v4
	v_cndmask_b32_e32 v3, v3, v8, vcc
	v_lshl_add_u32 v2, v2, 23, v4
	v_lshl_or_b32 v2, v3, 21, v2
	v_add_u32_e32 v2, 0x38000000, v2
                                        ; implicit-def: $vgpr3
.LBB2_8939:                             ;   in Loop: Header=BB2_8591 Depth=3
	s_andn2_saveexec_b64 s[38:39], s[38:39]
; %bb.8940:                             ;   in Loop: Header=BB2_8591 Depth=3
	v_cmp_gt_i16_sdwa vcc, sext(v11), v48 src0_sel:BYTE_0 src1_sel:DWORD
	v_cndmask_b32_e32 v2, v7, v0, vcc
	v_cmp_eq_u32_e32 vcc, 0, v3
	v_cndmask_b32_e32 v2, v35, v2, vcc
; %bb.8941:                             ;   in Loop: Header=BB2_8591 Depth=3
	s_or_b64 exec, exec, s[38:39]
.LBB2_8942:                             ;   in Loop: Header=BB2_8591 Depth=3
	s_or_b64 exec, exec, s[42:43]
.LBB2_8943:                             ;   in Loop: Header=BB2_8591 Depth=3
	s_or_b64 exec, exec, s[40:41]
	v_mul_f32_e32 v4, v23, v2
	v_and_b32_e32 v8, 0x7f800000, v4
	v_mov_b32_e32 v9, v29
	v_cmp_ne_u64_e32 vcc, s[76:77], v[8:9]
	v_and_b32_e32 v2, 0x7fffff, v4
	v_mov_b32_e32 v3, v29
                                        ; implicit-def: $vgpr37
	s_and_saveexec_b64 s[40:41], vcc
	s_xor_b64 s[42:43], exec, s[40:41]
	s_cbranch_execz .LBB2_8957
; %bb.8944:                             ;   in Loop: Header=BB2_8591 Depth=3
	v_and_b32_e32 v8, 0x7fffffff, v4
	v_mov_b32_e32 v9, v29
	v_cmp_gt_u64_e32 vcc, s[78:79], v[8:9]
	v_and_b32_sdwa v8, v4, s96 dst_sel:DWORD dst_unused:UNUSED_PAD src0_sel:BYTE_3 src1_sel:DWORD
                                        ; implicit-def: $vgpr37
	s_and_saveexec_b64 s[40:41], vcc
	s_xor_b64 s[38:39], exec, s[40:41]
	s_cbranch_execz .LBB2_8954
; %bb.8945:                             ;   in Loop: Header=BB2_8591 Depth=3
	v_mov_b32_e32 v37, 0
	v_cmp_ne_u32_e32 vcc, 0, v4
	s_and_saveexec_b64 s[48:49], vcc
	s_cbranch_execz .LBB2_8953
; %bb.8946:                             ;   in Loop: Header=BB2_8591 Depth=3
	v_bfe_u32 v9, v4, 23, 8
	v_cmp_gt_u32_e64 s[40:41], s46, v9
	v_sub_u32_e32 v4, 0x71, v9
	v_cmp_eq_u32_e32 vcc, 0, v9
	v_cndmask_b32_e64 v4, 0, v4, s[40:41]
	v_mov_b32_e32 v17, 0x70
	v_cndmask_b32_e32 v17, v4, v17, vcc
	v_add_u32_e32 v4, 21, v17
	v_or_b32_e32 v16, 0x800000, v2
	v_lshlrev_b64 v[37:38], v4, -1
	v_cndmask_b32_e32 v2, v16, v2, vcc
	v_add_u32_e32 v4, 20, v17
	v_bfi_b32 v37, v37, 0, v2
	v_lshlrev_b64 v[55:56], v4, 1
	v_lshrrev_b64 v[2:3], v17, v[2:3]
	v_bfi_b32 v38, v38, 0, 0
	v_cmp_eq_u64_e64 s[40:41], v[37:38], v[55:56]
	v_mov_b32_e32 v4, v3
	v_mov_b32_e32 v3, v2
	s_and_saveexec_b64 s[50:51], s[40:41]
; %bb.8947:                             ;   in Loop: Header=BB2_8591 Depth=3
	v_bfe_u32 v3, v2, 21, 1
	v_add_co_u32_e64 v3, s[40:41], v2, v3
	v_add_co_u32_e64 v3, s[40:41], -1, v3
; %bb.8948:                             ;   in Loop: Header=BB2_8591 Depth=3
	s_or_b64 exec, exec, s[50:51]
	v_add_u32_e32 v4, 0xffffff81, v9
	v_cndmask_b32_e32 v4, v4, v1, vcc
	v_lshrrev_b32_e32 v9, 23, v2
	v_add3_u32 v17, v17, v4, v9
	v_add_u32_e32 v9, 14, v17
	v_and_b32_e32 v3, 0x1fffff, v3
	v_add_u32_e32 v2, v3, v2
	v_mov_b32_e32 v3, v29
	v_cmp_ne_u32_e32 vcc, 0, v9
                                        ; implicit-def: $vgpr4
	s_and_saveexec_b64 s[40:41], vcc
	s_xor_b64 s[40:41], exec, s[40:41]
; %bb.8949:                             ;   in Loop: Header=BB2_8591 Depth=3
	v_cmp_lt_u64_e32 vcc, s[88:89], v[2:3]
	v_add_u32_e32 v4, 15, v17
	v_cndmask_b32_e32 v4, v9, v4, vcc
	v_cndmask_b32_e64 v9, 0, 1, vcc
	v_lshrrev_b64 v[2:3], v9, v[2:3]
; %bb.8950:                             ;   in Loop: Header=BB2_8591 Depth=3
	s_andn2_saveexec_b64 s[40:41], s[40:41]
; %bb.8951:                             ;   in Loop: Header=BB2_8591 Depth=3
	v_bfe_u32 v4, v2, 23, 1
; %bb.8952:                             ;   in Loop: Header=BB2_8591 Depth=3
	s_or_b64 exec, exec, s[40:41]
	v_lshrrev_b64 v[2:3], 21, v[2:3]
	v_cmp_gt_i32_e32 vcc, 32, v4
	v_cndmask_b32_e32 v3, 0, v3, vcc
	v_cndmask_b32_e32 v2, 3, v2, vcc
	v_cmp_eq_u64_e64 s[40:41], 0, v[2:3]
	v_min_i32_e32 v3, 31, v4
	v_lshlrev_b32_e32 v3, 2, v3
	v_cmp_eq_u32_e32 vcc, 0, v4
	v_and_b32_e32 v3, 0xfc, v3
	v_and_or_b32 v2, v2, 3, v3
	s_and_b64 s[40:41], vcc, s[40:41]
	v_cndmask_b32_e64 v2, v2, 0, s[40:41]
	v_or_b32_e32 v37, v2, v8
.LBB2_8953:                             ;   in Loop: Header=BB2_8591 Depth=3
	s_or_b64 exec, exec, s[48:49]
                                        ; implicit-def: $vgpr8
.LBB2_8954:                             ;   in Loop: Header=BB2_8591 Depth=3
	s_andn2_saveexec_b64 s[40:41], s[38:39]
; %bb.8955:                             ;   in Loop: Header=BB2_8591 Depth=3
	v_or_b32_e32 v37, 0x7b, v8
; %bb.8956:                             ;   in Loop: Header=BB2_8591 Depth=3
	s_or_b64 exec, exec, s[40:41]
                                        ; implicit-def: $vgpr4
                                        ; implicit-def: $vgpr2_vgpr3
.LBB2_8957:                             ;   in Loop: Header=BB2_8591 Depth=3
	s_andn2_saveexec_b64 s[40:41], s[42:43]
	s_cbranch_execz .LBB2_8963
; %bb.8958:                             ;   in Loop: Header=BB2_8591 Depth=3
	v_cmp_ne_u64_e32 vcc, 0, v[2:3]
                                        ; implicit-def: $vgpr37
	s_and_saveexec_b64 s[42:43], vcc
	s_xor_b64 s[42:43], exec, s[42:43]
; %bb.8959:                             ;   in Loop: Header=BB2_8591 Depth=3
	v_or_b32_sdwa v37, v4, s47 dst_sel:DWORD dst_unused:UNUSED_PAD src0_sel:BYTE_3 src1_sel:DWORD
                                        ; implicit-def: $vgpr4
; %bb.8960:                             ;   in Loop: Header=BB2_8591 Depth=3
	s_andn2_saveexec_b64 s[42:43], s[42:43]
; %bb.8961:                             ;   in Loop: Header=BB2_8591 Depth=3
	v_cmp_lt_i32_e32 vcc, -1, v4
	v_cndmask_b32_e32 v37, v6, v22, vcc
; %bb.8962:                             ;   in Loop: Header=BB2_8591 Depth=3
	s_or_b64 exec, exec, s[42:43]
.LBB2_8963:                             ;   in Loop: Header=BB2_8591 Depth=3
	s_or_b64 exec, exec, s[40:41]
	v_lshrrev_b16_e32 v2, 8, v28
	v_cmp_ne_u16_e32 vcc, 0, v2
	v_mov_b32_e32 v3, 0
	s_and_saveexec_b64 s[40:41], vcc
	s_cbranch_execz .LBB2_8971
; %bb.8964:                             ;   in Loop: Header=BB2_8591 Depth=3
	v_cmp_ne_u16_e32 vcc, s96, v2
	v_bfrev_b32_e32 v3, 1
	s_and_saveexec_b64 s[42:43], vcc
	s_cbranch_execz .LBB2_8970
; %bb.8965:                             ;   in Loop: Header=BB2_8591 Depth=3
	v_and_b32_e32 v3, 0x7c, v2
	v_and_b32_e32 v4, 3, v2
	v_cmp_ne_u32_e32 vcc, s85, v3
                                        ; implicit-def: $vgpr3
	s_and_saveexec_b64 s[38:39], vcc
	s_xor_b64 s[38:39], exec, s[38:39]
	s_cbranch_execz .LBB2_8967
; %bb.8966:                             ;   in Loop: Header=BB2_8591 Depth=3
	v_ffbh_u32_e32 v9, v4
	v_min_u32_e32 v9, 32, v9
	v_mov_b32_e32 v3, v29
	v_subrev_u32_e32 v16, 29, v9
	v_bfe_u32 v8, v2, 2, 5
	v_lshlrev_b64 v[2:3], v16, v[2:3]
	v_cmp_eq_u32_e32 vcc, 0, v8
	v_and_b32_e32 v2, 3, v2
	v_sub_u32_e32 v3, 30, v9
	v_cndmask_b32_e32 v2, v4, v2, vcc
	v_lshlrev_b32_e32 v4, 16, v28
	v_cndmask_b32_e32 v3, v8, v3, vcc
	v_and_b32_e32 v4, 0x80000000, v4
	v_lshl_add_u32 v3, v3, 23, v4
	v_lshl_or_b32 v2, v2, 21, v3
	v_add_u32_e32 v3, 0x38000000, v2
                                        ; implicit-def: $vgpr4
.LBB2_8967:                             ;   in Loop: Header=BB2_8591 Depth=3
	s_andn2_saveexec_b64 s[38:39], s[38:39]
; %bb.8968:                             ;   in Loop: Header=BB2_8591 Depth=3
	v_cmp_lt_i16_e32 vcc, -1, v28
	v_cndmask_b32_e32 v2, v7, v0, vcc
	v_cmp_eq_u32_e32 vcc, 0, v4
	v_cndmask_b32_e32 v3, v35, v2, vcc
; %bb.8969:                             ;   in Loop: Header=BB2_8591 Depth=3
	s_or_b64 exec, exec, s[38:39]
.LBB2_8970:                             ;   in Loop: Header=BB2_8591 Depth=3
	s_or_b64 exec, exec, s[42:43]
.LBB2_8971:                             ;   in Loop: Header=BB2_8591 Depth=3
	s_or_b64 exec, exec, s[40:41]
	v_mul_f32_e32 v2, v23, v3
	v_and_b32_e32 v3, 0x7f800000, v2
	v_mov_b32_e32 v4, v29
	v_cmp_ne_u64_e32 vcc, s[76:77], v[3:4]
	v_and_b32_e32 v28, 0x7fffff, v2
                                        ; implicit-def: $vgpr53
	s_and_saveexec_b64 s[40:41], vcc
	s_xor_b64 s[42:43], exec, s[40:41]
	s_cbranch_execz .LBB2_8985
; %bb.8972:                             ;   in Loop: Header=BB2_8591 Depth=3
	v_and_b32_e32 v3, 0x7fffffff, v2
	v_mov_b32_e32 v4, v29
	v_cmp_gt_u64_e32 vcc, s[78:79], v[3:4]
	v_and_b32_sdwa v8, v2, s96 dst_sel:DWORD dst_unused:UNUSED_PAD src0_sel:BYTE_3 src1_sel:DWORD
                                        ; implicit-def: $vgpr53
	s_and_saveexec_b64 s[40:41], vcc
	s_xor_b64 s[38:39], exec, s[40:41]
	s_cbranch_execz .LBB2_8982
; %bb.8973:                             ;   in Loop: Header=BB2_8591 Depth=3
	v_mov_b32_e32 v53, 0
	v_cmp_ne_u32_e32 vcc, 0, v2
	s_and_saveexec_b64 s[48:49], vcc
	s_cbranch_execz .LBB2_8981
; %bb.8974:                             ;   in Loop: Header=BB2_8591 Depth=3
	v_bfe_u32 v9, v2, 23, 8
	v_cmp_gt_u32_e64 s[40:41], s46, v9
	v_sub_u32_e32 v2, 0x71, v9
	v_cmp_eq_u32_e32 vcc, 0, v9
	v_cndmask_b32_e64 v2, 0, v2, s[40:41]
	v_mov_b32_e32 v4, 0x70
	v_cndmask_b32_e32 v17, v2, v4, vcc
	v_add_u32_e32 v4, 21, v17
	v_or_b32_e32 v3, 0x800000, v28
	v_lshlrev_b64 v[38:39], v4, -1
	v_cndmask_b32_e32 v2, v3, v28, vcc
	v_mov_b32_e32 v3, v29
	v_add_u32_e32 v4, 20, v17
	v_bfi_b32 v38, v38, 0, v2
	v_lshlrev_b64 v[55:56], v4, 1
	v_lshrrev_b64 v[2:3], v17, v[2:3]
	v_bfi_b32 v39, v39, 0, 0
	v_cmp_eq_u64_e64 s[40:41], v[38:39], v[55:56]
	v_mov_b32_e32 v4, v3
	v_mov_b32_e32 v3, v2
	s_and_saveexec_b64 s[50:51], s[40:41]
; %bb.8975:                             ;   in Loop: Header=BB2_8591 Depth=3
	v_bfe_u32 v3, v2, 21, 1
	v_add_co_u32_e64 v3, s[40:41], v2, v3
	v_add_co_u32_e64 v3, s[40:41], -1, v3
; %bb.8976:                             ;   in Loop: Header=BB2_8591 Depth=3
	s_or_b64 exec, exec, s[50:51]
	v_add_u32_e32 v4, 0xffffff81, v9
	v_cndmask_b32_e32 v4, v4, v1, vcc
	v_lshrrev_b32_e32 v9, 23, v2
	v_add3_u32 v17, v17, v4, v9
	v_add_u32_e32 v9, 14, v17
	v_and_b32_e32 v3, 0x1fffff, v3
	v_add_u32_e32 v28, v3, v2
	v_cmp_ne_u32_e32 vcc, 0, v9
                                        ; implicit-def: $vgpr2_vgpr3
                                        ; implicit-def: $vgpr4
	s_and_saveexec_b64 s[40:41], vcc
	s_xor_b64 s[40:41], exec, s[40:41]
; %bb.8977:                             ;   in Loop: Header=BB2_8591 Depth=3
	v_cmp_lt_u64_e32 vcc, s[88:89], v[28:29]
	v_add_u32_e32 v2, 15, v17
	v_cndmask_b32_e32 v4, v9, v2, vcc
	v_cndmask_b32_e64 v2, 0, 1, vcc
	v_lshrrev_b64 v[2:3], v2, v[28:29]
; %bb.8978:                             ;   in Loop: Header=BB2_8591 Depth=3
	s_andn2_saveexec_b64 s[40:41], s[40:41]
; %bb.8979:                             ;   in Loop: Header=BB2_8591 Depth=3
	v_mov_b32_e32 v2, v28
	v_mov_b32_e32 v3, v29
	v_bfe_u32 v4, v28, 23, 1
; %bb.8980:                             ;   in Loop: Header=BB2_8591 Depth=3
	s_or_b64 exec, exec, s[40:41]
	v_lshrrev_b64 v[2:3], 21, v[2:3]
	v_cmp_gt_i32_e32 vcc, 32, v4
	v_cndmask_b32_e32 v3, 0, v3, vcc
	v_cndmask_b32_e32 v2, 3, v2, vcc
	v_cmp_eq_u64_e64 s[40:41], 0, v[2:3]
	v_min_i32_e32 v3, 31, v4
	v_lshlrev_b32_e32 v3, 2, v3
	v_cmp_eq_u32_e32 vcc, 0, v4
	v_and_b32_e32 v3, 0xfc, v3
	v_and_or_b32 v2, v2, 3, v3
	s_and_b64 s[40:41], vcc, s[40:41]
	v_cndmask_b32_e64 v2, v2, 0, s[40:41]
	v_or_b32_e32 v53, v2, v8
.LBB2_8981:                             ;   in Loop: Header=BB2_8591 Depth=3
	s_or_b64 exec, exec, s[48:49]
                                        ; implicit-def: $vgpr8
.LBB2_8982:                             ;   in Loop: Header=BB2_8591 Depth=3
	s_andn2_saveexec_b64 s[40:41], s[38:39]
; %bb.8983:                             ;   in Loop: Header=BB2_8591 Depth=3
	v_or_b32_e32 v53, 0x7b, v8
; %bb.8984:                             ;   in Loop: Header=BB2_8591 Depth=3
	s_or_b64 exec, exec, s[40:41]
                                        ; implicit-def: $vgpr2
.LBB2_8985:                             ;   in Loop: Header=BB2_8591 Depth=3
	s_andn2_saveexec_b64 s[40:41], s[42:43]
	s_cbranch_execz .LBB2_8991
; %bb.8986:                             ;   in Loop: Header=BB2_8591 Depth=3
	v_cmp_ne_u64_e32 vcc, 0, v[28:29]
                                        ; implicit-def: $vgpr53
	s_and_saveexec_b64 s[42:43], vcc
	s_xor_b64 s[42:43], exec, s[42:43]
; %bb.8987:                             ;   in Loop: Header=BB2_8591 Depth=3
	v_or_b32_sdwa v53, v2, s47 dst_sel:DWORD dst_unused:UNUSED_PAD src0_sel:BYTE_3 src1_sel:DWORD
                                        ; implicit-def: $vgpr2
; %bb.8988:                             ;   in Loop: Header=BB2_8591 Depth=3
	s_andn2_saveexec_b64 s[42:43], s[42:43]
; %bb.8989:                             ;   in Loop: Header=BB2_8591 Depth=3
	v_cmp_lt_i32_e32 vcc, -1, v2
	v_cndmask_b32_e32 v53, v6, v22, vcc
; %bb.8990:                             ;   in Loop: Header=BB2_8591 Depth=3
	s_or_b64 exec, exec, s[42:43]
.LBB2_8991:                             ;   in Loop: Header=BB2_8591 Depth=3
	s_or_b64 exec, exec, s[40:41]
	v_lshrrev_b32_e32 v2, 16, v11
	v_cmp_ne_u16_sdwa s[42:43], v2, v29 src0_sel:BYTE_0 src1_sel:DWORD
	v_mov_b32_e32 v3, 0
	s_and_saveexec_b64 s[40:41], s[42:43]
	s_cbranch_execz .LBB2_8999
; %bb.8992:                             ;   in Loop: Header=BB2_8591 Depth=3
	v_cmp_ne_u16_sdwa vcc, v2, s96 src0_sel:BYTE_0 src1_sel:DWORD
	v_bfrev_b32_e32 v3, 1
	s_and_saveexec_b64 s[42:43], vcc
	s_cbranch_execz .LBB2_8998
; %bb.8993:                             ;   in Loop: Header=BB2_8591 Depth=3
	v_and_b32_e32 v3, 0x7c0000, v11
	v_bfe_u32 v4, v11, 16, 2
	v_cmp_ne_u32_e32 vcc, s44, v3
                                        ; implicit-def: $vgpr3
	s_and_saveexec_b64 s[38:39], vcc
	s_xor_b64 s[38:39], exec, s[38:39]
	s_cbranch_execz .LBB2_8995
; %bb.8994:                             ;   in Loop: Header=BB2_8591 Depth=3
	v_ffbh_u32_e32 v3, v4
	v_min_u32_e32 v9, 32, v3
	v_subrev_u32_e32 v3, 29, v9
	v_lshlrev_b64 v[2:3], v3, v[2:3]
	v_bfe_u32 v8, v11, 18, 5
	v_and_b32_e32 v2, 3, v2
	v_cmp_eq_u32_e32 vcc, 0, v8
	v_sub_u32_e32 v3, 30, v9
	v_cndmask_b32_e32 v2, v4, v2, vcc
	v_lshlrev_b32_e32 v4, 8, v11
	v_cndmask_b32_e32 v3, v8, v3, vcc
	v_and_b32_e32 v4, 0x80000000, v4
	v_lshl_add_u32 v3, v3, 23, v4
	v_lshl_or_b32 v2, v2, 21, v3
	v_add_u32_e32 v3, 0x38000000, v2
                                        ; implicit-def: $vgpr4
                                        ; implicit-def: $vgpr2
.LBB2_8995:                             ;   in Loop: Header=BB2_8591 Depth=3
	s_andn2_saveexec_b64 s[38:39], s[38:39]
; %bb.8996:                             ;   in Loop: Header=BB2_8591 Depth=3
	v_cmp_gt_i16_sdwa vcc, sext(v2), v48 src0_sel:BYTE_0 src1_sel:DWORD
	v_cndmask_b32_e32 v2, v7, v0, vcc
	v_cmp_eq_u32_e32 vcc, 0, v4
	v_cndmask_b32_e32 v3, v35, v2, vcc
; %bb.8997:                             ;   in Loop: Header=BB2_8591 Depth=3
	s_or_b64 exec, exec, s[38:39]
.LBB2_8998:                             ;   in Loop: Header=BB2_8591 Depth=3
	s_or_b64 exec, exec, s[42:43]
.LBB2_8999:                             ;   in Loop: Header=BB2_8591 Depth=3
	s_or_b64 exec, exec, s[40:41]
	v_mul_f32_e32 v2, v23, v3
	v_and_b32_e32 v3, 0x7f800000, v2
	v_mov_b32_e32 v4, v29
	v_cmp_ne_u64_e32 vcc, s[76:77], v[3:4]
	v_and_b32_e32 v28, 0x7fffff, v2
                                        ; implicit-def: $vgpr46
	s_and_saveexec_b64 s[40:41], vcc
	s_xor_b64 s[42:43], exec, s[40:41]
	s_cbranch_execz .LBB2_9013
; %bb.9000:                             ;   in Loop: Header=BB2_8591 Depth=3
	v_and_b32_e32 v3, 0x7fffffff, v2
	v_mov_b32_e32 v4, v29
	v_cmp_gt_u64_e32 vcc, s[78:79], v[3:4]
	v_and_b32_sdwa v8, v2, s96 dst_sel:DWORD dst_unused:UNUSED_PAD src0_sel:BYTE_3 src1_sel:DWORD
                                        ; implicit-def: $vgpr46
	s_and_saveexec_b64 s[40:41], vcc
	s_xor_b64 s[38:39], exec, s[40:41]
	s_cbranch_execz .LBB2_9010
; %bb.9001:                             ;   in Loop: Header=BB2_8591 Depth=3
	v_mov_b32_e32 v46, 0
	v_cmp_ne_u32_e32 vcc, 0, v2
	s_and_saveexec_b64 s[48:49], vcc
	s_cbranch_execz .LBB2_9009
; %bb.9002:                             ;   in Loop: Header=BB2_8591 Depth=3
	v_bfe_u32 v9, v2, 23, 8
	v_cmp_gt_u32_e64 s[40:41], s46, v9
	v_sub_u32_e32 v2, 0x71, v9
	v_cmp_eq_u32_e32 vcc, 0, v9
	v_cndmask_b32_e64 v2, 0, v2, s[40:41]
	v_mov_b32_e32 v4, 0x70
	v_cndmask_b32_e32 v17, v2, v4, vcc
	v_add_u32_e32 v4, 21, v17
	v_or_b32_e32 v3, 0x800000, v28
	v_lshlrev_b64 v[38:39], v4, -1
	v_cndmask_b32_e32 v2, v3, v28, vcc
	v_mov_b32_e32 v3, v29
	v_add_u32_e32 v4, 20, v17
	v_bfi_b32 v38, v38, 0, v2
	v_lshlrev_b64 v[55:56], v4, 1
	v_lshrrev_b64 v[2:3], v17, v[2:3]
	v_bfi_b32 v39, v39, 0, 0
	v_cmp_eq_u64_e64 s[40:41], v[38:39], v[55:56]
	v_mov_b32_e32 v4, v3
	v_mov_b32_e32 v3, v2
	s_and_saveexec_b64 s[50:51], s[40:41]
; %bb.9003:                             ;   in Loop: Header=BB2_8591 Depth=3
	v_bfe_u32 v3, v2, 21, 1
	v_add_co_u32_e64 v3, s[40:41], v2, v3
	v_add_co_u32_e64 v3, s[40:41], -1, v3
; %bb.9004:                             ;   in Loop: Header=BB2_8591 Depth=3
	s_or_b64 exec, exec, s[50:51]
	v_add_u32_e32 v4, 0xffffff81, v9
	v_cndmask_b32_e32 v4, v4, v1, vcc
	v_lshrrev_b32_e32 v9, 23, v2
	v_add3_u32 v17, v17, v4, v9
	v_add_u32_e32 v9, 14, v17
	v_and_b32_e32 v3, 0x1fffff, v3
	v_add_u32_e32 v28, v3, v2
	v_cmp_ne_u32_e32 vcc, 0, v9
                                        ; implicit-def: $vgpr2_vgpr3
                                        ; implicit-def: $vgpr4
	s_and_saveexec_b64 s[40:41], vcc
	s_xor_b64 s[40:41], exec, s[40:41]
; %bb.9005:                             ;   in Loop: Header=BB2_8591 Depth=3
	v_cmp_lt_u64_e32 vcc, s[88:89], v[28:29]
	v_add_u32_e32 v2, 15, v17
	v_cndmask_b32_e32 v4, v9, v2, vcc
	v_cndmask_b32_e64 v2, 0, 1, vcc
	v_lshrrev_b64 v[2:3], v2, v[28:29]
; %bb.9006:                             ;   in Loop: Header=BB2_8591 Depth=3
	s_andn2_saveexec_b64 s[40:41], s[40:41]
; %bb.9007:                             ;   in Loop: Header=BB2_8591 Depth=3
	v_mov_b32_e32 v2, v28
	v_mov_b32_e32 v3, v29
	v_bfe_u32 v4, v28, 23, 1
; %bb.9008:                             ;   in Loop: Header=BB2_8591 Depth=3
	s_or_b64 exec, exec, s[40:41]
	v_lshrrev_b64 v[2:3], 21, v[2:3]
	v_cmp_gt_i32_e32 vcc, 32, v4
	v_cndmask_b32_e32 v3, 0, v3, vcc
	v_cndmask_b32_e32 v2, 3, v2, vcc
	v_cmp_eq_u64_e64 s[40:41], 0, v[2:3]
	v_min_i32_e32 v3, 31, v4
	v_lshlrev_b32_e32 v3, 2, v3
	v_cmp_eq_u32_e32 vcc, 0, v4
	v_and_b32_e32 v3, 0xfc, v3
	v_and_or_b32 v2, v2, 3, v3
	s_and_b64 s[40:41], vcc, s[40:41]
	v_cndmask_b32_e64 v2, v2, 0, s[40:41]
	v_or_b32_e32 v46, v2, v8
.LBB2_9009:                             ;   in Loop: Header=BB2_8591 Depth=3
	s_or_b64 exec, exec, s[48:49]
                                        ; implicit-def: $vgpr8
.LBB2_9010:                             ;   in Loop: Header=BB2_8591 Depth=3
	s_andn2_saveexec_b64 s[40:41], s[38:39]
; %bb.9011:                             ;   in Loop: Header=BB2_8591 Depth=3
	v_or_b32_e32 v46, 0x7b, v8
; %bb.9012:                             ;   in Loop: Header=BB2_8591 Depth=3
	s_or_b64 exec, exec, s[40:41]
                                        ; implicit-def: $vgpr2
.LBB2_9013:                             ;   in Loop: Header=BB2_8591 Depth=3
	s_andn2_saveexec_b64 s[40:41], s[42:43]
	s_cbranch_execz .LBB2_9019
; %bb.9014:                             ;   in Loop: Header=BB2_8591 Depth=3
	v_cmp_ne_u64_e32 vcc, 0, v[28:29]
                                        ; implicit-def: $vgpr46
	s_and_saveexec_b64 s[42:43], vcc
	s_xor_b64 s[42:43], exec, s[42:43]
; %bb.9015:                             ;   in Loop: Header=BB2_8591 Depth=3
	v_or_b32_sdwa v46, v2, s47 dst_sel:DWORD dst_unused:UNUSED_PAD src0_sel:BYTE_3 src1_sel:DWORD
                                        ; implicit-def: $vgpr2
; %bb.9016:                             ;   in Loop: Header=BB2_8591 Depth=3
	s_andn2_saveexec_b64 s[42:43], s[42:43]
; %bb.9017:                             ;   in Loop: Header=BB2_8591 Depth=3
	v_cmp_lt_i32_e32 vcc, -1, v2
	v_cndmask_b32_e32 v46, v6, v22, vcc
; %bb.9018:                             ;   in Loop: Header=BB2_8591 Depth=3
	s_or_b64 exec, exec, s[42:43]
.LBB2_9019:                             ;   in Loop: Header=BB2_8591 Depth=3
	s_or_b64 exec, exec, s[40:41]
	v_cmp_lt_u64_e32 vcc, s[56:57], v[10:11]
	v_mov_b32_e32 v3, 0
	s_and_saveexec_b64 s[40:41], vcc
	s_cbranch_execz .LBB2_9027
; %bb.9020:                             ;   in Loop: Header=BB2_8591 Depth=3
	v_lshrrev_b32_e32 v2, 24, v11
	v_cmp_ne_u32_e32 vcc, s96, v2
	v_bfrev_b32_e32 v3, 1
	s_and_saveexec_b64 s[42:43], vcc
	s_cbranch_execz .LBB2_9026
; %bb.9021:                             ;   in Loop: Header=BB2_8591 Depth=3
	v_and_b32_e32 v3, 0x7c000000, v11
	v_bfe_u32 v4, v11, 24, 2
	v_cmp_ne_u32_e32 vcc, s45, v3
                                        ; implicit-def: $vgpr3
	s_and_saveexec_b64 s[38:39], vcc
	s_xor_b64 s[38:39], exec, s[38:39]
	s_cbranch_execz .LBB2_9023
; %bb.9022:                             ;   in Loop: Header=BB2_8591 Depth=3
	v_ffbh_u32_e32 v3, v4
	v_min_u32_e32 v9, 32, v3
	v_subrev_u32_e32 v3, 29, v9
	v_lshlrev_b64 v[2:3], v3, v[2:3]
	v_bfe_u32 v8, v11, 26, 5
	v_sub_u32_e32 v3, 30, v9
	v_and_b32_e32 v2, 3, v2
	v_cmp_eq_u32_e32 vcc, 0, v8
	v_cndmask_b32_e32 v3, v8, v3, vcc
	v_cndmask_b32_e32 v2, v4, v2, vcc
	v_and_b32_e32 v4, 0x80000000, v11
	v_lshl_add_u32 v3, v3, 23, v4
	v_lshl_or_b32 v2, v2, 21, v3
	v_add_u32_e32 v3, 0x38000000, v2
                                        ; implicit-def: $vgpr4
                                        ; implicit-def: $vgpr10_vgpr11
.LBB2_9023:                             ;   in Loop: Header=BB2_8591 Depth=3
	s_andn2_saveexec_b64 s[38:39], s[38:39]
; %bb.9024:                             ;   in Loop: Header=BB2_8591 Depth=3
	v_cmp_lt_i64_e32 vcc, -1, v[10:11]
	v_cndmask_b32_e32 v2, v7, v0, vcc
	v_cmp_eq_u32_e32 vcc, 0, v4
	v_cndmask_b32_e32 v3, v35, v2, vcc
; %bb.9025:                             ;   in Loop: Header=BB2_8591 Depth=3
	s_or_b64 exec, exec, s[38:39]
.LBB2_9026:                             ;   in Loop: Header=BB2_8591 Depth=3
	s_or_b64 exec, exec, s[42:43]
.LBB2_9027:                             ;   in Loop: Header=BB2_8591 Depth=3
	s_or_b64 exec, exec, s[40:41]
	v_mul_f32_e32 v2, v23, v3
	v_and_b32_e32 v3, 0x7f800000, v2
	v_mov_b32_e32 v4, v29
	v_cmp_ne_u64_e32 vcc, s[76:77], v[3:4]
	v_and_b32_e32 v28, 0x7fffff, v2
                                        ; implicit-def: $vgpr56
	s_and_saveexec_b64 s[40:41], vcc
	s_xor_b64 s[42:43], exec, s[40:41]
	s_cbranch_execz .LBB2_9041
; %bb.9028:                             ;   in Loop: Header=BB2_8591 Depth=3
	v_and_b32_e32 v3, 0x7fffffff, v2
	v_mov_b32_e32 v4, v29
	v_cmp_gt_u64_e32 vcc, s[78:79], v[3:4]
	v_and_b32_sdwa v8, v2, s96 dst_sel:DWORD dst_unused:UNUSED_PAD src0_sel:BYTE_3 src1_sel:DWORD
                                        ; implicit-def: $vgpr56
	s_and_saveexec_b64 s[40:41], vcc
	s_xor_b64 s[38:39], exec, s[40:41]
	s_cbranch_execz .LBB2_9038
; %bb.9029:                             ;   in Loop: Header=BB2_8591 Depth=3
	v_mov_b32_e32 v56, 0
	v_cmp_ne_u32_e32 vcc, 0, v2
	s_and_saveexec_b64 s[48:49], vcc
	s_cbranch_execz .LBB2_9037
; %bb.9030:                             ;   in Loop: Header=BB2_8591 Depth=3
	v_bfe_u32 v9, v2, 23, 8
	v_cmp_gt_u32_e64 s[40:41], s46, v9
	v_sub_u32_e32 v2, 0x71, v9
	v_cmp_eq_u32_e32 vcc, 0, v9
	v_cndmask_b32_e64 v2, 0, v2, s[40:41]
	v_mov_b32_e32 v4, 0x70
	v_cndmask_b32_e32 v10, v2, v4, vcc
	v_add_u32_e32 v4, 21, v10
	v_or_b32_e32 v3, 0x800000, v28
	v_lshlrev_b64 v[16:17], v4, -1
	v_cndmask_b32_e32 v2, v3, v28, vcc
	v_mov_b32_e32 v3, v29
	v_add_u32_e32 v4, 20, v10
	v_bfi_b32 v16, v16, 0, v2
	v_lshlrev_b64 v[38:39], v4, 1
	v_lshrrev_b64 v[2:3], v10, v[2:3]
	v_bfi_b32 v17, v17, 0, 0
	v_cmp_eq_u64_e64 s[40:41], v[16:17], v[38:39]
	v_mov_b32_e32 v4, v3
	v_mov_b32_e32 v3, v2
	s_and_saveexec_b64 s[50:51], s[40:41]
; %bb.9031:                             ;   in Loop: Header=BB2_8591 Depth=3
	v_bfe_u32 v3, v2, 21, 1
	v_add_co_u32_e64 v3, s[40:41], v2, v3
	v_add_co_u32_e64 v3, s[40:41], -1, v3
; %bb.9032:                             ;   in Loop: Header=BB2_8591 Depth=3
	s_or_b64 exec, exec, s[50:51]
	v_add_u32_e32 v4, 0xffffff81, v9
	v_cndmask_b32_e32 v4, v4, v1, vcc
	v_lshrrev_b32_e32 v9, 23, v2
	v_add3_u32 v10, v10, v4, v9
	v_add_u32_e32 v9, 14, v10
	v_and_b32_e32 v3, 0x1fffff, v3
	v_add_u32_e32 v28, v3, v2
	v_cmp_ne_u32_e32 vcc, 0, v9
                                        ; implicit-def: $vgpr2_vgpr3
                                        ; implicit-def: $vgpr4
	s_and_saveexec_b64 s[40:41], vcc
	s_xor_b64 s[40:41], exec, s[40:41]
; %bb.9033:                             ;   in Loop: Header=BB2_8591 Depth=3
	v_cmp_lt_u64_e32 vcc, s[88:89], v[28:29]
	v_add_u32_e32 v2, 15, v10
	v_cndmask_b32_e32 v4, v9, v2, vcc
	v_cndmask_b32_e64 v2, 0, 1, vcc
	v_lshrrev_b64 v[2:3], v2, v[28:29]
; %bb.9034:                             ;   in Loop: Header=BB2_8591 Depth=3
	s_andn2_saveexec_b64 s[40:41], s[40:41]
; %bb.9035:                             ;   in Loop: Header=BB2_8591 Depth=3
	v_mov_b32_e32 v2, v28
	v_mov_b32_e32 v3, v29
	v_bfe_u32 v4, v28, 23, 1
; %bb.9036:                             ;   in Loop: Header=BB2_8591 Depth=3
	s_or_b64 exec, exec, s[40:41]
	v_lshrrev_b64 v[2:3], 21, v[2:3]
	v_cmp_gt_i32_e32 vcc, 32, v4
	v_cndmask_b32_e32 v3, 0, v3, vcc
	v_cndmask_b32_e32 v2, 3, v2, vcc
	v_cmp_eq_u64_e64 s[40:41], 0, v[2:3]
	v_min_i32_e32 v3, 31, v4
	v_lshlrev_b32_e32 v3, 2, v3
	v_cmp_eq_u32_e32 vcc, 0, v4
	v_and_b32_e32 v3, 0xfc, v3
	v_and_or_b32 v2, v2, 3, v3
	s_and_b64 s[40:41], vcc, s[40:41]
	v_cndmask_b32_e64 v2, v2, 0, s[40:41]
	v_or_b32_e32 v56, v2, v8
.LBB2_9037:                             ;   in Loop: Header=BB2_8591 Depth=3
	s_or_b64 exec, exec, s[48:49]
                                        ; implicit-def: $vgpr8
.LBB2_9038:                             ;   in Loop: Header=BB2_8591 Depth=3
	s_andn2_saveexec_b64 s[40:41], s[38:39]
; %bb.9039:                             ;   in Loop: Header=BB2_8591 Depth=3
	v_or_b32_e32 v56, 0x7b, v8
; %bb.9040:                             ;   in Loop: Header=BB2_8591 Depth=3
	s_or_b64 exec, exec, s[40:41]
                                        ; implicit-def: $vgpr2
.LBB2_9041:                             ;   in Loop: Header=BB2_8591 Depth=3
	s_andn2_saveexec_b64 s[40:41], s[42:43]
	s_cbranch_execz .LBB2_9047
; %bb.9042:                             ;   in Loop: Header=BB2_8591 Depth=3
	v_cmp_ne_u64_e32 vcc, 0, v[28:29]
                                        ; implicit-def: $vgpr56
	s_and_saveexec_b64 s[42:43], vcc
	s_xor_b64 s[42:43], exec, s[42:43]
; %bb.9043:                             ;   in Loop: Header=BB2_8591 Depth=3
	v_or_b32_sdwa v56, v2, s47 dst_sel:DWORD dst_unused:UNUSED_PAD src0_sel:BYTE_3 src1_sel:DWORD
                                        ; implicit-def: $vgpr2
; %bb.9044:                             ;   in Loop: Header=BB2_8591 Depth=3
	s_andn2_saveexec_b64 s[42:43], s[42:43]
; %bb.9045:                             ;   in Loop: Header=BB2_8591 Depth=3
	v_cmp_lt_i32_e32 vcc, -1, v2
	v_cndmask_b32_e32 v56, v6, v22, vcc
; %bb.9046:                             ;   in Loop: Header=BB2_8591 Depth=3
	s_or_b64 exec, exec, s[42:43]
.LBB2_9047:                             ;   in Loop: Header=BB2_8591 Depth=3
	s_or_b64 exec, exec, s[40:41]
	global_load_dwordx4 v[8:11], v[42:43], off glc slc
	v_lshl_or_b32 v51, v51, 8, v14
	v_lshlrev_b32_e32 v2, 16, v54
	v_lshlrev_b32_e32 v3, 24, v57
	v_or3_b32 v28, v2, v3, v51
	v_cmp_ne_u32_e32 vcc, 0, v14
	v_mov_b32_e32 v2, 0
	s_and_saveexec_b64 s[42:43], vcc
	s_cbranch_execz .LBB2_9055
; %bb.9048:                             ;   in Loop: Header=BB2_8591 Depth=3
	v_cmp_ne_u32_e32 vcc, s96, v14
	v_bfrev_b32_e32 v2, 1
	s_and_saveexec_b64 s[38:39], vcc
	s_cbranch_execz .LBB2_9054
; %bb.9049:                             ;   in Loop: Header=BB2_8591 Depth=3
	v_and_b32_e32 v2, 0x7c, v14
	v_and_b32_e32 v3, 3, v14
	v_cmp_ne_u32_e32 vcc, s85, v2
                                        ; implicit-def: $vgpr2
	s_and_saveexec_b64 s[40:41], vcc
	s_xor_b64 s[40:41], exec, s[40:41]
	s_cbranch_execz .LBB2_9051
; %bb.9050:                             ;   in Loop: Header=BB2_8591 Depth=3
	v_ffbh_u32_e32 v4, v3
	v_min_u32_e32 v4, 32, v4
	v_bfe_u32 v2, v14, 2, 5
	v_subrev_u32_e32 v16, 29, v4
	v_lshlrev_b64 v[16:17], v16, v[28:29]
	v_sub_u32_e32 v4, 30, v4
	v_cmp_eq_u32_e32 vcc, 0, v2
	v_cndmask_b32_e32 v2, v2, v4, vcc
	v_lshlrev_b32_e32 v4, 24, v14
	v_and_b32_e32 v16, 3, v16
	v_and_b32_e32 v4, 0x80000000, v4
	v_cndmask_b32_e32 v3, v3, v16, vcc
	v_lshl_add_u32 v2, v2, 23, v4
	v_lshl_or_b32 v2, v3, 21, v2
	v_add_u32_e32 v2, 0x38000000, v2
                                        ; implicit-def: $vgpr3
                                        ; implicit-def: $vgpr14
.LBB2_9051:                             ;   in Loop: Header=BB2_8591 Depth=3
	s_andn2_saveexec_b64 s[48:49], s[40:41]
; %bb.9052:                             ;   in Loop: Header=BB2_8591 Depth=3
	v_and_b32_e32 v2, 0x80, v14
	v_cmp_eq_u32_e64 s[40:41], 0, v2
	v_cmp_eq_u32_e32 vcc, 0, v3
	v_cndmask_b32_e64 v2, v7, v0, s[40:41]
	v_cndmask_b32_e32 v2, v35, v2, vcc
; %bb.9053:                             ;   in Loop: Header=BB2_8591 Depth=3
	s_or_b64 exec, exec, s[48:49]
.LBB2_9054:                             ;   in Loop: Header=BB2_8591 Depth=3
	s_or_b64 exec, exec, s[38:39]
.LBB2_9055:                             ;   in Loop: Header=BB2_8591 Depth=3
	s_or_b64 exec, exec, s[42:43]
	s_waitcnt vmcnt(0)
	v_cmp_gt_i16_sdwa s[42:43], v8, s47 src0_sel:BYTE_0 src1_sel:DWORD
	s_mov_b64 s[40:41], 0
	s_and_saveexec_b64 vcc, s[42:43]
	s_xor_b64 s[42:43], exec, vcc
	s_cbranch_execz .LBB2_9570
; %bb.9056:                             ;   in Loop: Header=BB2_8591 Depth=3
	v_cmp_eq_u16_sdwa s[38:39], v8, s96 src0_sel:BYTE_0 src1_sel:DWORD
	s_mov_b64 s[40:41], -1
	s_and_saveexec_b64 vcc, s[38:39]
; %bb.9057:                             ;   in Loop: Header=BB2_8591 Depth=3
	s_xor_b64 s[40:41], exec, -1
; %bb.9058:                             ;   in Loop: Header=BB2_8591 Depth=3
	s_or_b64 exec, exec, vcc
	s_and_b64 s[40:41], s[40:41], exec
	s_or_saveexec_b64 s[42:43], s[42:43]
	v_bfrev_b32_e32 v3, 1
	s_xor_b64 exec, exec, s[42:43]
	s_cbranch_execnz .LBB2_9571
.LBB2_9059:                             ;   in Loop: Header=BB2_8591 Depth=3
	s_or_b64 exec, exec, s[42:43]
	s_and_saveexec_b64 s[38:39], s[40:41]
	s_cbranch_execz .LBB2_9061
.LBB2_9060:                             ;   in Loop: Header=BB2_8591 Depth=3
	v_and_b32_e32 v14, 3, v8
	v_and_b32_e32 v3, 0x7c, v8
	v_cmp_eq_u32_e32 vcc, s85, v3
	v_ffbh_u32_e32 v3, v14
	v_min_u32_e32 v17, 32, v3
	v_subrev_u32_e32 v3, 29, v17
	v_bfe_u32 v16, v8, 2, 5
	v_lshlrev_b64 v[3:4], v3, v[8:9]
	v_cmp_eq_u32_e64 s[40:41], 0, v16
	v_sub_u32_e32 v4, 30, v17
	v_cndmask_b32_e64 v4, v16, v4, s[40:41]
	v_lshlrev_b32_e32 v16, 24, v8
	v_and_b32_e32 v3, 3, v3
	v_and_b32_e32 v16, 0x80000000, v16
	v_cndmask_b32_e64 v3, v14, v3, s[40:41]
	v_lshl_add_u32 v4, v4, 23, v16
	v_cmp_gt_i16_sdwa s[42:43], sext(v8), v48 src0_sel:BYTE_0 src1_sel:DWORD
	v_lshl_or_b32 v3, v3, 21, v4
	v_cmp_eq_u32_e64 s[40:41], 0, v14
	v_cndmask_b32_e64 v4, v7, v0, s[42:43]
	v_add_u32_e32 v3, 0x38000000, v3
	v_cndmask_b32_e64 v4, v35, v4, s[40:41]
	v_cndmask_b32_e32 v3, v3, v4, vcc
.LBB2_9061:                             ;   in Loop: Header=BB2_8591 Depth=3
	s_or_b64 exec, exec, s[38:39]
	v_add_f32_e32 v4, v2, v3
	v_and_b32_e32 v16, 0x7f800000, v4
	v_mov_b32_e32 v17, v29
	v_cmp_ne_u64_e32 vcc, s[76:77], v[16:17]
	v_and_b32_e32 v2, 0x7fffff, v4
	v_mov_b32_e32 v3, v29
                                        ; implicit-def: $vgpr23
	s_and_saveexec_b64 s[40:41], vcc
	s_xor_b64 s[42:43], exec, s[40:41]
	s_cbranch_execz .LBB2_9075
; %bb.9062:                             ;   in Loop: Header=BB2_8591 Depth=3
	v_and_b32_e32 v16, 0x7fffffff, v4
	v_mov_b32_e32 v17, v29
	v_cmp_gt_u64_e32 vcc, s[78:79], v[16:17]
	v_and_b32_sdwa v14, v4, s96 dst_sel:DWORD dst_unused:UNUSED_PAD src0_sel:BYTE_3 src1_sel:DWORD
                                        ; implicit-def: $vgpr23
	s_and_saveexec_b64 s[40:41], vcc
	s_xor_b64 s[38:39], exec, s[40:41]
	s_cbranch_execz .LBB2_9072
; %bb.9063:                             ;   in Loop: Header=BB2_8591 Depth=3
	v_mov_b32_e32 v23, 0
	v_cmp_ne_u32_e32 vcc, 0, v4
	s_and_saveexec_b64 s[48:49], vcc
	s_cbranch_execz .LBB2_9071
; %bb.9064:                             ;   in Loop: Header=BB2_8591 Depth=3
	v_bfe_u32 v17, v4, 23, 8
	v_cmp_gt_u32_e64 s[40:41], s46, v17
	v_sub_u32_e32 v4, 0x71, v17
	v_cmp_eq_u32_e32 vcc, 0, v17
	v_cndmask_b32_e64 v4, 0, v4, s[40:41]
	v_mov_b32_e32 v23, 0x70
	v_cndmask_b32_e32 v23, v4, v23, vcc
	v_add_u32_e32 v4, 21, v23
	v_or_b32_e32 v16, 0x800000, v2
	v_lshlrev_b64 v[38:39], v4, -1
	v_cndmask_b32_e32 v2, v16, v2, vcc
	v_add_u32_e32 v4, 20, v23
	v_bfi_b32 v38, v38, 0, v2
	v_lshlrev_b64 v[54:55], v4, 1
	v_lshrrev_b64 v[2:3], v23, v[2:3]
	v_bfi_b32 v39, v39, 0, 0
	v_cmp_eq_u64_e64 s[40:41], v[38:39], v[54:55]
	v_mov_b32_e32 v4, v3
	v_mov_b32_e32 v3, v2
	s_and_saveexec_b64 s[50:51], s[40:41]
; %bb.9065:                             ;   in Loop: Header=BB2_8591 Depth=3
	v_bfe_u32 v3, v2, 21, 1
	v_add_co_u32_e64 v3, s[40:41], v2, v3
	v_add_co_u32_e64 v3, s[40:41], -1, v3
; %bb.9066:                             ;   in Loop: Header=BB2_8591 Depth=3
	s_or_b64 exec, exec, s[50:51]
	v_add_u32_e32 v4, 0xffffff81, v17
	v_cndmask_b32_e32 v4, v4, v1, vcc
	v_lshrrev_b32_e32 v16, 23, v2
	v_add3_u32 v23, v23, v4, v16
	v_add_u32_e32 v17, 14, v23
	v_and_b32_e32 v3, 0x1fffff, v3
	v_add_u32_e32 v2, v3, v2
	v_mov_b32_e32 v3, v29
	v_cmp_ne_u32_e32 vcc, 0, v17
                                        ; implicit-def: $vgpr4
	s_and_saveexec_b64 s[40:41], vcc
	s_xor_b64 s[40:41], exec, s[40:41]
; %bb.9067:                             ;   in Loop: Header=BB2_8591 Depth=3
	v_cmp_lt_u64_e32 vcc, s[88:89], v[2:3]
	v_add_u32_e32 v4, 15, v23
	v_cndmask_b32_e64 v16, 0, 1, vcc
	v_cndmask_b32_e32 v4, v17, v4, vcc
	v_lshrrev_b64 v[2:3], v16, v[2:3]
; %bb.9068:                             ;   in Loop: Header=BB2_8591 Depth=3
	s_andn2_saveexec_b64 s[40:41], s[40:41]
; %bb.9069:                             ;   in Loop: Header=BB2_8591 Depth=3
	v_bfe_u32 v4, v2, 23, 1
; %bb.9070:                             ;   in Loop: Header=BB2_8591 Depth=3
	s_or_b64 exec, exec, s[40:41]
	v_lshrrev_b64 v[2:3], 21, v[2:3]
	v_cmp_gt_i32_e32 vcc, 32, v4
	v_cndmask_b32_e32 v3, 0, v3, vcc
	v_cndmask_b32_e32 v2, 3, v2, vcc
	v_cmp_eq_u64_e64 s[40:41], 0, v[2:3]
	v_min_i32_e32 v3, 31, v4
	v_lshlrev_b32_e32 v3, 2, v3
	v_cmp_eq_u32_e32 vcc, 0, v4
	v_and_b32_e32 v3, 0xfc, v3
	v_and_or_b32 v2, v2, 3, v3
	s_and_b64 s[40:41], vcc, s[40:41]
	v_cndmask_b32_e64 v2, v2, 0, s[40:41]
	v_or_b32_e32 v23, v2, v14
.LBB2_9071:                             ;   in Loop: Header=BB2_8591 Depth=3
	s_or_b64 exec, exec, s[48:49]
                                        ; implicit-def: $vgpr14
.LBB2_9072:                             ;   in Loop: Header=BB2_8591 Depth=3
	s_andn2_saveexec_b64 s[40:41], s[38:39]
; %bb.9073:                             ;   in Loop: Header=BB2_8591 Depth=3
	v_or_b32_e32 v23, 0x7b, v14
; %bb.9074:                             ;   in Loop: Header=BB2_8591 Depth=3
	s_or_b64 exec, exec, s[40:41]
                                        ; implicit-def: $vgpr4
                                        ; implicit-def: $vgpr2_vgpr3
.LBB2_9075:                             ;   in Loop: Header=BB2_8591 Depth=3
	s_andn2_saveexec_b64 s[40:41], s[42:43]
	s_cbranch_execz .LBB2_9081
; %bb.9076:                             ;   in Loop: Header=BB2_8591 Depth=3
	v_cmp_ne_u64_e32 vcc, 0, v[2:3]
                                        ; implicit-def: $vgpr23
	s_and_saveexec_b64 s[42:43], vcc
	s_xor_b64 s[42:43], exec, s[42:43]
; %bb.9077:                             ;   in Loop: Header=BB2_8591 Depth=3
	v_or_b32_sdwa v23, v4, s47 dst_sel:DWORD dst_unused:UNUSED_PAD src0_sel:BYTE_3 src1_sel:DWORD
                                        ; implicit-def: $vgpr4
; %bb.9078:                             ;   in Loop: Header=BB2_8591 Depth=3
	s_andn2_saveexec_b64 s[42:43], s[42:43]
; %bb.9079:                             ;   in Loop: Header=BB2_8591 Depth=3
	v_cmp_lt_i32_e32 vcc, -1, v4
	v_cndmask_b32_e32 v23, v6, v22, vcc
; %bb.9080:                             ;   in Loop: Header=BB2_8591 Depth=3
	s_or_b64 exec, exec, s[42:43]
.LBB2_9081:                             ;   in Loop: Header=BB2_8591 Depth=3
	s_or_b64 exec, exec, s[40:41]
	v_lshrrev_b16_e32 v2, 8, v51
	v_cmp_ne_u16_e32 vcc, 0, v2
	v_mov_b32_e32 v4, 0
	s_and_saveexec_b64 s[40:41], vcc
	s_cbranch_execz .LBB2_9089
; %bb.9082:                             ;   in Loop: Header=BB2_8591 Depth=3
	v_cmp_ne_u16_e32 vcc, s96, v2
	v_bfrev_b32_e32 v4, 1
	s_and_saveexec_b64 s[42:43], vcc
	s_cbranch_execz .LBB2_9088
; %bb.9083:                             ;   in Loop: Header=BB2_8591 Depth=3
	v_and_b32_e32 v3, 0x7c, v2
	v_and_b32_e32 v14, 3, v2
	v_cmp_ne_u32_e32 vcc, s85, v3
                                        ; implicit-def: $vgpr4
	s_and_saveexec_b64 s[38:39], vcc
	s_xor_b64 s[38:39], exec, s[38:39]
	s_cbranch_execz .LBB2_9085
; %bb.9084:                             ;   in Loop: Header=BB2_8591 Depth=3
	v_ffbh_u32_e32 v16, v14
	v_min_u32_e32 v16, 32, v16
	v_mov_b32_e32 v3, v29
	v_subrev_u32_e32 v17, 29, v16
	v_bfe_u32 v4, v2, 2, 5
	v_lshlrev_b64 v[2:3], v17, v[2:3]
	v_sub_u32_e32 v3, 30, v16
	v_cmp_eq_u32_e32 vcc, 0, v4
	v_cndmask_b32_e32 v3, v4, v3, vcc
	v_lshlrev_b32_e32 v4, 16, v51
	v_and_b32_e32 v2, 3, v2
	v_and_b32_e32 v4, 0x80000000, v4
	v_cndmask_b32_e32 v2, v14, v2, vcc
	v_lshl_add_u32 v3, v3, 23, v4
	v_lshl_or_b32 v2, v2, 21, v3
	v_add_u32_e32 v4, 0x38000000, v2
                                        ; implicit-def: $vgpr14
                                        ; implicit-def: $vgpr51
.LBB2_9085:                             ;   in Loop: Header=BB2_8591 Depth=3
	s_andn2_saveexec_b64 s[38:39], s[38:39]
; %bb.9086:                             ;   in Loop: Header=BB2_8591 Depth=3
	v_cmp_lt_i16_e32 vcc, -1, v51
	v_cndmask_b32_e32 v2, v7, v0, vcc
	v_cmp_eq_u32_e32 vcc, 0, v14
	v_cndmask_b32_e32 v4, v35, v2, vcc
; %bb.9087:                             ;   in Loop: Header=BB2_8591 Depth=3
	s_or_b64 exec, exec, s[38:39]
.LBB2_9088:                             ;   in Loop: Header=BB2_8591 Depth=3
	s_or_b64 exec, exec, s[42:43]
.LBB2_9089:                             ;   in Loop: Header=BB2_8591 Depth=3
	s_or_b64 exec, exec, s[40:41]
	v_lshrrev_b16_e32 v2, 8, v8
	v_cmp_lt_i16_e32 vcc, s47, v2
	s_mov_b64 s[40:41], 0
	s_and_saveexec_b64 s[42:43], vcc
	s_xor_b64 s[42:43], exec, s[42:43]
	s_cbranch_execz .LBB2_9572
; %bb.9090:                             ;   in Loop: Header=BB2_8591 Depth=3
	v_cmp_eq_u16_e32 vcc, s96, v2
	s_mov_b64 s[40:41], -1
	s_and_saveexec_b64 s[38:39], vcc
; %bb.9091:                             ;   in Loop: Header=BB2_8591 Depth=3
	s_xor_b64 s[40:41], exec, -1
; %bb.9092:                             ;   in Loop: Header=BB2_8591 Depth=3
	s_or_b64 exec, exec, s[38:39]
	s_and_b64 s[40:41], s[40:41], exec
	s_or_saveexec_b64 s[42:43], s[42:43]
	v_bfrev_b32_e32 v3, 1
	s_xor_b64 exec, exec, s[42:43]
	s_cbranch_execnz .LBB2_9573
.LBB2_9093:                             ;   in Loop: Header=BB2_8591 Depth=3
	s_or_b64 exec, exec, s[42:43]
	s_and_saveexec_b64 s[38:39], s[40:41]
	s_cbranch_execz .LBB2_9095
.LBB2_9094:                             ;   in Loop: Header=BB2_8591 Depth=3
	v_and_b32_e32 v14, 3, v2
	v_and_b32_e32 v16, 0x7c, v2
	v_cmp_eq_u32_e32 vcc, s85, v16
	v_ffbh_u32_e32 v16, v14
	v_min_u32_e32 v31, 32, v16
	v_mov_b32_e32 v3, v29
	v_subrev_u32_e32 v16, 29, v31
	v_bfe_u32 v30, v2, 2, 5
	v_lshlrev_b64 v[16:17], v16, v[2:3]
	v_cmp_eq_u32_e64 s[40:41], 0, v30
	v_sub_u32_e32 v3, 30, v31
	v_lshlrev_b32_e32 v2, 24, v2
	v_and_b32_e32 v16, 3, v16
	v_cndmask_b32_e64 v3, v30, v3, s[40:41]
	v_and_b32_e32 v2, 0x80000000, v2
	v_cndmask_b32_e64 v16, v14, v16, s[40:41]
	v_lshl_add_u32 v2, v3, 23, v2
	v_cmp_lt_i16_e64 s[42:43], -1, v8
	v_lshl_or_b32 v2, v16, 21, v2
	v_cmp_eq_u32_e64 s[40:41], 0, v14
	v_cndmask_b32_e64 v3, v7, v0, s[42:43]
	v_add_u32_e32 v2, 0x38000000, v2
	v_cndmask_b32_e64 v3, v35, v3, s[40:41]
	v_cndmask_b32_e32 v3, v2, v3, vcc
.LBB2_9095:                             ;   in Loop: Header=BB2_8591 Depth=3
	s_or_b64 exec, exec, s[38:39]
	v_add_f32_e32 v4, v4, v3
	v_and_b32_e32 v16, 0x7f800000, v4
	v_mov_b32_e32 v17, v29
	v_cmp_ne_u64_e32 vcc, s[76:77], v[16:17]
	v_and_b32_e32 v2, 0x7fffff, v4
	v_mov_b32_e32 v3, v29
                                        ; implicit-def: $vgpr51
	s_and_saveexec_b64 s[40:41], vcc
	s_xor_b64 s[42:43], exec, s[40:41]
	s_cbranch_execz .LBB2_9109
; %bb.9096:                             ;   in Loop: Header=BB2_8591 Depth=3
	v_and_b32_e32 v16, 0x7fffffff, v4
	v_mov_b32_e32 v17, v29
	v_cmp_gt_u64_e32 vcc, s[78:79], v[16:17]
	v_and_b32_sdwa v14, v4, s96 dst_sel:DWORD dst_unused:UNUSED_PAD src0_sel:BYTE_3 src1_sel:DWORD
                                        ; implicit-def: $vgpr51
	s_and_saveexec_b64 s[40:41], vcc
	s_xor_b64 s[38:39], exec, s[40:41]
	s_cbranch_execz .LBB2_9106
; %bb.9097:                             ;   in Loop: Header=BB2_8591 Depth=3
	v_mov_b32_e32 v51, 0
	v_cmp_ne_u32_e32 vcc, 0, v4
	s_and_saveexec_b64 s[48:49], vcc
	s_cbranch_execz .LBB2_9105
; %bb.9098:                             ;   in Loop: Header=BB2_8591 Depth=3
	v_bfe_u32 v17, v4, 23, 8
	v_cmp_gt_u32_e64 s[40:41], s46, v17
	v_sub_u32_e32 v4, 0x71, v17
	v_cmp_eq_u32_e32 vcc, 0, v17
	v_cndmask_b32_e64 v4, 0, v4, s[40:41]
	v_mov_b32_e32 v30, 0x70
	v_cndmask_b32_e32 v49, v4, v30, vcc
	v_add_u32_e32 v4, 21, v49
	v_or_b32_e32 v16, 0x800000, v2
	v_lshlrev_b64 v[38:39], v4, -1
	v_cndmask_b32_e32 v2, v16, v2, vcc
	v_add_u32_e32 v4, 20, v49
	v_bfi_b32 v38, v38, 0, v2
	v_lshlrev_b64 v[54:55], v4, 1
	v_lshrrev_b64 v[2:3], v49, v[2:3]
	v_bfi_b32 v39, v39, 0, 0
	v_cmp_eq_u64_e64 s[40:41], v[38:39], v[54:55]
	v_mov_b32_e32 v4, v3
	v_mov_b32_e32 v3, v2
	s_and_saveexec_b64 s[50:51], s[40:41]
; %bb.9099:                             ;   in Loop: Header=BB2_8591 Depth=3
	v_bfe_u32 v3, v2, 21, 1
	v_add_co_u32_e64 v3, s[40:41], v2, v3
	v_add_co_u32_e64 v3, s[40:41], -1, v3
; %bb.9100:                             ;   in Loop: Header=BB2_8591 Depth=3
	s_or_b64 exec, exec, s[50:51]
	v_add_u32_e32 v4, 0xffffff81, v17
	v_cndmask_b32_e32 v4, v4, v1, vcc
	v_lshrrev_b32_e32 v16, 23, v2
	v_add3_u32 v49, v49, v4, v16
	v_add_u32_e32 v17, 14, v49
	v_and_b32_e32 v3, 0x1fffff, v3
	v_add_u32_e32 v2, v3, v2
	v_mov_b32_e32 v3, v29
	v_cmp_ne_u32_e32 vcc, 0, v17
                                        ; implicit-def: $vgpr4
	s_and_saveexec_b64 s[40:41], vcc
	s_xor_b64 s[40:41], exec, s[40:41]
; %bb.9101:                             ;   in Loop: Header=BB2_8591 Depth=3
	v_cmp_lt_u64_e32 vcc, s[88:89], v[2:3]
	v_add_u32_e32 v4, 15, v49
	v_cndmask_b32_e64 v16, 0, 1, vcc
	v_cndmask_b32_e32 v4, v17, v4, vcc
	v_lshrrev_b64 v[2:3], v16, v[2:3]
; %bb.9102:                             ;   in Loop: Header=BB2_8591 Depth=3
	s_andn2_saveexec_b64 s[40:41], s[40:41]
; %bb.9103:                             ;   in Loop: Header=BB2_8591 Depth=3
	v_bfe_u32 v4, v2, 23, 1
; %bb.9104:                             ;   in Loop: Header=BB2_8591 Depth=3
	s_or_b64 exec, exec, s[40:41]
	v_lshrrev_b64 v[2:3], 21, v[2:3]
	v_cmp_gt_i32_e32 vcc, 32, v4
	v_cndmask_b32_e32 v3, 0, v3, vcc
	v_cndmask_b32_e32 v2, 3, v2, vcc
	v_cmp_eq_u64_e64 s[40:41], 0, v[2:3]
	v_min_i32_e32 v3, 31, v4
	v_lshlrev_b32_e32 v3, 2, v3
	v_cmp_eq_u32_e32 vcc, 0, v4
	v_and_b32_e32 v3, 0xfc, v3
	v_and_or_b32 v2, v2, 3, v3
	s_and_b64 s[40:41], vcc, s[40:41]
	v_cndmask_b32_e64 v2, v2, 0, s[40:41]
	v_or_b32_e32 v51, v2, v14
.LBB2_9105:                             ;   in Loop: Header=BB2_8591 Depth=3
	s_or_b64 exec, exec, s[48:49]
                                        ; implicit-def: $vgpr14
.LBB2_9106:                             ;   in Loop: Header=BB2_8591 Depth=3
	s_andn2_saveexec_b64 s[40:41], s[38:39]
; %bb.9107:                             ;   in Loop: Header=BB2_8591 Depth=3
	v_or_b32_e32 v51, 0x7b, v14
; %bb.9108:                             ;   in Loop: Header=BB2_8591 Depth=3
	s_or_b64 exec, exec, s[40:41]
                                        ; implicit-def: $vgpr4
                                        ; implicit-def: $vgpr2_vgpr3
.LBB2_9109:                             ;   in Loop: Header=BB2_8591 Depth=3
	s_andn2_saveexec_b64 s[40:41], s[42:43]
	s_cbranch_execz .LBB2_9115
; %bb.9110:                             ;   in Loop: Header=BB2_8591 Depth=3
	v_cmp_ne_u64_e32 vcc, 0, v[2:3]
                                        ; implicit-def: $vgpr51
	s_and_saveexec_b64 s[42:43], vcc
	s_xor_b64 s[42:43], exec, s[42:43]
; %bb.9111:                             ;   in Loop: Header=BB2_8591 Depth=3
	v_or_b32_sdwa v51, v4, s47 dst_sel:DWORD dst_unused:UNUSED_PAD src0_sel:BYTE_3 src1_sel:DWORD
                                        ; implicit-def: $vgpr4
; %bb.9112:                             ;   in Loop: Header=BB2_8591 Depth=3
	s_andn2_saveexec_b64 s[42:43], s[42:43]
; %bb.9113:                             ;   in Loop: Header=BB2_8591 Depth=3
	v_cmp_lt_i32_e32 vcc, -1, v4
	v_cndmask_b32_e32 v51, v6, v22, vcc
; %bb.9114:                             ;   in Loop: Header=BB2_8591 Depth=3
	s_or_b64 exec, exec, s[42:43]
.LBB2_9115:                             ;   in Loop: Header=BB2_8591 Depth=3
	s_or_b64 exec, exec, s[40:41]
	v_and_b32_sdwa v4, v28, s87 dst_sel:DWORD dst_unused:UNUSED_PAD src0_sel:WORD_1 src1_sel:DWORD
	v_lshrrev_b32_e32 v2, 16, v28
	v_cmp_ne_u16_e32 vcc, 0, v4
	v_mov_b32_e32 v3, 0
	s_and_saveexec_b64 s[40:41], vcc
	s_cbranch_execz .LBB2_9123
; %bb.9116:                             ;   in Loop: Header=BB2_8591 Depth=3
	v_cmp_ne_u16_e32 vcc, s96, v4
	v_bfrev_b32_e32 v3, 1
	s_and_saveexec_b64 s[42:43], vcc
	s_cbranch_execz .LBB2_9122
; %bb.9117:                             ;   in Loop: Header=BB2_8591 Depth=3
	v_and_b32_e32 v3, 0x7c0000, v28
	v_bfe_u32 v4, v28, 16, 2
	v_cmp_ne_u32_e32 vcc, s44, v3
                                        ; implicit-def: $vgpr3
	s_and_saveexec_b64 s[38:39], vcc
	s_xor_b64 s[38:39], exec, s[38:39]
	s_cbranch_execz .LBB2_9119
; %bb.9118:                             ;   in Loop: Header=BB2_8591 Depth=3
	v_ffbh_u32_e32 v3, v4
	v_min_u32_e32 v16, 32, v3
	v_lshrrev_b32_e32 v2, 16, v28
	v_subrev_u32_e32 v3, 29, v16
	v_lshlrev_b64 v[2:3], v3, v[2:3]
	v_bfe_u32 v14, v28, 18, 5
	v_and_b32_e32 v2, 3, v2
	v_cmp_eq_u32_e32 vcc, 0, v14
	v_sub_u32_e32 v3, 30, v16
	v_cndmask_b32_e32 v2, v4, v2, vcc
	v_lshlrev_b32_e32 v4, 8, v28
	v_cndmask_b32_e32 v3, v14, v3, vcc
	v_and_b32_e32 v4, 0x80000000, v4
	v_lshl_add_u32 v3, v3, 23, v4
	v_lshl_or_b32 v2, v2, 21, v3
	v_add_u32_e32 v3, 0x38000000, v2
                                        ; implicit-def: $vgpr4
                                        ; implicit-def: $vgpr2
.LBB2_9119:                             ;   in Loop: Header=BB2_8591 Depth=3
	s_andn2_saveexec_b64 s[38:39], s[38:39]
; %bb.9120:                             ;   in Loop: Header=BB2_8591 Depth=3
	v_cmp_gt_i16_sdwa vcc, sext(v2), v48 src0_sel:BYTE_0 src1_sel:DWORD
	v_cndmask_b32_e32 v2, v7, v0, vcc
	v_cmp_eq_u32_e32 vcc, 0, v4
	v_cndmask_b32_e32 v3, v35, v2, vcc
; %bb.9121:                             ;   in Loop: Header=BB2_8591 Depth=3
	s_or_b64 exec, exec, s[38:39]
.LBB2_9122:                             ;   in Loop: Header=BB2_8591 Depth=3
	s_or_b64 exec, exec, s[42:43]
.LBB2_9123:                             ;   in Loop: Header=BB2_8591 Depth=3
	s_or_b64 exec, exec, s[40:41]
	v_lshrrev_b32_e32 v2, 16, v8
	v_cmp_gt_i16_sdwa s[42:43], v2, s47 src0_sel:BYTE_0 src1_sel:DWORD
	s_mov_b64 s[40:41], 0
	s_and_saveexec_b64 vcc, s[42:43]
	s_xor_b64 s[42:43], exec, vcc
	s_cbranch_execz .LBB2_9574
; %bb.9124:                             ;   in Loop: Header=BB2_8591 Depth=3
	v_cmp_eq_u16_sdwa s[38:39], v2, s96 src0_sel:BYTE_0 src1_sel:DWORD
	s_mov_b64 s[40:41], -1
	s_and_saveexec_b64 vcc, s[38:39]
; %bb.9125:                             ;   in Loop: Header=BB2_8591 Depth=3
	s_xor_b64 s[40:41], exec, -1
; %bb.9126:                             ;   in Loop: Header=BB2_8591 Depth=3
	s_or_b64 exec, exec, vcc
	s_and_b64 s[40:41], s[40:41], exec
	s_or_saveexec_b64 s[42:43], s[42:43]
	v_bfrev_b32_e32 v4, 1
	s_xor_b64 exec, exec, s[42:43]
	s_cbranch_execnz .LBB2_9575
.LBB2_9127:                             ;   in Loop: Header=BB2_8591 Depth=3
	s_or_b64 exec, exec, s[42:43]
	s_and_saveexec_b64 s[38:39], s[40:41]
	s_cbranch_execz .LBB2_9129
.LBB2_9128:                             ;   in Loop: Header=BB2_8591 Depth=3
	v_and_b32_e32 v4, 3, v2
	v_and_b32_e32 v16, 0x7c0000, v8
	v_cmp_eq_u32_e32 vcc, s44, v16
	v_ffbh_u32_e32 v16, v4
	v_min_u32_e32 v30, 32, v16
	v_subrev_u32_e32 v16, 29, v30
	v_bfe_u32 v14, v8, 18, 5
	v_lshlrev_b64 v[16:17], v16, v[2:3]
	v_cmp_eq_u32_e64 s[40:41], 0, v14
	v_sub_u32_e32 v17, 30, v30
	v_cndmask_b32_e64 v14, v14, v17, s[40:41]
	v_lshlrev_b32_e32 v17, 24, v2
	v_and_b32_e32 v16, 3, v16
	v_and_b32_e32 v17, 0x80000000, v17
	v_cndmask_b32_e64 v16, v4, v16, s[40:41]
	v_lshl_add_u32 v14, v14, 23, v17
	v_cmp_gt_i16_sdwa s[42:43], sext(v2), v48 src0_sel:BYTE_0 src1_sel:DWORD
	v_lshl_or_b32 v14, v16, 21, v14
	v_cmp_eq_u32_e64 s[40:41], 0, v4
	v_cndmask_b32_e64 v2, v7, v0, s[42:43]
	v_add_u32_e32 v14, 0x38000000, v14
	v_cndmask_b32_e64 v2, v35, v2, s[40:41]
	v_cndmask_b32_e32 v4, v14, v2, vcc
.LBB2_9129:                             ;   in Loop: Header=BB2_8591 Depth=3
	s_or_b64 exec, exec, s[38:39]
	v_add_f32_e32 v4, v3, v4
	v_and_b32_e32 v16, 0x7f800000, v4
	v_mov_b32_e32 v17, v29
	v_cmp_ne_u64_e32 vcc, s[76:77], v[16:17]
	v_and_b32_e32 v2, 0x7fffff, v4
	v_mov_b32_e32 v3, v29
                                        ; implicit-def: $vgpr54
	s_and_saveexec_b64 s[40:41], vcc
	s_xor_b64 s[42:43], exec, s[40:41]
	s_cbranch_execz .LBB2_9143
; %bb.9130:                             ;   in Loop: Header=BB2_8591 Depth=3
	v_and_b32_e32 v16, 0x7fffffff, v4
	v_mov_b32_e32 v17, v29
	v_cmp_gt_u64_e32 vcc, s[78:79], v[16:17]
	v_and_b32_sdwa v14, v4, s96 dst_sel:DWORD dst_unused:UNUSED_PAD src0_sel:BYTE_3 src1_sel:DWORD
                                        ; implicit-def: $vgpr54
	s_and_saveexec_b64 s[40:41], vcc
	s_xor_b64 s[38:39], exec, s[40:41]
	s_cbranch_execz .LBB2_9140
; %bb.9131:                             ;   in Loop: Header=BB2_8591 Depth=3
	v_mov_b32_e32 v54, 0
	v_cmp_ne_u32_e32 vcc, 0, v4
	s_and_saveexec_b64 s[48:49], vcc
	s_cbranch_execz .LBB2_9139
; %bb.9132:                             ;   in Loop: Header=BB2_8591 Depth=3
	v_bfe_u32 v17, v4, 23, 8
	v_cmp_gt_u32_e64 s[40:41], s46, v17
	v_sub_u32_e32 v4, 0x71, v17
	v_cmp_eq_u32_e32 vcc, 0, v17
	v_cndmask_b32_e64 v4, 0, v4, s[40:41]
	v_mov_b32_e32 v30, 0x70
	v_cndmask_b32_e32 v49, v4, v30, vcc
	v_add_u32_e32 v4, 21, v49
	v_or_b32_e32 v16, 0x800000, v2
	v_lshlrev_b64 v[38:39], v4, -1
	v_cndmask_b32_e32 v2, v16, v2, vcc
	v_add_u32_e32 v4, 20, v49
	v_bfi_b32 v38, v38, 0, v2
	v_lshlrev_b64 v[54:55], v4, 1
	v_lshrrev_b64 v[2:3], v49, v[2:3]
	v_bfi_b32 v39, v39, 0, 0
	v_cmp_eq_u64_e64 s[40:41], v[38:39], v[54:55]
	v_mov_b32_e32 v4, v3
	v_mov_b32_e32 v3, v2
	s_and_saveexec_b64 s[50:51], s[40:41]
; %bb.9133:                             ;   in Loop: Header=BB2_8591 Depth=3
	v_bfe_u32 v3, v2, 21, 1
	v_add_co_u32_e64 v3, s[40:41], v2, v3
	v_add_co_u32_e64 v3, s[40:41], -1, v3
; %bb.9134:                             ;   in Loop: Header=BB2_8591 Depth=3
	s_or_b64 exec, exec, s[50:51]
	v_add_u32_e32 v4, 0xffffff81, v17
	v_cndmask_b32_e32 v4, v4, v1, vcc
	v_lshrrev_b32_e32 v16, 23, v2
	v_add3_u32 v49, v49, v4, v16
	v_add_u32_e32 v17, 14, v49
	v_and_b32_e32 v3, 0x1fffff, v3
	v_add_u32_e32 v2, v3, v2
	v_mov_b32_e32 v3, v29
	v_cmp_ne_u32_e32 vcc, 0, v17
                                        ; implicit-def: $vgpr4
	s_and_saveexec_b64 s[40:41], vcc
	s_xor_b64 s[40:41], exec, s[40:41]
; %bb.9135:                             ;   in Loop: Header=BB2_8591 Depth=3
	v_cmp_lt_u64_e32 vcc, s[88:89], v[2:3]
	v_add_u32_e32 v4, 15, v49
	v_cndmask_b32_e64 v16, 0, 1, vcc
	v_cndmask_b32_e32 v4, v17, v4, vcc
	v_lshrrev_b64 v[2:3], v16, v[2:3]
; %bb.9136:                             ;   in Loop: Header=BB2_8591 Depth=3
	s_andn2_saveexec_b64 s[40:41], s[40:41]
; %bb.9137:                             ;   in Loop: Header=BB2_8591 Depth=3
	v_bfe_u32 v4, v2, 23, 1
; %bb.9138:                             ;   in Loop: Header=BB2_8591 Depth=3
	s_or_b64 exec, exec, s[40:41]
	v_lshrrev_b64 v[2:3], 21, v[2:3]
	v_cmp_gt_i32_e32 vcc, 32, v4
	v_cndmask_b32_e32 v3, 0, v3, vcc
	v_cndmask_b32_e32 v2, 3, v2, vcc
	v_cmp_eq_u64_e64 s[40:41], 0, v[2:3]
	v_min_i32_e32 v3, 31, v4
	v_lshlrev_b32_e32 v3, 2, v3
	v_cmp_eq_u32_e32 vcc, 0, v4
	v_and_b32_e32 v3, 0xfc, v3
	v_and_or_b32 v2, v2, 3, v3
	s_and_b64 s[40:41], vcc, s[40:41]
	v_cndmask_b32_e64 v2, v2, 0, s[40:41]
	v_or_b32_e32 v54, v2, v14
.LBB2_9139:                             ;   in Loop: Header=BB2_8591 Depth=3
	s_or_b64 exec, exec, s[48:49]
                                        ; implicit-def: $vgpr14
.LBB2_9140:                             ;   in Loop: Header=BB2_8591 Depth=3
	s_andn2_saveexec_b64 s[40:41], s[38:39]
; %bb.9141:                             ;   in Loop: Header=BB2_8591 Depth=3
	v_or_b32_e32 v54, 0x7b, v14
; %bb.9142:                             ;   in Loop: Header=BB2_8591 Depth=3
	s_or_b64 exec, exec, s[40:41]
                                        ; implicit-def: $vgpr4
                                        ; implicit-def: $vgpr2_vgpr3
.LBB2_9143:                             ;   in Loop: Header=BB2_8591 Depth=3
	s_andn2_saveexec_b64 s[40:41], s[42:43]
	s_cbranch_execz .LBB2_9149
; %bb.9144:                             ;   in Loop: Header=BB2_8591 Depth=3
	v_cmp_ne_u64_e32 vcc, 0, v[2:3]
                                        ; implicit-def: $vgpr54
	s_and_saveexec_b64 s[42:43], vcc
	s_xor_b64 s[42:43], exec, s[42:43]
; %bb.9145:                             ;   in Loop: Header=BB2_8591 Depth=3
	v_or_b32_sdwa v54, v4, s47 dst_sel:DWORD dst_unused:UNUSED_PAD src0_sel:BYTE_3 src1_sel:DWORD
                                        ; implicit-def: $vgpr4
; %bb.9146:                             ;   in Loop: Header=BB2_8591 Depth=3
	s_andn2_saveexec_b64 s[42:43], s[42:43]
; %bb.9147:                             ;   in Loop: Header=BB2_8591 Depth=3
	v_cmp_lt_i32_e32 vcc, -1, v4
	v_cndmask_b32_e32 v54, v6, v22, vcc
; %bb.9148:                             ;   in Loop: Header=BB2_8591 Depth=3
	s_or_b64 exec, exec, s[42:43]
.LBB2_9149:                             ;   in Loop: Header=BB2_8591 Depth=3
	s_or_b64 exec, exec, s[40:41]
	v_cmp_lt_u32_e32 vcc, s57, v28
	v_mov_b32_e32 v3, 0
	s_and_saveexec_b64 s[40:41], vcc
	s_cbranch_execz .LBB2_9157
; %bb.9150:                             ;   in Loop: Header=BB2_8591 Depth=3
	v_lshrrev_b32_e32 v2, 24, v28
	v_cmp_ne_u32_e32 vcc, s96, v2
	v_bfrev_b32_e32 v3, 1
	s_and_saveexec_b64 s[42:43], vcc
	s_cbranch_execz .LBB2_9156
; %bb.9151:                             ;   in Loop: Header=BB2_8591 Depth=3
	v_and_b32_e32 v3, 0x7c000000, v28
	v_bfe_u32 v4, v28, 24, 2
	v_cmp_ne_u32_e32 vcc, s45, v3
                                        ; implicit-def: $vgpr3
	s_and_saveexec_b64 s[38:39], vcc
	s_xor_b64 s[38:39], exec, s[38:39]
	s_cbranch_execz .LBB2_9153
; %bb.9152:                             ;   in Loop: Header=BB2_8591 Depth=3
	v_ffbh_u32_e32 v3, v4
	v_min_u32_e32 v16, 32, v3
	v_subrev_u32_e32 v3, 29, v16
	v_lshlrev_b64 v[2:3], v3, v[2:3]
	v_bfe_u32 v14, v28, 26, 5
	v_sub_u32_e32 v3, 30, v16
	v_and_b32_e32 v2, 3, v2
	v_cmp_eq_u32_e32 vcc, 0, v14
	v_cndmask_b32_e32 v3, v14, v3, vcc
	v_cndmask_b32_e32 v2, v4, v2, vcc
	v_and_b32_e32 v4, 0x80000000, v28
	v_lshl_add_u32 v3, v3, 23, v4
	v_lshl_or_b32 v2, v2, 21, v3
	v_add_u32_e32 v3, 0x38000000, v2
                                        ; implicit-def: $vgpr4
.LBB2_9153:                             ;   in Loop: Header=BB2_8591 Depth=3
	s_andn2_saveexec_b64 s[38:39], s[38:39]
; %bb.9154:                             ;   in Loop: Header=BB2_8591 Depth=3
	v_cmp_lt_i32_e32 vcc, -1, v28
	v_cndmask_b32_e32 v2, v7, v0, vcc
	v_cmp_eq_u32_e32 vcc, 0, v4
	v_cndmask_b32_e32 v3, v35, v2, vcc
; %bb.9155:                             ;   in Loop: Header=BB2_8591 Depth=3
	s_or_b64 exec, exec, s[38:39]
.LBB2_9156:                             ;   in Loop: Header=BB2_8591 Depth=3
	s_or_b64 exec, exec, s[42:43]
.LBB2_9157:                             ;   in Loop: Header=BB2_8591 Depth=3
	s_or_b64 exec, exec, s[40:41]
	v_bfe_u32 v4, v8, 24, 2
	v_and_b32_e32 v16, 0x7c000000, v8
	v_cmp_eq_u32_e32 vcc, s45, v16
	v_ffbh_u32_e32 v16, v4
	v_min_u32_e32 v28, 32, v16
	v_lshrrev_b32_e32 v2, 24, v8
	v_subrev_u32_e32 v16, 29, v28
	v_bfe_u32 v14, v8, 26, 5
	v_lshlrev_b64 v[16:17], v16, v[2:3]
	v_cmp_eq_u32_e64 s[40:41], 0, v14
	v_sub_u32_e32 v17, 30, v28
	v_and_b32_e32 v16, 3, v16
	v_cndmask_b32_e64 v14, v14, v17, s[40:41]
	v_and_b32_e32 v17, 0x80000000, v8
	v_cndmask_b32_e64 v16, v4, v16, s[40:41]
	v_lshl_add_u32 v14, v14, 23, v17
	v_cmp_lt_i32_e64 s[42:43], -1, v8
	v_lshl_or_b32 v14, v16, 21, v14
	v_cmp_eq_u32_e64 s[40:41], 0, v4
	v_cndmask_b32_e64 v4, v7, v0, s[42:43]
	v_add_u32_e32 v14, 0x38000000, v14
	v_cndmask_b32_e64 v4, v35, v4, s[40:41]
	v_cndmask_b32_e32 v4, v14, v4, vcc
	v_cmp_ne_u32_e32 vcc, s96, v2
	v_bfrev_b32_e32 v2, 1
	v_cndmask_b32_e32 v2, v2, v4, vcc
	v_cmp_lt_u32_e32 vcc, s57, v8
	v_cndmask_b32_e32 v2, 0, v2, vcc
	v_add_f32_e32 v2, v2, v3
	v_and_b32_e32 v3, 0x7f800000, v2
	v_mov_b32_e32 v4, v29
	v_cmp_ne_u64_e32 vcc, s[76:77], v[3:4]
	v_and_b32_e32 v28, 0x7fffff, v2
                                        ; implicit-def: $vgpr57
	s_and_saveexec_b64 s[40:41], vcc
	s_xor_b64 s[42:43], exec, s[40:41]
	s_cbranch_execz .LBB2_9171
; %bb.9158:                             ;   in Loop: Header=BB2_8591 Depth=3
	v_and_b32_e32 v3, 0x7fffffff, v2
	v_mov_b32_e32 v4, v29
	v_cmp_gt_u64_e32 vcc, s[78:79], v[3:4]
	v_and_b32_sdwa v14, v2, s96 dst_sel:DWORD dst_unused:UNUSED_PAD src0_sel:BYTE_3 src1_sel:DWORD
                                        ; implicit-def: $vgpr57
	s_and_saveexec_b64 s[40:41], vcc
	s_xor_b64 s[38:39], exec, s[40:41]
	s_cbranch_execz .LBB2_9168
; %bb.9159:                             ;   in Loop: Header=BB2_8591 Depth=3
	v_mov_b32_e32 v57, 0
	v_cmp_ne_u32_e32 vcc, 0, v2
	s_and_saveexec_b64 s[48:49], vcc
	s_cbranch_execz .LBB2_9167
; %bb.9160:                             ;   in Loop: Header=BB2_8591 Depth=3
	v_bfe_u32 v17, v2, 23, 8
	v_cmp_gt_u32_e64 s[40:41], s46, v17
	v_sub_u32_e32 v2, 0x71, v17
	v_cmp_eq_u32_e32 vcc, 0, v17
	v_cndmask_b32_e64 v2, 0, v2, s[40:41]
	v_mov_b32_e32 v4, 0x70
	v_cndmask_b32_e32 v49, v2, v4, vcc
	v_add_u32_e32 v4, 21, v49
	v_or_b32_e32 v3, 0x800000, v28
	v_lshlrev_b64 v[38:39], v4, -1
	v_cndmask_b32_e32 v2, v3, v28, vcc
	v_mov_b32_e32 v3, v29
	v_add_u32_e32 v4, 20, v49
	v_bfi_b32 v38, v38, 0, v2
	v_lshlrev_b64 v[30:31], v4, 1
	v_lshrrev_b64 v[2:3], v49, v[2:3]
	v_bfi_b32 v39, v39, 0, 0
	v_cmp_eq_u64_e64 s[40:41], v[38:39], v[30:31]
	v_mov_b32_e32 v4, v3
	v_mov_b32_e32 v3, v2
	s_and_saveexec_b64 s[50:51], s[40:41]
; %bb.9161:                             ;   in Loop: Header=BB2_8591 Depth=3
	v_bfe_u32 v3, v2, 21, 1
	v_add_co_u32_e64 v3, s[40:41], v2, v3
	v_add_co_u32_e64 v3, s[40:41], -1, v3
; %bb.9162:                             ;   in Loop: Header=BB2_8591 Depth=3
	s_or_b64 exec, exec, s[50:51]
	v_add_u32_e32 v4, 0xffffff81, v17
	v_cndmask_b32_e32 v4, v4, v1, vcc
	v_lshrrev_b32_e32 v16, 23, v2
	v_add3_u32 v49, v49, v4, v16
	v_add_u32_e32 v17, 14, v49
	v_and_b32_e32 v3, 0x1fffff, v3
	v_add_u32_e32 v28, v3, v2
	v_cmp_ne_u32_e32 vcc, 0, v17
                                        ; implicit-def: $vgpr2_vgpr3
                                        ; implicit-def: $vgpr4
	s_and_saveexec_b64 s[40:41], vcc
	s_xor_b64 s[40:41], exec, s[40:41]
; %bb.9163:                             ;   in Loop: Header=BB2_8591 Depth=3
	v_cmp_lt_u64_e32 vcc, s[88:89], v[28:29]
	v_add_u32_e32 v2, 15, v49
	v_cndmask_b32_e32 v4, v17, v2, vcc
	v_cndmask_b32_e64 v2, 0, 1, vcc
	v_lshrrev_b64 v[2:3], v2, v[28:29]
; %bb.9164:                             ;   in Loop: Header=BB2_8591 Depth=3
	s_andn2_saveexec_b64 s[40:41], s[40:41]
; %bb.9165:                             ;   in Loop: Header=BB2_8591 Depth=3
	v_mov_b32_e32 v2, v28
	v_mov_b32_e32 v3, v29
	v_bfe_u32 v4, v28, 23, 1
; %bb.9166:                             ;   in Loop: Header=BB2_8591 Depth=3
	s_or_b64 exec, exec, s[40:41]
	v_lshrrev_b64 v[2:3], 21, v[2:3]
	v_cmp_gt_i32_e32 vcc, 32, v4
	v_cndmask_b32_e32 v3, 0, v3, vcc
	v_cndmask_b32_e32 v2, 3, v2, vcc
	v_cmp_eq_u64_e64 s[40:41], 0, v[2:3]
	v_min_i32_e32 v3, 31, v4
	v_lshlrev_b32_e32 v3, 2, v3
	v_cmp_eq_u32_e32 vcc, 0, v4
	v_and_b32_e32 v3, 0xfc, v3
	v_and_or_b32 v2, v2, 3, v3
	s_and_b64 s[40:41], vcc, s[40:41]
	v_cndmask_b32_e64 v2, v2, 0, s[40:41]
	v_or_b32_e32 v57, v2, v14
.LBB2_9167:                             ;   in Loop: Header=BB2_8591 Depth=3
	s_or_b64 exec, exec, s[48:49]
                                        ; implicit-def: $vgpr14
.LBB2_9168:                             ;   in Loop: Header=BB2_8591 Depth=3
	s_andn2_saveexec_b64 s[40:41], s[38:39]
; %bb.9169:                             ;   in Loop: Header=BB2_8591 Depth=3
	v_or_b32_e32 v57, 0x7b, v14
; %bb.9170:                             ;   in Loop: Header=BB2_8591 Depth=3
	s_or_b64 exec, exec, s[40:41]
                                        ; implicit-def: $vgpr2
.LBB2_9171:                             ;   in Loop: Header=BB2_8591 Depth=3
	s_andn2_saveexec_b64 s[40:41], s[42:43]
	s_cbranch_execz .LBB2_9177
; %bb.9172:                             ;   in Loop: Header=BB2_8591 Depth=3
	v_cmp_ne_u64_e32 vcc, 0, v[28:29]
                                        ; implicit-def: $vgpr57
	s_and_saveexec_b64 s[42:43], vcc
	s_xor_b64 s[42:43], exec, s[42:43]
; %bb.9173:                             ;   in Loop: Header=BB2_8591 Depth=3
	v_or_b32_sdwa v57, v2, s47 dst_sel:DWORD dst_unused:UNUSED_PAD src0_sel:BYTE_3 src1_sel:DWORD
                                        ; implicit-def: $vgpr2
; %bb.9174:                             ;   in Loop: Header=BB2_8591 Depth=3
	s_andn2_saveexec_b64 s[42:43], s[42:43]
; %bb.9175:                             ;   in Loop: Header=BB2_8591 Depth=3
	v_cmp_lt_i32_e32 vcc, -1, v2
	v_cndmask_b32_e32 v57, v6, v22, vcc
; %bb.9176:                             ;   in Loop: Header=BB2_8591 Depth=3
	s_or_b64 exec, exec, s[42:43]
.LBB2_9177:                             ;   in Loop: Header=BB2_8591 Depth=3
	s_or_b64 exec, exec, s[40:41]
	v_lshl_or_b32 v17, v15, 8, v5
	v_lshlrev_b32_e32 v2, 16, v60
	v_lshlrev_b32_e32 v3, 24, v61
	v_or3_b32 v28, v2, v3, v17
	v_cmp_ne_u32_e32 vcc, 0, v5
	v_mov_b32_e32 v2, 0
	s_and_saveexec_b64 s[42:43], vcc
	s_cbranch_execz .LBB2_9185
; %bb.9178:                             ;   in Loop: Header=BB2_8591 Depth=3
	v_cmp_ne_u32_e32 vcc, s96, v5
	v_bfrev_b32_e32 v2, 1
	s_and_saveexec_b64 s[38:39], vcc
	s_cbranch_execz .LBB2_9184
; %bb.9179:                             ;   in Loop: Header=BB2_8591 Depth=3
	v_and_b32_e32 v2, 0x7c, v5
	v_and_b32_e32 v3, 3, v5
	v_cmp_ne_u32_e32 vcc, s85, v2
                                        ; implicit-def: $vgpr2
	s_and_saveexec_b64 s[40:41], vcc
	s_xor_b64 s[40:41], exec, s[40:41]
	s_cbranch_execz .LBB2_9181
; %bb.9180:                             ;   in Loop: Header=BB2_8591 Depth=3
	v_ffbh_u32_e32 v4, v3
	v_min_u32_e32 v4, 32, v4
	v_bfe_u32 v2, v5, 2, 5
	v_subrev_u32_e32 v14, 29, v4
	v_lshlrev_b64 v[14:15], v14, v[28:29]
	v_sub_u32_e32 v4, 30, v4
	v_cmp_eq_u32_e32 vcc, 0, v2
	v_cndmask_b32_e32 v2, v2, v4, vcc
	v_lshlrev_b32_e32 v4, 24, v5
	v_and_b32_e32 v14, 3, v14
	v_and_b32_e32 v4, 0x80000000, v4
	v_cndmask_b32_e32 v3, v3, v14, vcc
	v_lshl_add_u32 v2, v2, 23, v4
	v_lshl_or_b32 v2, v3, 21, v2
	v_add_u32_e32 v2, 0x38000000, v2
                                        ; implicit-def: $vgpr3
                                        ; implicit-def: $vgpr5
.LBB2_9181:                             ;   in Loop: Header=BB2_8591 Depth=3
	s_andn2_saveexec_b64 s[48:49], s[40:41]
; %bb.9182:                             ;   in Loop: Header=BB2_8591 Depth=3
	v_and_b32_e32 v2, 0x80, v5
	v_cmp_eq_u32_e64 s[40:41], 0, v2
	v_cmp_eq_u32_e32 vcc, 0, v3
	v_cndmask_b32_e64 v2, v7, v0, s[40:41]
	v_cndmask_b32_e32 v2, v35, v2, vcc
; %bb.9183:                             ;   in Loop: Header=BB2_8591 Depth=3
	s_or_b64 exec, exec, s[48:49]
.LBB2_9184:                             ;   in Loop: Header=BB2_8591 Depth=3
	s_or_b64 exec, exec, s[38:39]
.LBB2_9185:                             ;   in Loop: Header=BB2_8591 Depth=3
	s_or_b64 exec, exec, s[42:43]
	v_cmp_gt_i16_sdwa s[42:43], v9, s47 src0_sel:BYTE_0 src1_sel:DWORD
	s_mov_b64 s[40:41], 0
	s_and_saveexec_b64 vcc, s[42:43]
	s_xor_b64 s[42:43], exec, vcc
	s_cbranch_execz .LBB2_9189
; %bb.9186:                             ;   in Loop: Header=BB2_8591 Depth=3
	v_cmp_eq_u16_sdwa s[38:39], v9, s96 src0_sel:BYTE_0 src1_sel:DWORD
	s_mov_b64 s[40:41], -1
	s_and_saveexec_b64 vcc, s[38:39]
; %bb.9187:                             ;   in Loop: Header=BB2_8591 Depth=3
	s_xor_b64 s[40:41], exec, -1
; %bb.9188:                             ;   in Loop: Header=BB2_8591 Depth=3
	s_or_b64 exec, exec, vcc
	s_and_b64 s[40:41], s[40:41], exec
.LBB2_9189:                             ;   in Loop: Header=BB2_8591 Depth=3
	s_or_saveexec_b64 s[42:43], s[42:43]
	v_bfrev_b32_e32 v3, 1
	s_xor_b64 exec, exec, s[42:43]
; %bb.9190:                             ;   in Loop: Header=BB2_8591 Depth=3
	v_cmp_ne_u16_sdwa vcc, v9, v29 src0_sel:BYTE_0 src1_sel:DWORD
	s_andn2_b64 s[40:41], s[40:41], exec
	s_and_b64 vcc, vcc, exec
	v_mov_b32_e32 v3, 0
	s_or_b64 s[40:41], s[40:41], vcc
; %bb.9191:                             ;   in Loop: Header=BB2_8591 Depth=3
	s_or_b64 exec, exec, s[42:43]
	v_mov_b32_e32 v4, v9
	v_mov_b32_e32 v5, v29
	s_and_saveexec_b64 s[38:39], s[40:41]
	s_cbranch_execz .LBB2_9193
; %bb.9192:                             ;   in Loop: Header=BB2_8591 Depth=3
	v_and_b32_e32 v3, 3, v9
	v_and_b32_e32 v14, 0x7c, v9
	v_cmp_eq_u32_e32 vcc, s85, v14
	v_ffbh_u32_e32 v14, v3
	v_min_u32_e32 v30, 32, v14
	v_subrev_u32_e32 v14, 29, v30
	v_bfe_u32 v16, v9, 2, 5
	v_lshlrev_b64 v[14:15], v14, v[4:5]
	v_cmp_eq_u32_e64 s[40:41], 0, v16
	v_sub_u32_e32 v5, 30, v30
	v_lshlrev_b32_e32 v15, 24, v9
	v_and_b32_e32 v14, 3, v14
	v_cndmask_b32_e64 v5, v16, v5, s[40:41]
	v_and_b32_e32 v15, 0x80000000, v15
	v_cndmask_b32_e64 v14, v3, v14, s[40:41]
	v_lshl_add_u32 v5, v5, 23, v15
	v_cmp_gt_i16_sdwa s[42:43], sext(v9), v48 src0_sel:BYTE_0 src1_sel:DWORD
	v_lshl_or_b32 v5, v14, 21, v5
	v_cmp_eq_u32_e64 s[40:41], 0, v3
	v_cndmask_b32_e64 v3, v7, v0, s[42:43]
	v_add_u32_e32 v5, 0x38000000, v5
	v_cndmask_b32_e64 v3, v35, v3, s[40:41]
	v_cndmask_b32_e32 v3, v5, v3, vcc
.LBB2_9193:                             ;   in Loop: Header=BB2_8591 Depth=3
	s_or_b64 exec, exec, s[38:39]
	v_add_f32_e32 v15, v2, v3
	v_and_b32_e32 v30, 0x7f800000, v15
	v_mov_b32_e32 v31, v29
	v_cmp_ne_u64_e32 vcc, s[76:77], v[30:31]
	v_and_b32_e32 v2, 0x7fffff, v15
	v_mov_b32_e32 v3, v29
                                        ; implicit-def: $vgpr14
	s_and_saveexec_b64 s[40:41], vcc
	s_xor_b64 s[42:43], exec, s[40:41]
	s_cbranch_execz .LBB2_9207
; %bb.9194:                             ;   in Loop: Header=BB2_8591 Depth=3
	v_and_b32_e32 v30, 0x7fffffff, v15
	v_mov_b32_e32 v31, v29
	v_cmp_gt_u64_e32 vcc, s[78:79], v[30:31]
	v_and_b32_sdwa v5, v15, s96 dst_sel:DWORD dst_unused:UNUSED_PAD src0_sel:BYTE_3 src1_sel:DWORD
                                        ; implicit-def: $vgpr14
	s_and_saveexec_b64 s[40:41], vcc
	s_xor_b64 s[38:39], exec, s[40:41]
	s_cbranch_execz .LBB2_9204
; %bb.9195:                             ;   in Loop: Header=BB2_8591 Depth=3
	v_mov_b32_e32 v14, 0
	v_cmp_ne_u32_e32 vcc, 0, v15
	s_and_saveexec_b64 s[48:49], vcc
	s_cbranch_execz .LBB2_9203
; %bb.9196:                             ;   in Loop: Header=BB2_8591 Depth=3
	v_bfe_u32 v49, v15, 23, 8
	v_cmp_gt_u32_e64 s[40:41], s46, v49
	v_sub_u32_e32 v14, 0x71, v49
	v_cmp_eq_u32_e32 vcc, 0, v49
	v_cndmask_b32_e64 v14, 0, v14, s[40:41]
	v_mov_b32_e32 v16, 0x70
	v_cndmask_b32_e32 v60, v14, v16, vcc
	v_or_b32_e32 v15, 0x800000, v2
	v_add_u32_e32 v14, 21, v60
	v_cndmask_b32_e32 v2, v15, v2, vcc
	v_lshlrev_b64 v[14:15], v14, -1
	v_add_u32_e32 v16, 20, v60
	v_bfi_b32 v14, v14, 0, v2
	v_lshlrev_b64 v[30:31], v16, 1
	v_lshrrev_b64 v[2:3], v60, v[2:3]
	v_bfi_b32 v15, v15, 0, 0
	v_cmp_eq_u64_e64 s[40:41], v[14:15], v[30:31]
	v_mov_b32_e32 v15, v3
	v_mov_b32_e32 v14, v2
	s_and_saveexec_b64 s[50:51], s[40:41]
; %bb.9197:                             ;   in Loop: Header=BB2_8591 Depth=3
	v_bfe_u32 v3, v2, 21, 1
	v_add_co_u32_e64 v3, s[40:41], v2, v3
	v_add_co_u32_e64 v14, s[40:41], -1, v3
; %bb.9198:                             ;   in Loop: Header=BB2_8591 Depth=3
	s_or_b64 exec, exec, s[50:51]
	v_add_u32_e32 v3, 0xffffff81, v49
	v_cndmask_b32_e32 v3, v3, v1, vcc
	v_lshrrev_b32_e32 v15, 23, v2
	v_add3_u32 v49, v60, v3, v15
	v_add_u32_e32 v15, 14, v49
	v_and_b32_e32 v3, 0x1fffff, v14
	v_add_u32_e32 v2, v3, v2
	v_mov_b32_e32 v3, v29
	v_cmp_ne_u32_e32 vcc, 0, v15
                                        ; implicit-def: $vgpr14
	s_and_saveexec_b64 s[40:41], vcc
	s_xor_b64 s[40:41], exec, s[40:41]
; %bb.9199:                             ;   in Loop: Header=BB2_8591 Depth=3
	v_cmp_lt_u64_e32 vcc, s[88:89], v[2:3]
	v_add_u32_e32 v14, 15, v49
	v_cndmask_b32_e32 v14, v15, v14, vcc
	v_cndmask_b32_e64 v15, 0, 1, vcc
	v_lshrrev_b64 v[2:3], v15, v[2:3]
; %bb.9200:                             ;   in Loop: Header=BB2_8591 Depth=3
	s_andn2_saveexec_b64 s[40:41], s[40:41]
; %bb.9201:                             ;   in Loop: Header=BB2_8591 Depth=3
	v_bfe_u32 v14, v2, 23, 1
; %bb.9202:                             ;   in Loop: Header=BB2_8591 Depth=3
	s_or_b64 exec, exec, s[40:41]
	v_lshrrev_b64 v[2:3], 21, v[2:3]
	v_cmp_gt_i32_e32 vcc, 32, v14
	v_cndmask_b32_e32 v3, 0, v3, vcc
	v_cndmask_b32_e32 v2, 3, v2, vcc
	v_cmp_eq_u64_e64 s[40:41], 0, v[2:3]
	v_min_i32_e32 v3, 31, v14
	v_lshlrev_b32_e32 v3, 2, v3
	v_cmp_eq_u32_e32 vcc, 0, v14
	v_and_b32_e32 v3, 0xfc, v3
	v_and_or_b32 v2, v2, 3, v3
	s_and_b64 s[40:41], vcc, s[40:41]
	v_cndmask_b32_e64 v2, v2, 0, s[40:41]
	v_or_b32_e32 v14, v2, v5
.LBB2_9203:                             ;   in Loop: Header=BB2_8591 Depth=3
	s_or_b64 exec, exec, s[48:49]
                                        ; implicit-def: $vgpr5
.LBB2_9204:                             ;   in Loop: Header=BB2_8591 Depth=3
	s_andn2_saveexec_b64 s[40:41], s[38:39]
; %bb.9205:                             ;   in Loop: Header=BB2_8591 Depth=3
	v_or_b32_e32 v14, 0x7b, v5
; %bb.9206:                             ;   in Loop: Header=BB2_8591 Depth=3
	s_or_b64 exec, exec, s[40:41]
                                        ; implicit-def: $vgpr15
                                        ; implicit-def: $vgpr2_vgpr3
.LBB2_9207:                             ;   in Loop: Header=BB2_8591 Depth=3
	s_andn2_saveexec_b64 s[40:41], s[42:43]
	s_cbranch_execz .LBB2_9213
; %bb.9208:                             ;   in Loop: Header=BB2_8591 Depth=3
	v_cmp_ne_u64_e32 vcc, 0, v[2:3]
                                        ; implicit-def: $vgpr14
	s_and_saveexec_b64 s[42:43], vcc
	s_xor_b64 s[42:43], exec, s[42:43]
; %bb.9209:                             ;   in Loop: Header=BB2_8591 Depth=3
	v_or_b32_sdwa v14, v15, s47 dst_sel:DWORD dst_unused:UNUSED_PAD src0_sel:BYTE_3 src1_sel:DWORD
                                        ; implicit-def: $vgpr15
; %bb.9210:                             ;   in Loop: Header=BB2_8591 Depth=3
	s_andn2_saveexec_b64 s[42:43], s[42:43]
; %bb.9211:                             ;   in Loop: Header=BB2_8591 Depth=3
	v_cmp_lt_i32_e32 vcc, -1, v15
	v_cndmask_b32_e32 v14, v6, v22, vcc
; %bb.9212:                             ;   in Loop: Header=BB2_8591 Depth=3
	s_or_b64 exec, exec, s[42:43]
.LBB2_9213:                             ;   in Loop: Header=BB2_8591 Depth=3
	s_or_b64 exec, exec, s[40:41]
	v_lshrrev_b16_e32 v2, 8, v17
	v_cmp_ne_u16_e32 vcc, 0, v2
	v_mov_b32_e32 v5, 0
	s_and_saveexec_b64 s[40:41], vcc
	s_cbranch_execz .LBB2_9221
; %bb.9214:                             ;   in Loop: Header=BB2_8591 Depth=3
	v_cmp_ne_u16_e32 vcc, s96, v2
	v_bfrev_b32_e32 v5, 1
	s_and_saveexec_b64 s[42:43], vcc
	s_cbranch_execz .LBB2_9220
; %bb.9215:                             ;   in Loop: Header=BB2_8591 Depth=3
	v_and_b32_e32 v3, 0x7c, v2
	v_and_b32_e32 v15, 3, v2
	v_cmp_ne_u32_e32 vcc, s85, v3
                                        ; implicit-def: $vgpr5
	s_and_saveexec_b64 s[38:39], vcc
	s_xor_b64 s[38:39], exec, s[38:39]
	s_cbranch_execz .LBB2_9217
; %bb.9216:                             ;   in Loop: Header=BB2_8591 Depth=3
	v_ffbh_u32_e32 v16, v15
	v_min_u32_e32 v16, 32, v16
	v_mov_b32_e32 v3, v29
	v_subrev_u32_e32 v30, 29, v16
	v_bfe_u32 v5, v2, 2, 5
	v_lshlrev_b64 v[2:3], v30, v[2:3]
	v_sub_u32_e32 v3, 30, v16
	v_cmp_eq_u32_e32 vcc, 0, v5
	v_cndmask_b32_e32 v3, v5, v3, vcc
	v_lshlrev_b32_e32 v5, 16, v17
	v_and_b32_e32 v2, 3, v2
	v_and_b32_e32 v5, 0x80000000, v5
	v_cndmask_b32_e32 v2, v15, v2, vcc
	v_lshl_add_u32 v3, v3, 23, v5
	v_lshl_or_b32 v2, v2, 21, v3
	v_add_u32_e32 v5, 0x38000000, v2
                                        ; implicit-def: $vgpr15
                                        ; implicit-def: $vgpr17
.LBB2_9217:                             ;   in Loop: Header=BB2_8591 Depth=3
	s_andn2_saveexec_b64 s[38:39], s[38:39]
; %bb.9218:                             ;   in Loop: Header=BB2_8591 Depth=3
	v_cmp_lt_i16_e32 vcc, -1, v17
	v_cndmask_b32_e32 v2, v7, v0, vcc
	v_cmp_eq_u32_e32 vcc, 0, v15
	v_cndmask_b32_e32 v5, v35, v2, vcc
; %bb.9219:                             ;   in Loop: Header=BB2_8591 Depth=3
	s_or_b64 exec, exec, s[38:39]
.LBB2_9220:                             ;   in Loop: Header=BB2_8591 Depth=3
	s_or_b64 exec, exec, s[42:43]
.LBB2_9221:                             ;   in Loop: Header=BB2_8591 Depth=3
	s_or_b64 exec, exec, s[40:41]
	v_lshrrev_b16_e32 v2, 8, v4
	v_cmp_lt_i16_e32 vcc, s47, v2
	s_mov_b64 s[40:41], 0
	s_and_saveexec_b64 s[42:43], vcc
	s_xor_b64 s[42:43], exec, s[42:43]
	s_cbranch_execz .LBB2_9576
; %bb.9222:                             ;   in Loop: Header=BB2_8591 Depth=3
	v_cmp_eq_u16_e32 vcc, s96, v2
	s_mov_b64 s[40:41], -1
	s_and_saveexec_b64 s[38:39], vcc
; %bb.9223:                             ;   in Loop: Header=BB2_8591 Depth=3
	s_xor_b64 s[40:41], exec, -1
; %bb.9224:                             ;   in Loop: Header=BB2_8591 Depth=3
	s_or_b64 exec, exec, s[38:39]
	s_and_b64 s[40:41], s[40:41], exec
	s_or_saveexec_b64 s[42:43], s[42:43]
	v_bfrev_b32_e32 v3, 1
	s_xor_b64 exec, exec, s[42:43]
	s_cbranch_execnz .LBB2_9577
.LBB2_9225:                             ;   in Loop: Header=BB2_8591 Depth=3
	s_or_b64 exec, exec, s[42:43]
	s_and_saveexec_b64 s[38:39], s[40:41]
	s_cbranch_execz .LBB2_9227
.LBB2_9226:                             ;   in Loop: Header=BB2_8591 Depth=3
	v_and_b32_e32 v17, 3, v2
	v_and_b32_e32 v15, 0x7c, v2
	v_cmp_eq_u32_e32 vcc, s85, v15
	v_ffbh_u32_e32 v15, v17
	v_min_u32_e32 v31, 32, v15
	v_mov_b32_e32 v3, v29
	v_subrev_u32_e32 v15, 29, v31
	v_bfe_u32 v30, v2, 2, 5
	v_lshlrev_b64 v[15:16], v15, v[2:3]
	v_cmp_eq_u32_e64 s[40:41], 0, v30
	v_sub_u32_e32 v3, 30, v31
	v_lshlrev_b32_e32 v2, 24, v2
	v_and_b32_e32 v15, 3, v15
	v_cndmask_b32_e64 v3, v30, v3, s[40:41]
	v_and_b32_e32 v2, 0x80000000, v2
	v_cndmask_b32_e64 v15, v17, v15, s[40:41]
	v_lshl_add_u32 v2, v3, 23, v2
	v_cmp_lt_i16_e64 s[42:43], -1, v4
	v_lshl_or_b32 v2, v15, 21, v2
	v_cmp_eq_u32_e64 s[40:41], 0, v17
	v_cndmask_b32_e64 v3, v7, v0, s[42:43]
	v_add_u32_e32 v2, 0x38000000, v2
	v_cndmask_b32_e64 v3, v35, v3, s[40:41]
	v_cndmask_b32_e32 v3, v2, v3, vcc
.LBB2_9227:                             ;   in Loop: Header=BB2_8591 Depth=3
	s_or_b64 exec, exec, s[38:39]
	v_add_f32_e32 v4, v5, v3
	v_and_b32_e32 v15, 0x7f800000, v4
	v_mov_b32_e32 v16, v29
	v_cmp_ne_u64_e32 vcc, s[76:77], v[15:16]
	v_and_b32_e32 v2, 0x7fffff, v4
	v_mov_b32_e32 v3, v29
                                        ; implicit-def: $vgpr15
	s_and_saveexec_b64 s[40:41], vcc
	s_xor_b64 s[42:43], exec, s[40:41]
	s_cbranch_execz .LBB2_9241
; %bb.9228:                             ;   in Loop: Header=BB2_8591 Depth=3
	v_and_b32_e32 v15, 0x7fffffff, v4
	v_mov_b32_e32 v16, v29
	v_cmp_gt_u64_e32 vcc, s[78:79], v[15:16]
	v_and_b32_sdwa v5, v4, s96 dst_sel:DWORD dst_unused:UNUSED_PAD src0_sel:BYTE_3 src1_sel:DWORD
                                        ; implicit-def: $vgpr15
	s_and_saveexec_b64 s[40:41], vcc
	s_xor_b64 s[38:39], exec, s[40:41]
	s_cbranch_execz .LBB2_9238
; %bb.9229:                             ;   in Loop: Header=BB2_8591 Depth=3
	v_mov_b32_e32 v15, 0
	v_cmp_ne_u32_e32 vcc, 0, v4
	s_and_saveexec_b64 s[48:49], vcc
	s_cbranch_execz .LBB2_9237
; %bb.9230:                             ;   in Loop: Header=BB2_8591 Depth=3
	v_bfe_u32 v15, v4, 23, 8
	v_cmp_gt_u32_e64 s[40:41], s46, v15
	v_sub_u32_e32 v4, 0x71, v15
	v_cmp_eq_u32_e32 vcc, 0, v15
	v_cndmask_b32_e64 v4, 0, v4, s[40:41]
	v_mov_b32_e32 v17, 0x70
	v_cndmask_b32_e32 v17, v4, v17, vcc
	v_add_u32_e32 v4, 21, v17
	v_or_b32_e32 v16, 0x800000, v2
	v_lshlrev_b64 v[30:31], v4, -1
	v_cndmask_b32_e32 v2, v16, v2, vcc
	v_add_u32_e32 v4, 20, v17
	v_bfi_b32 v30, v30, 0, v2
	v_lshlrev_b64 v[38:39], v4, 1
	v_lshrrev_b64 v[2:3], v17, v[2:3]
	v_bfi_b32 v31, v31, 0, 0
	v_cmp_eq_u64_e64 s[40:41], v[30:31], v[38:39]
	v_mov_b32_e32 v4, v3
	v_mov_b32_e32 v3, v2
	s_and_saveexec_b64 s[50:51], s[40:41]
; %bb.9231:                             ;   in Loop: Header=BB2_8591 Depth=3
	v_bfe_u32 v3, v2, 21, 1
	v_add_co_u32_e64 v3, s[40:41], v2, v3
	v_add_co_u32_e64 v3, s[40:41], -1, v3
; %bb.9232:                             ;   in Loop: Header=BB2_8591 Depth=3
	s_or_b64 exec, exec, s[50:51]
	v_add_u32_e32 v4, 0xffffff81, v15
	v_cndmask_b32_e32 v4, v4, v1, vcc
	v_lshrrev_b32_e32 v15, 23, v2
	v_add3_u32 v17, v17, v4, v15
	v_add_u32_e32 v15, 14, v17
	v_and_b32_e32 v3, 0x1fffff, v3
	v_add_u32_e32 v2, v3, v2
	v_mov_b32_e32 v3, v29
	v_cmp_ne_u32_e32 vcc, 0, v15
                                        ; implicit-def: $vgpr4
	s_and_saveexec_b64 s[40:41], vcc
	s_xor_b64 s[40:41], exec, s[40:41]
; %bb.9233:                             ;   in Loop: Header=BB2_8591 Depth=3
	v_cmp_lt_u64_e32 vcc, s[88:89], v[2:3]
	v_add_u32_e32 v4, 15, v17
	v_cndmask_b32_e32 v4, v15, v4, vcc
	v_cndmask_b32_e64 v15, 0, 1, vcc
	v_lshrrev_b64 v[2:3], v15, v[2:3]
; %bb.9234:                             ;   in Loop: Header=BB2_8591 Depth=3
	s_andn2_saveexec_b64 s[40:41], s[40:41]
; %bb.9235:                             ;   in Loop: Header=BB2_8591 Depth=3
	v_bfe_u32 v4, v2, 23, 1
; %bb.9236:                             ;   in Loop: Header=BB2_8591 Depth=3
	s_or_b64 exec, exec, s[40:41]
	v_lshrrev_b64 v[2:3], 21, v[2:3]
	v_cmp_gt_i32_e32 vcc, 32, v4
	v_cndmask_b32_e32 v3, 0, v3, vcc
	v_cndmask_b32_e32 v2, 3, v2, vcc
	v_cmp_eq_u64_e64 s[40:41], 0, v[2:3]
	v_min_i32_e32 v3, 31, v4
	v_lshlrev_b32_e32 v3, 2, v3
	v_cmp_eq_u32_e32 vcc, 0, v4
	v_and_b32_e32 v3, 0xfc, v3
	v_and_or_b32 v2, v2, 3, v3
	s_and_b64 s[40:41], vcc, s[40:41]
	v_cndmask_b32_e64 v2, v2, 0, s[40:41]
	v_or_b32_e32 v15, v2, v5
.LBB2_9237:                             ;   in Loop: Header=BB2_8591 Depth=3
	s_or_b64 exec, exec, s[48:49]
                                        ; implicit-def: $vgpr5
.LBB2_9238:                             ;   in Loop: Header=BB2_8591 Depth=3
	s_andn2_saveexec_b64 s[40:41], s[38:39]
; %bb.9239:                             ;   in Loop: Header=BB2_8591 Depth=3
	v_or_b32_e32 v15, 0x7b, v5
; %bb.9240:                             ;   in Loop: Header=BB2_8591 Depth=3
	s_or_b64 exec, exec, s[40:41]
                                        ; implicit-def: $vgpr4
                                        ; implicit-def: $vgpr2_vgpr3
.LBB2_9241:                             ;   in Loop: Header=BB2_8591 Depth=3
	s_andn2_saveexec_b64 s[40:41], s[42:43]
	s_cbranch_execz .LBB2_9247
; %bb.9242:                             ;   in Loop: Header=BB2_8591 Depth=3
	v_cmp_ne_u64_e32 vcc, 0, v[2:3]
                                        ; implicit-def: $vgpr15
	s_and_saveexec_b64 s[42:43], vcc
	s_xor_b64 s[42:43], exec, s[42:43]
; %bb.9243:                             ;   in Loop: Header=BB2_8591 Depth=3
	v_or_b32_sdwa v15, v4, s47 dst_sel:DWORD dst_unused:UNUSED_PAD src0_sel:BYTE_3 src1_sel:DWORD
                                        ; implicit-def: $vgpr4
; %bb.9244:                             ;   in Loop: Header=BB2_8591 Depth=3
	s_andn2_saveexec_b64 s[42:43], s[42:43]
; %bb.9245:                             ;   in Loop: Header=BB2_8591 Depth=3
	v_cmp_lt_i32_e32 vcc, -1, v4
	v_cndmask_b32_e32 v15, v6, v22, vcc
; %bb.9246:                             ;   in Loop: Header=BB2_8591 Depth=3
	s_or_b64 exec, exec, s[42:43]
.LBB2_9247:                             ;   in Loop: Header=BB2_8591 Depth=3
	s_or_b64 exec, exec, s[40:41]
	v_and_b32_sdwa v4, v28, s87 dst_sel:DWORD dst_unused:UNUSED_PAD src0_sel:WORD_1 src1_sel:DWORD
	v_lshrrev_b32_e32 v2, 16, v28
	v_cmp_ne_u16_e32 vcc, 0, v4
	v_mov_b32_e32 v3, 0
	s_and_saveexec_b64 s[40:41], vcc
	s_cbranch_execz .LBB2_9255
; %bb.9248:                             ;   in Loop: Header=BB2_8591 Depth=3
	v_cmp_ne_u16_e32 vcc, s96, v4
	v_bfrev_b32_e32 v3, 1
	s_and_saveexec_b64 s[42:43], vcc
	s_cbranch_execz .LBB2_9254
; %bb.9249:                             ;   in Loop: Header=BB2_8591 Depth=3
	v_and_b32_e32 v3, 0x7c0000, v28
	v_bfe_u32 v4, v28, 16, 2
	v_cmp_ne_u32_e32 vcc, s44, v3
                                        ; implicit-def: $vgpr3
	s_and_saveexec_b64 s[38:39], vcc
	s_xor_b64 s[38:39], exec, s[38:39]
	s_cbranch_execz .LBB2_9251
; %bb.9250:                             ;   in Loop: Header=BB2_8591 Depth=3
	v_ffbh_u32_e32 v3, v4
	v_min_u32_e32 v16, 32, v3
	v_subrev_u32_e32 v3, 29, v16
	v_lshlrev_b64 v[2:3], v3, v[2:3]
	v_bfe_u32 v5, v28, 18, 5
	v_and_b32_e32 v2, 3, v2
	v_cmp_eq_u32_e32 vcc, 0, v5
	v_sub_u32_e32 v3, 30, v16
	v_cndmask_b32_e32 v2, v4, v2, vcc
	v_lshlrev_b32_e32 v4, 8, v28
	v_cndmask_b32_e32 v3, v5, v3, vcc
	v_and_b32_e32 v4, 0x80000000, v4
	v_lshl_add_u32 v3, v3, 23, v4
	v_lshl_or_b32 v2, v2, 21, v3
	v_add_u32_e32 v3, 0x38000000, v2
                                        ; implicit-def: $vgpr4
                                        ; implicit-def: $vgpr2
.LBB2_9251:                             ;   in Loop: Header=BB2_8591 Depth=3
	s_andn2_saveexec_b64 s[38:39], s[38:39]
; %bb.9252:                             ;   in Loop: Header=BB2_8591 Depth=3
	v_cmp_gt_i16_sdwa vcc, sext(v2), v48 src0_sel:BYTE_0 src1_sel:DWORD
	v_cndmask_b32_e32 v2, v7, v0, vcc
	v_cmp_eq_u32_e32 vcc, 0, v4
	v_cndmask_b32_e32 v3, v35, v2, vcc
; %bb.9253:                             ;   in Loop: Header=BB2_8591 Depth=3
	s_or_b64 exec, exec, s[38:39]
.LBB2_9254:                             ;   in Loop: Header=BB2_8591 Depth=3
	s_or_b64 exec, exec, s[42:43]
.LBB2_9255:                             ;   in Loop: Header=BB2_8591 Depth=3
	s_or_b64 exec, exec, s[40:41]
	v_lshrrev_b32_e32 v2, 16, v9
	v_cmp_gt_i16_sdwa s[42:43], v2, s47 src0_sel:BYTE_0 src1_sel:DWORD
	s_mov_b64 s[40:41], 0
	s_and_saveexec_b64 vcc, s[42:43]
	s_xor_b64 s[42:43], exec, vcc
	s_cbranch_execz .LBB2_9578
; %bb.9256:                             ;   in Loop: Header=BB2_8591 Depth=3
	v_cmp_eq_u16_sdwa s[38:39], v2, s96 src0_sel:BYTE_0 src1_sel:DWORD
	s_mov_b64 s[40:41], -1
	s_and_saveexec_b64 vcc, s[38:39]
; %bb.9257:                             ;   in Loop: Header=BB2_8591 Depth=3
	s_xor_b64 s[40:41], exec, -1
; %bb.9258:                             ;   in Loop: Header=BB2_8591 Depth=3
	s_or_b64 exec, exec, vcc
	s_and_b64 s[40:41], s[40:41], exec
	s_or_saveexec_b64 s[42:43], s[42:43]
	v_bfrev_b32_e32 v4, 1
	s_xor_b64 exec, exec, s[42:43]
	s_cbranch_execnz .LBB2_9579
.LBB2_9259:                             ;   in Loop: Header=BB2_8591 Depth=3
	s_or_b64 exec, exec, s[42:43]
	s_and_saveexec_b64 s[38:39], s[40:41]
	s_cbranch_execz .LBB2_9261
.LBB2_9260:                             ;   in Loop: Header=BB2_8591 Depth=3
	v_and_b32_e32 v16, 3, v2
	v_and_b32_e32 v4, 0x7c0000, v9
	v_cmp_eq_u32_e32 vcc, s44, v4
	v_ffbh_u32_e32 v4, v16
	v_min_u32_e32 v30, 32, v4
	v_subrev_u32_e32 v4, 29, v30
	v_bfe_u32 v17, v9, 18, 5
	v_lshlrev_b64 v[4:5], v4, v[2:3]
	v_cmp_eq_u32_e64 s[40:41], 0, v17
	v_sub_u32_e32 v5, 30, v30
	v_cndmask_b32_e64 v5, v17, v5, s[40:41]
	v_lshlrev_b32_e32 v17, 24, v2
	v_and_b32_e32 v4, 3, v4
	v_and_b32_e32 v17, 0x80000000, v17
	v_cndmask_b32_e64 v4, v16, v4, s[40:41]
	v_lshl_add_u32 v5, v5, 23, v17
	v_cmp_gt_i16_sdwa s[42:43], sext(v2), v48 src0_sel:BYTE_0 src1_sel:DWORD
	v_lshl_or_b32 v4, v4, 21, v5
	v_cmp_eq_u32_e64 s[40:41], 0, v16
	v_cndmask_b32_e64 v2, v7, v0, s[42:43]
	v_add_u32_e32 v4, 0x38000000, v4
	v_cndmask_b32_e64 v2, v35, v2, s[40:41]
	v_cndmask_b32_e32 v4, v4, v2, vcc
.LBB2_9261:                             ;   in Loop: Header=BB2_8591 Depth=3
	s_or_b64 exec, exec, s[38:39]
	v_add_f32_e32 v4, v3, v4
	v_and_b32_e32 v16, 0x7f800000, v4
	v_mov_b32_e32 v17, v29
	v_cmp_ne_u64_e32 vcc, s[76:77], v[16:17]
	v_and_b32_e32 v2, 0x7fffff, v4
	v_mov_b32_e32 v3, v29
                                        ; implicit-def: $vgpr60
	s_and_saveexec_b64 s[40:41], vcc
	s_xor_b64 s[42:43], exec, s[40:41]
	s_cbranch_execz .LBB2_9275
; %bb.9262:                             ;   in Loop: Header=BB2_8591 Depth=3
	v_and_b32_e32 v16, 0x7fffffff, v4
	v_mov_b32_e32 v17, v29
	v_cmp_gt_u64_e32 vcc, s[78:79], v[16:17]
	v_and_b32_sdwa v5, v4, s96 dst_sel:DWORD dst_unused:UNUSED_PAD src0_sel:BYTE_3 src1_sel:DWORD
                                        ; implicit-def: $vgpr60
	s_and_saveexec_b64 s[40:41], vcc
	s_xor_b64 s[38:39], exec, s[40:41]
	s_cbranch_execz .LBB2_9272
; %bb.9263:                             ;   in Loop: Header=BB2_8591 Depth=3
	v_mov_b32_e32 v60, 0
	v_cmp_ne_u32_e32 vcc, 0, v4
	s_and_saveexec_b64 s[48:49], vcc
	s_cbranch_execz .LBB2_9271
; %bb.9264:                             ;   in Loop: Header=BB2_8591 Depth=3
	v_bfe_u32 v17, v4, 23, 8
	v_cmp_gt_u32_e64 s[40:41], s46, v17
	v_sub_u32_e32 v4, 0x71, v17
	v_cmp_eq_u32_e32 vcc, 0, v17
	v_cndmask_b32_e64 v4, 0, v4, s[40:41]
	v_mov_b32_e32 v30, 0x70
	v_cndmask_b32_e32 v49, v4, v30, vcc
	v_add_u32_e32 v4, 21, v49
	v_or_b32_e32 v16, 0x800000, v2
	v_lshlrev_b64 v[30:31], v4, -1
	v_cndmask_b32_e32 v2, v16, v2, vcc
	v_add_u32_e32 v4, 20, v49
	v_bfi_b32 v30, v30, 0, v2
	v_lshlrev_b64 v[38:39], v4, 1
	v_lshrrev_b64 v[2:3], v49, v[2:3]
	v_bfi_b32 v31, v31, 0, 0
	v_cmp_eq_u64_e64 s[40:41], v[30:31], v[38:39]
	v_mov_b32_e32 v4, v3
	v_mov_b32_e32 v3, v2
	s_and_saveexec_b64 s[50:51], s[40:41]
; %bb.9265:                             ;   in Loop: Header=BB2_8591 Depth=3
	v_bfe_u32 v3, v2, 21, 1
	v_add_co_u32_e64 v3, s[40:41], v2, v3
	v_add_co_u32_e64 v3, s[40:41], -1, v3
; %bb.9266:                             ;   in Loop: Header=BB2_8591 Depth=3
	s_or_b64 exec, exec, s[50:51]
	v_add_u32_e32 v4, 0xffffff81, v17
	v_cndmask_b32_e32 v4, v4, v1, vcc
	v_lshrrev_b32_e32 v16, 23, v2
	v_add3_u32 v49, v49, v4, v16
	v_add_u32_e32 v17, 14, v49
	v_and_b32_e32 v3, 0x1fffff, v3
	v_add_u32_e32 v2, v3, v2
	v_mov_b32_e32 v3, v29
	v_cmp_ne_u32_e32 vcc, 0, v17
                                        ; implicit-def: $vgpr4
	s_and_saveexec_b64 s[40:41], vcc
	s_xor_b64 s[40:41], exec, s[40:41]
; %bb.9267:                             ;   in Loop: Header=BB2_8591 Depth=3
	v_cmp_lt_u64_e32 vcc, s[88:89], v[2:3]
	v_add_u32_e32 v4, 15, v49
	v_cndmask_b32_e64 v16, 0, 1, vcc
	v_cndmask_b32_e32 v4, v17, v4, vcc
	v_lshrrev_b64 v[2:3], v16, v[2:3]
; %bb.9268:                             ;   in Loop: Header=BB2_8591 Depth=3
	s_andn2_saveexec_b64 s[40:41], s[40:41]
; %bb.9269:                             ;   in Loop: Header=BB2_8591 Depth=3
	v_bfe_u32 v4, v2, 23, 1
; %bb.9270:                             ;   in Loop: Header=BB2_8591 Depth=3
	s_or_b64 exec, exec, s[40:41]
	v_lshrrev_b64 v[2:3], 21, v[2:3]
	v_cmp_gt_i32_e32 vcc, 32, v4
	v_cndmask_b32_e32 v3, 0, v3, vcc
	v_cndmask_b32_e32 v2, 3, v2, vcc
	v_cmp_eq_u64_e64 s[40:41], 0, v[2:3]
	v_min_i32_e32 v3, 31, v4
	v_lshlrev_b32_e32 v3, 2, v3
	v_cmp_eq_u32_e32 vcc, 0, v4
	v_and_b32_e32 v3, 0xfc, v3
	v_and_or_b32 v2, v2, 3, v3
	s_and_b64 s[40:41], vcc, s[40:41]
	v_cndmask_b32_e64 v2, v2, 0, s[40:41]
	v_or_b32_e32 v60, v2, v5
.LBB2_9271:                             ;   in Loop: Header=BB2_8591 Depth=3
	s_or_b64 exec, exec, s[48:49]
                                        ; implicit-def: $vgpr5
.LBB2_9272:                             ;   in Loop: Header=BB2_8591 Depth=3
	s_andn2_saveexec_b64 s[40:41], s[38:39]
; %bb.9273:                             ;   in Loop: Header=BB2_8591 Depth=3
	v_or_b32_e32 v60, 0x7b, v5
; %bb.9274:                             ;   in Loop: Header=BB2_8591 Depth=3
	s_or_b64 exec, exec, s[40:41]
                                        ; implicit-def: $vgpr4
                                        ; implicit-def: $vgpr2_vgpr3
.LBB2_9275:                             ;   in Loop: Header=BB2_8591 Depth=3
	s_andn2_saveexec_b64 s[40:41], s[42:43]
	s_cbranch_execz .LBB2_9281
; %bb.9276:                             ;   in Loop: Header=BB2_8591 Depth=3
	v_cmp_ne_u64_e32 vcc, 0, v[2:3]
                                        ; implicit-def: $vgpr60
	s_and_saveexec_b64 s[42:43], vcc
	s_xor_b64 s[42:43], exec, s[42:43]
; %bb.9277:                             ;   in Loop: Header=BB2_8591 Depth=3
	v_or_b32_sdwa v60, v4, s47 dst_sel:DWORD dst_unused:UNUSED_PAD src0_sel:BYTE_3 src1_sel:DWORD
                                        ; implicit-def: $vgpr4
; %bb.9278:                             ;   in Loop: Header=BB2_8591 Depth=3
	s_andn2_saveexec_b64 s[42:43], s[42:43]
; %bb.9279:                             ;   in Loop: Header=BB2_8591 Depth=3
	v_cmp_lt_i32_e32 vcc, -1, v4
	v_cndmask_b32_e32 v60, v6, v22, vcc
; %bb.9280:                             ;   in Loop: Header=BB2_8591 Depth=3
	s_or_b64 exec, exec, s[42:43]
.LBB2_9281:                             ;   in Loop: Header=BB2_8591 Depth=3
	s_or_b64 exec, exec, s[40:41]
	v_cmp_lt_u32_e32 vcc, s57, v28
	v_mov_b32_e32 v3, 0
	s_and_saveexec_b64 s[40:41], vcc
	s_cbranch_execz .LBB2_9289
; %bb.9282:                             ;   in Loop: Header=BB2_8591 Depth=3
	v_lshrrev_b32_e32 v2, 24, v28
	v_cmp_ne_u32_e32 vcc, s96, v2
	v_bfrev_b32_e32 v3, 1
	s_and_saveexec_b64 s[42:43], vcc
	s_cbranch_execz .LBB2_9288
; %bb.9283:                             ;   in Loop: Header=BB2_8591 Depth=3
	v_and_b32_e32 v3, 0x7c000000, v28
	v_bfe_u32 v4, v28, 24, 2
	v_cmp_ne_u32_e32 vcc, s45, v3
                                        ; implicit-def: $vgpr3
	s_and_saveexec_b64 s[38:39], vcc
	s_xor_b64 s[38:39], exec, s[38:39]
	s_cbranch_execz .LBB2_9285
; %bb.9284:                             ;   in Loop: Header=BB2_8591 Depth=3
	v_ffbh_u32_e32 v3, v4
	v_min_u32_e32 v16, 32, v3
	v_subrev_u32_e32 v3, 29, v16
	v_lshlrev_b64 v[2:3], v3, v[2:3]
	v_bfe_u32 v5, v28, 26, 5
	v_sub_u32_e32 v3, 30, v16
	v_and_b32_e32 v2, 3, v2
	v_cmp_eq_u32_e32 vcc, 0, v5
	v_cndmask_b32_e32 v3, v5, v3, vcc
	v_cndmask_b32_e32 v2, v4, v2, vcc
	v_and_b32_e32 v4, 0x80000000, v28
	v_lshl_add_u32 v3, v3, 23, v4
	v_lshl_or_b32 v2, v2, 21, v3
	v_add_u32_e32 v3, 0x38000000, v2
                                        ; implicit-def: $vgpr4
.LBB2_9285:                             ;   in Loop: Header=BB2_8591 Depth=3
	s_andn2_saveexec_b64 s[38:39], s[38:39]
; %bb.9286:                             ;   in Loop: Header=BB2_8591 Depth=3
	v_cmp_lt_i32_e32 vcc, -1, v28
	v_cndmask_b32_e32 v2, v7, v0, vcc
	v_cmp_eq_u32_e32 vcc, 0, v4
	v_cndmask_b32_e32 v3, v35, v2, vcc
; %bb.9287:                             ;   in Loop: Header=BB2_8591 Depth=3
	s_or_b64 exec, exec, s[38:39]
.LBB2_9288:                             ;   in Loop: Header=BB2_8591 Depth=3
	s_or_b64 exec, exec, s[42:43]
.LBB2_9289:                             ;   in Loop: Header=BB2_8591 Depth=3
	s_or_b64 exec, exec, s[40:41]
	v_bfe_u32 v16, v9, 24, 2
	v_and_b32_e32 v4, 0x7c000000, v9
	v_cmp_eq_u32_e32 vcc, s45, v4
	v_ffbh_u32_e32 v4, v16
	v_min_u32_e32 v28, 32, v4
	v_lshrrev_b32_e32 v2, 24, v9
	v_subrev_u32_e32 v4, 29, v28
	v_bfe_u32 v17, v9, 26, 5
	v_lshlrev_b64 v[4:5], v4, v[2:3]
	v_cmp_eq_u32_e64 s[40:41], 0, v17
	v_sub_u32_e32 v5, 30, v28
	v_and_b32_e32 v4, 3, v4
	v_cndmask_b32_e64 v5, v17, v5, s[40:41]
	v_and_b32_e32 v17, 0x80000000, v9
	v_cmp_lt_i64_e64 s[42:43], -1, v[8:9]
	v_cndmask_b32_e64 v4, v16, v4, s[40:41]
	v_lshl_add_u32 v5, v5, 23, v17
	v_lshl_or_b32 v4, v4, 21, v5
	v_cmp_eq_u32_e64 s[40:41], 0, v16
	v_cndmask_b32_e64 v5, v7, v0, s[42:43]
	v_add_u32_e32 v4, 0x38000000, v4
	v_cndmask_b32_e64 v5, v35, v5, s[40:41]
	v_cndmask_b32_e32 v4, v4, v5, vcc
	v_cmp_ne_u32_e32 vcc, s96, v2
	v_bfrev_b32_e32 v2, 1
	v_cndmask_b32_e32 v2, v2, v4, vcc
	v_cmp_lt_u64_e32 vcc, s[56:57], v[8:9]
	v_mov_b32_e32 v4, v29
	v_cndmask_b32_e32 v2, 0, v2, vcc
	v_add_f32_e32 v2, v2, v3
	v_and_b32_e32 v3, 0x7f800000, v2
	v_cmp_ne_u64_e32 vcc, s[76:77], v[3:4]
	v_and_b32_e32 v28, 0x7fffff, v2
                                        ; implicit-def: $vgpr61
	s_and_saveexec_b64 s[40:41], vcc
	s_xor_b64 s[42:43], exec, s[40:41]
	s_cbranch_execz .LBB2_9303
; %bb.9290:                             ;   in Loop: Header=BB2_8591 Depth=3
	v_and_b32_e32 v3, 0x7fffffff, v2
	v_mov_b32_e32 v4, v29
	v_cmp_gt_u64_e32 vcc, s[78:79], v[3:4]
	v_and_b32_sdwa v5, v2, s96 dst_sel:DWORD dst_unused:UNUSED_PAD src0_sel:BYTE_3 src1_sel:DWORD
                                        ; implicit-def: $vgpr61
	s_and_saveexec_b64 s[40:41], vcc
	s_xor_b64 s[38:39], exec, s[40:41]
	s_cbranch_execz .LBB2_9300
; %bb.9291:                             ;   in Loop: Header=BB2_8591 Depth=3
	v_mov_b32_e32 v61, 0
	v_cmp_ne_u32_e32 vcc, 0, v2
	s_and_saveexec_b64 s[48:49], vcc
	s_cbranch_execz .LBB2_9299
; %bb.9292:                             ;   in Loop: Header=BB2_8591 Depth=3
	v_bfe_u32 v8, v2, 23, 8
	v_cmp_gt_u32_e64 s[40:41], s46, v8
	v_sub_u32_e32 v2, 0x71, v8
	v_cmp_eq_u32_e32 vcc, 0, v8
	v_cndmask_b32_e64 v2, 0, v2, s[40:41]
	v_mov_b32_e32 v4, 0x70
	v_cndmask_b32_e32 v9, v2, v4, vcc
	v_add_u32_e32 v4, 21, v9
	v_or_b32_e32 v3, 0x800000, v28
	v_lshlrev_b64 v[16:17], v4, -1
	v_cndmask_b32_e32 v2, v3, v28, vcc
	v_mov_b32_e32 v3, v29
	v_add_u32_e32 v4, 20, v9
	v_bfi_b32 v16, v16, 0, v2
	v_lshlrev_b64 v[30:31], v4, 1
	v_lshrrev_b64 v[2:3], v9, v[2:3]
	v_bfi_b32 v17, v17, 0, 0
	v_cmp_eq_u64_e64 s[40:41], v[16:17], v[30:31]
	v_mov_b32_e32 v4, v3
	v_mov_b32_e32 v3, v2
	s_and_saveexec_b64 s[50:51], s[40:41]
; %bb.9293:                             ;   in Loop: Header=BB2_8591 Depth=3
	v_bfe_u32 v3, v2, 21, 1
	v_add_co_u32_e64 v3, s[40:41], v2, v3
	v_add_co_u32_e64 v3, s[40:41], -1, v3
; %bb.9294:                             ;   in Loop: Header=BB2_8591 Depth=3
	s_or_b64 exec, exec, s[50:51]
	v_add_u32_e32 v4, 0xffffff81, v8
	v_cndmask_b32_e32 v4, v4, v1, vcc
	v_lshrrev_b32_e32 v8, 23, v2
	v_add3_u32 v9, v9, v4, v8
	v_add_u32_e32 v8, 14, v9
	v_and_b32_e32 v3, 0x1fffff, v3
	v_add_u32_e32 v28, v3, v2
	v_cmp_ne_u32_e32 vcc, 0, v8
                                        ; implicit-def: $vgpr2_vgpr3
                                        ; implicit-def: $vgpr4
	s_and_saveexec_b64 s[40:41], vcc
	s_xor_b64 s[40:41], exec, s[40:41]
; %bb.9295:                             ;   in Loop: Header=BB2_8591 Depth=3
	v_cmp_lt_u64_e32 vcc, s[88:89], v[28:29]
	v_add_u32_e32 v2, 15, v9
	v_cndmask_b32_e32 v4, v8, v2, vcc
	v_cndmask_b32_e64 v2, 0, 1, vcc
	v_lshrrev_b64 v[2:3], v2, v[28:29]
; %bb.9296:                             ;   in Loop: Header=BB2_8591 Depth=3
	s_andn2_saveexec_b64 s[40:41], s[40:41]
; %bb.9297:                             ;   in Loop: Header=BB2_8591 Depth=3
	v_mov_b32_e32 v2, v28
	v_mov_b32_e32 v3, v29
	v_bfe_u32 v4, v28, 23, 1
; %bb.9298:                             ;   in Loop: Header=BB2_8591 Depth=3
	s_or_b64 exec, exec, s[40:41]
	v_lshrrev_b64 v[2:3], 21, v[2:3]
	v_cmp_gt_i32_e32 vcc, 32, v4
	v_cndmask_b32_e32 v3, 0, v3, vcc
	v_cndmask_b32_e32 v2, 3, v2, vcc
	v_cmp_eq_u64_e64 s[40:41], 0, v[2:3]
	v_min_i32_e32 v3, 31, v4
	v_lshlrev_b32_e32 v3, 2, v3
	v_cmp_eq_u32_e32 vcc, 0, v4
	v_and_b32_e32 v3, 0xfc, v3
	v_and_or_b32 v2, v2, 3, v3
	s_and_b64 s[40:41], vcc, s[40:41]
	v_cndmask_b32_e64 v2, v2, 0, s[40:41]
	v_or_b32_e32 v61, v2, v5
.LBB2_9299:                             ;   in Loop: Header=BB2_8591 Depth=3
	s_or_b64 exec, exec, s[48:49]
                                        ; implicit-def: $vgpr5
.LBB2_9300:                             ;   in Loop: Header=BB2_8591 Depth=3
	s_andn2_saveexec_b64 s[40:41], s[38:39]
; %bb.9301:                             ;   in Loop: Header=BB2_8591 Depth=3
	v_or_b32_e32 v61, 0x7b, v5
; %bb.9302:                             ;   in Loop: Header=BB2_8591 Depth=3
	s_or_b64 exec, exec, s[40:41]
                                        ; implicit-def: $vgpr2
.LBB2_9303:                             ;   in Loop: Header=BB2_8591 Depth=3
	s_andn2_saveexec_b64 s[40:41], s[42:43]
	s_cbranch_execz .LBB2_9309
; %bb.9304:                             ;   in Loop: Header=BB2_8591 Depth=3
	v_cmp_ne_u64_e32 vcc, 0, v[28:29]
                                        ; implicit-def: $vgpr61
	s_and_saveexec_b64 s[42:43], vcc
	s_xor_b64 s[42:43], exec, s[42:43]
; %bb.9305:                             ;   in Loop: Header=BB2_8591 Depth=3
	v_or_b32_sdwa v61, v2, s47 dst_sel:DWORD dst_unused:UNUSED_PAD src0_sel:BYTE_3 src1_sel:DWORD
                                        ; implicit-def: $vgpr2
; %bb.9306:                             ;   in Loop: Header=BB2_8591 Depth=3
	s_andn2_saveexec_b64 s[42:43], s[42:43]
; %bb.9307:                             ;   in Loop: Header=BB2_8591 Depth=3
	v_cmp_lt_i32_e32 vcc, -1, v2
	v_cndmask_b32_e32 v61, v6, v22, vcc
; %bb.9308:                             ;   in Loop: Header=BB2_8591 Depth=3
	s_or_b64 exec, exec, s[42:43]
.LBB2_9309:                             ;   in Loop: Header=BB2_8591 Depth=3
	s_or_b64 exec, exec, s[40:41]
	v_lshl_or_b32 v5, v47, 8, v52
	v_lshlrev_b32_e32 v2, 16, v58
	v_lshlrev_b32_e32 v3, 24, v59
	v_or3_b32 v28, v2, v3, v5
	v_cmp_ne_u32_e32 vcc, 0, v52
	v_mov_b32_e32 v2, 0
	s_and_saveexec_b64 s[42:43], vcc
	s_cbranch_execz .LBB2_9317
; %bb.9310:                             ;   in Loop: Header=BB2_8591 Depth=3
	v_cmp_ne_u32_e32 vcc, s96, v52
	v_bfrev_b32_e32 v2, 1
	s_and_saveexec_b64 s[38:39], vcc
	s_cbranch_execz .LBB2_9316
; %bb.9311:                             ;   in Loop: Header=BB2_8591 Depth=3
	v_and_b32_e32 v2, 0x7c, v52
	v_and_b32_e32 v3, 3, v52
	v_cmp_ne_u32_e32 vcc, s85, v2
                                        ; implicit-def: $vgpr2
	s_and_saveexec_b64 s[40:41], vcc
	s_xor_b64 s[40:41], exec, s[40:41]
	s_cbranch_execz .LBB2_9313
; %bb.9312:                             ;   in Loop: Header=BB2_8591 Depth=3
	v_ffbh_u32_e32 v4, v3
	v_min_u32_e32 v4, 32, v4
	v_bfe_u32 v2, v52, 2, 5
	v_subrev_u32_e32 v8, 29, v4
	v_lshlrev_b64 v[8:9], v8, v[28:29]
	v_sub_u32_e32 v4, 30, v4
	v_cmp_eq_u32_e32 vcc, 0, v2
	v_cndmask_b32_e32 v2, v2, v4, vcc
	v_lshlrev_b32_e32 v4, 24, v52
	v_and_b32_e32 v8, 3, v8
	v_and_b32_e32 v4, 0x80000000, v4
	v_cndmask_b32_e32 v3, v3, v8, vcc
	v_lshl_add_u32 v2, v2, 23, v4
	v_lshl_or_b32 v2, v3, 21, v2
	v_add_u32_e32 v2, 0x38000000, v2
                                        ; implicit-def: $vgpr3
                                        ; implicit-def: $vgpr52
.LBB2_9313:                             ;   in Loop: Header=BB2_8591 Depth=3
	s_andn2_saveexec_b64 s[48:49], s[40:41]
; %bb.9314:                             ;   in Loop: Header=BB2_8591 Depth=3
	v_and_b32_e32 v2, 0x80, v52
	v_cmp_eq_u32_e64 s[40:41], 0, v2
	v_cmp_eq_u32_e32 vcc, 0, v3
	v_cndmask_b32_e64 v2, v7, v0, s[40:41]
	v_cndmask_b32_e32 v2, v35, v2, vcc
; %bb.9315:                             ;   in Loop: Header=BB2_8591 Depth=3
	s_or_b64 exec, exec, s[48:49]
.LBB2_9316:                             ;   in Loop: Header=BB2_8591 Depth=3
	s_or_b64 exec, exec, s[38:39]
.LBB2_9317:                             ;   in Loop: Header=BB2_8591 Depth=3
	s_or_b64 exec, exec, s[42:43]
	v_cmp_gt_i16_sdwa s[42:43], v10, s47 src0_sel:BYTE_0 src1_sel:DWORD
	s_mov_b64 s[40:41], 0
	s_and_saveexec_b64 vcc, s[42:43]
	s_xor_b64 s[42:43], exec, vcc
	s_cbranch_execz .LBB2_9580
; %bb.9318:                             ;   in Loop: Header=BB2_8591 Depth=3
	v_cmp_eq_u16_sdwa s[38:39], v10, s96 src0_sel:BYTE_0 src1_sel:DWORD
	s_mov_b64 s[40:41], -1
	s_and_saveexec_b64 vcc, s[38:39]
; %bb.9319:                             ;   in Loop: Header=BB2_8591 Depth=3
	s_xor_b64 s[40:41], exec, -1
; %bb.9320:                             ;   in Loop: Header=BB2_8591 Depth=3
	s_or_b64 exec, exec, vcc
	s_and_b64 s[40:41], s[40:41], exec
	s_or_saveexec_b64 s[42:43], s[42:43]
	v_bfrev_b32_e32 v3, 1
	s_xor_b64 exec, exec, s[42:43]
	s_cbranch_execnz .LBB2_9581
.LBB2_9321:                             ;   in Loop: Header=BB2_8591 Depth=3
	s_or_b64 exec, exec, s[42:43]
	s_and_saveexec_b64 s[38:39], s[40:41]
	s_cbranch_execz .LBB2_9323
.LBB2_9322:                             ;   in Loop: Header=BB2_8591 Depth=3
	v_and_b32_e32 v8, 3, v10
	v_and_b32_e32 v3, 0x7c, v10
	v_cmp_eq_u32_e32 vcc, s85, v3
	v_ffbh_u32_e32 v3, v8
	v_min_u32_e32 v16, 32, v3
	v_subrev_u32_e32 v3, 29, v16
	v_bfe_u32 v9, v10, 2, 5
	v_lshlrev_b64 v[3:4], v3, v[10:11]
	v_cmp_eq_u32_e64 s[40:41], 0, v9
	v_sub_u32_e32 v4, 30, v16
	v_cndmask_b32_e64 v4, v9, v4, s[40:41]
	v_lshlrev_b32_e32 v9, 24, v10
	v_and_b32_e32 v3, 3, v3
	v_and_b32_e32 v9, 0x80000000, v9
	v_cndmask_b32_e64 v3, v8, v3, s[40:41]
	v_lshl_add_u32 v4, v4, 23, v9
	v_cmp_gt_i16_sdwa s[42:43], sext(v10), v48 src0_sel:BYTE_0 src1_sel:DWORD
	v_lshl_or_b32 v3, v3, 21, v4
	v_cmp_eq_u32_e64 s[40:41], 0, v8
	v_cndmask_b32_e64 v4, v7, v0, s[42:43]
	v_add_u32_e32 v3, 0x38000000, v3
	v_cndmask_b32_e64 v4, v35, v4, s[40:41]
	v_cndmask_b32_e32 v3, v3, v4, vcc
.LBB2_9323:                             ;   in Loop: Header=BB2_8591 Depth=3
	s_or_b64 exec, exec, s[38:39]
	v_add_f32_e32 v4, v2, v3
	v_and_b32_e32 v8, 0x7f800000, v4
	v_mov_b32_e32 v9, v29
	v_cmp_ne_u64_e32 vcc, s[76:77], v[8:9]
	v_and_b32_e32 v2, 0x7fffff, v4
	v_mov_b32_e32 v3, v29
                                        ; implicit-def: $vgpr52
	s_and_saveexec_b64 s[40:41], vcc
	s_xor_b64 s[42:43], exec, s[40:41]
	s_cbranch_execz .LBB2_9337
; %bb.9324:                             ;   in Loop: Header=BB2_8591 Depth=3
	v_and_b32_e32 v8, 0x7fffffff, v4
	v_mov_b32_e32 v9, v29
	v_cmp_gt_u64_e32 vcc, s[78:79], v[8:9]
	v_and_b32_sdwa v8, v4, s96 dst_sel:DWORD dst_unused:UNUSED_PAD src0_sel:BYTE_3 src1_sel:DWORD
                                        ; implicit-def: $vgpr52
	s_and_saveexec_b64 s[40:41], vcc
	s_xor_b64 s[38:39], exec, s[40:41]
	s_cbranch_execz .LBB2_9334
; %bb.9325:                             ;   in Loop: Header=BB2_8591 Depth=3
	v_mov_b32_e32 v52, 0
	v_cmp_ne_u32_e32 vcc, 0, v4
	s_and_saveexec_b64 s[48:49], vcc
	s_cbranch_execz .LBB2_9333
; %bb.9326:                             ;   in Loop: Header=BB2_8591 Depth=3
	v_bfe_u32 v9, v4, 23, 8
	v_cmp_gt_u32_e64 s[40:41], s46, v9
	v_sub_u32_e32 v4, 0x71, v9
	v_cmp_eq_u32_e32 vcc, 0, v9
	v_cndmask_b32_e64 v4, 0, v4, s[40:41]
	v_mov_b32_e32 v17, 0x70
	v_cndmask_b32_e32 v17, v4, v17, vcc
	v_add_u32_e32 v4, 21, v17
	v_or_b32_e32 v16, 0x800000, v2
	v_lshlrev_b64 v[30:31], v4, -1
	v_cndmask_b32_e32 v2, v16, v2, vcc
	v_add_u32_e32 v4, 20, v17
	v_bfi_b32 v30, v30, 0, v2
	v_lshlrev_b64 v[38:39], v4, 1
	v_lshrrev_b64 v[2:3], v17, v[2:3]
	v_bfi_b32 v31, v31, 0, 0
	v_cmp_eq_u64_e64 s[40:41], v[30:31], v[38:39]
	v_mov_b32_e32 v4, v3
	v_mov_b32_e32 v3, v2
	s_and_saveexec_b64 s[50:51], s[40:41]
; %bb.9327:                             ;   in Loop: Header=BB2_8591 Depth=3
	v_bfe_u32 v3, v2, 21, 1
	v_add_co_u32_e64 v3, s[40:41], v2, v3
	v_add_co_u32_e64 v3, s[40:41], -1, v3
; %bb.9328:                             ;   in Loop: Header=BB2_8591 Depth=3
	s_or_b64 exec, exec, s[50:51]
	v_add_u32_e32 v4, 0xffffff81, v9
	v_cndmask_b32_e32 v4, v4, v1, vcc
	v_lshrrev_b32_e32 v9, 23, v2
	v_add3_u32 v17, v17, v4, v9
	v_add_u32_e32 v9, 14, v17
	v_and_b32_e32 v3, 0x1fffff, v3
	v_add_u32_e32 v2, v3, v2
	v_mov_b32_e32 v3, v29
	v_cmp_ne_u32_e32 vcc, 0, v9
                                        ; implicit-def: $vgpr4
	s_and_saveexec_b64 s[40:41], vcc
	s_xor_b64 s[40:41], exec, s[40:41]
; %bb.9329:                             ;   in Loop: Header=BB2_8591 Depth=3
	v_cmp_lt_u64_e32 vcc, s[88:89], v[2:3]
	v_add_u32_e32 v4, 15, v17
	v_cndmask_b32_e32 v4, v9, v4, vcc
	v_cndmask_b32_e64 v9, 0, 1, vcc
	v_lshrrev_b64 v[2:3], v9, v[2:3]
; %bb.9330:                             ;   in Loop: Header=BB2_8591 Depth=3
	s_andn2_saveexec_b64 s[40:41], s[40:41]
; %bb.9331:                             ;   in Loop: Header=BB2_8591 Depth=3
	v_bfe_u32 v4, v2, 23, 1
; %bb.9332:                             ;   in Loop: Header=BB2_8591 Depth=3
	s_or_b64 exec, exec, s[40:41]
	v_lshrrev_b64 v[2:3], 21, v[2:3]
	v_cmp_gt_i32_e32 vcc, 32, v4
	v_cndmask_b32_e32 v3, 0, v3, vcc
	v_cndmask_b32_e32 v2, 3, v2, vcc
	v_cmp_eq_u64_e64 s[40:41], 0, v[2:3]
	v_min_i32_e32 v3, 31, v4
	v_lshlrev_b32_e32 v3, 2, v3
	v_cmp_eq_u32_e32 vcc, 0, v4
	v_and_b32_e32 v3, 0xfc, v3
	v_and_or_b32 v2, v2, 3, v3
	s_and_b64 s[40:41], vcc, s[40:41]
	v_cndmask_b32_e64 v2, v2, 0, s[40:41]
	v_or_b32_e32 v52, v2, v8
.LBB2_9333:                             ;   in Loop: Header=BB2_8591 Depth=3
	s_or_b64 exec, exec, s[48:49]
                                        ; implicit-def: $vgpr8
.LBB2_9334:                             ;   in Loop: Header=BB2_8591 Depth=3
	s_andn2_saveexec_b64 s[40:41], s[38:39]
; %bb.9335:                             ;   in Loop: Header=BB2_8591 Depth=3
	v_or_b32_e32 v52, 0x7b, v8
; %bb.9336:                             ;   in Loop: Header=BB2_8591 Depth=3
	s_or_b64 exec, exec, s[40:41]
                                        ; implicit-def: $vgpr4
                                        ; implicit-def: $vgpr2_vgpr3
.LBB2_9337:                             ;   in Loop: Header=BB2_8591 Depth=3
	s_andn2_saveexec_b64 s[40:41], s[42:43]
	s_cbranch_execz .LBB2_9343
; %bb.9338:                             ;   in Loop: Header=BB2_8591 Depth=3
	v_cmp_ne_u64_e32 vcc, 0, v[2:3]
                                        ; implicit-def: $vgpr52
	s_and_saveexec_b64 s[42:43], vcc
	s_xor_b64 s[42:43], exec, s[42:43]
; %bb.9339:                             ;   in Loop: Header=BB2_8591 Depth=3
	v_or_b32_sdwa v52, v4, s47 dst_sel:DWORD dst_unused:UNUSED_PAD src0_sel:BYTE_3 src1_sel:DWORD
                                        ; implicit-def: $vgpr4
; %bb.9340:                             ;   in Loop: Header=BB2_8591 Depth=3
	s_andn2_saveexec_b64 s[42:43], s[42:43]
; %bb.9341:                             ;   in Loop: Header=BB2_8591 Depth=3
	v_cmp_lt_i32_e32 vcc, -1, v4
	v_cndmask_b32_e32 v52, v6, v22, vcc
; %bb.9342:                             ;   in Loop: Header=BB2_8591 Depth=3
	s_or_b64 exec, exec, s[42:43]
.LBB2_9343:                             ;   in Loop: Header=BB2_8591 Depth=3
	s_or_b64 exec, exec, s[40:41]
	v_lshrrev_b16_e32 v2, 8, v5
	v_cmp_ne_u16_e32 vcc, 0, v2
	v_mov_b32_e32 v4, 0
	s_and_saveexec_b64 s[40:41], vcc
	s_cbranch_execz .LBB2_9351
; %bb.9344:                             ;   in Loop: Header=BB2_8591 Depth=3
	v_cmp_ne_u16_e32 vcc, s96, v2
	v_bfrev_b32_e32 v4, 1
	s_and_saveexec_b64 s[42:43], vcc
	s_cbranch_execz .LBB2_9350
; %bb.9345:                             ;   in Loop: Header=BB2_8591 Depth=3
	v_and_b32_e32 v3, 0x7c, v2
	v_and_b32_e32 v8, 3, v2
	v_cmp_ne_u32_e32 vcc, s85, v3
                                        ; implicit-def: $vgpr4
	s_and_saveexec_b64 s[38:39], vcc
	s_xor_b64 s[38:39], exec, s[38:39]
	s_cbranch_execz .LBB2_9347
; %bb.9346:                             ;   in Loop: Header=BB2_8591 Depth=3
	v_ffbh_u32_e32 v9, v8
	v_min_u32_e32 v9, 32, v9
	v_mov_b32_e32 v3, v29
	v_subrev_u32_e32 v16, 29, v9
	v_bfe_u32 v4, v2, 2, 5
	v_lshlrev_b64 v[2:3], v16, v[2:3]
	v_sub_u32_e32 v3, 30, v9
	v_cmp_eq_u32_e32 vcc, 0, v4
	v_cndmask_b32_e32 v3, v4, v3, vcc
	v_lshlrev_b32_e32 v4, 16, v5
	v_and_b32_e32 v2, 3, v2
	v_and_b32_e32 v4, 0x80000000, v4
	v_cndmask_b32_e32 v2, v8, v2, vcc
	v_lshl_add_u32 v3, v3, 23, v4
	v_lshl_or_b32 v2, v2, 21, v3
	v_add_u32_e32 v4, 0x38000000, v2
                                        ; implicit-def: $vgpr8
                                        ; implicit-def: $vgpr5
.LBB2_9347:                             ;   in Loop: Header=BB2_8591 Depth=3
	s_andn2_saveexec_b64 s[38:39], s[38:39]
; %bb.9348:                             ;   in Loop: Header=BB2_8591 Depth=3
	v_cmp_lt_i16_e32 vcc, -1, v5
	v_cndmask_b32_e32 v2, v7, v0, vcc
	v_cmp_eq_u32_e32 vcc, 0, v8
	v_cndmask_b32_e32 v4, v35, v2, vcc
; %bb.9349:                             ;   in Loop: Header=BB2_8591 Depth=3
	s_or_b64 exec, exec, s[38:39]
.LBB2_9350:                             ;   in Loop: Header=BB2_8591 Depth=3
	s_or_b64 exec, exec, s[42:43]
.LBB2_9351:                             ;   in Loop: Header=BB2_8591 Depth=3
	s_or_b64 exec, exec, s[40:41]
	v_lshrrev_b16_e32 v2, 8, v10
	v_cmp_lt_i16_e32 vcc, s47, v2
	s_mov_b64 s[40:41], 0
	s_and_saveexec_b64 s[42:43], vcc
	s_xor_b64 s[42:43], exec, s[42:43]
	s_cbranch_execz .LBB2_9582
; %bb.9352:                             ;   in Loop: Header=BB2_8591 Depth=3
	v_cmp_eq_u16_e32 vcc, s96, v2
	s_mov_b64 s[40:41], -1
	s_and_saveexec_b64 s[38:39], vcc
; %bb.9353:                             ;   in Loop: Header=BB2_8591 Depth=3
	s_xor_b64 s[40:41], exec, -1
; %bb.9354:                             ;   in Loop: Header=BB2_8591 Depth=3
	s_or_b64 exec, exec, s[38:39]
	s_and_b64 s[40:41], s[40:41], exec
	s_or_saveexec_b64 s[42:43], s[42:43]
	v_bfrev_b32_e32 v3, 1
	s_xor_b64 exec, exec, s[42:43]
	s_cbranch_execnz .LBB2_9583
.LBB2_9355:                             ;   in Loop: Header=BB2_8591 Depth=3
	s_or_b64 exec, exec, s[42:43]
	s_and_saveexec_b64 s[38:39], s[40:41]
	s_cbranch_execz .LBB2_9357
.LBB2_9356:                             ;   in Loop: Header=BB2_8591 Depth=3
	v_and_b32_e32 v5, 3, v2
	v_and_b32_e32 v8, 0x7c, v2
	v_cmp_eq_u32_e32 vcc, s85, v8
	v_ffbh_u32_e32 v8, v5
	v_min_u32_e32 v17, 32, v8
	v_mov_b32_e32 v3, v29
	v_subrev_u32_e32 v8, 29, v17
	v_bfe_u32 v16, v2, 2, 5
	v_lshlrev_b64 v[8:9], v8, v[2:3]
	v_cmp_eq_u32_e64 s[40:41], 0, v16
	v_sub_u32_e32 v3, 30, v17
	v_lshlrev_b32_e32 v2, 24, v2
	v_and_b32_e32 v8, 3, v8
	v_cndmask_b32_e64 v3, v16, v3, s[40:41]
	v_and_b32_e32 v2, 0x80000000, v2
	v_cndmask_b32_e64 v8, v5, v8, s[40:41]
	v_lshl_add_u32 v2, v3, 23, v2
	v_cmp_lt_i16_e64 s[42:43], -1, v10
	v_lshl_or_b32 v2, v8, 21, v2
	v_cmp_eq_u32_e64 s[40:41], 0, v5
	v_cndmask_b32_e64 v3, v7, v0, s[42:43]
	v_add_u32_e32 v2, 0x38000000, v2
	v_cndmask_b32_e64 v3, v35, v3, s[40:41]
	v_cndmask_b32_e32 v3, v2, v3, vcc
.LBB2_9357:                             ;   in Loop: Header=BB2_8591 Depth=3
	s_or_b64 exec, exec, s[38:39]
	v_add_f32_e32 v4, v4, v3
	v_and_b32_e32 v8, 0x7f800000, v4
	v_mov_b32_e32 v9, v29
	v_cmp_ne_u64_e32 vcc, s[76:77], v[8:9]
	v_and_b32_e32 v2, 0x7fffff, v4
	v_mov_b32_e32 v3, v29
                                        ; implicit-def: $vgpr47
	s_and_saveexec_b64 s[40:41], vcc
	s_xor_b64 s[42:43], exec, s[40:41]
	s_cbranch_execz .LBB2_9371
; %bb.9358:                             ;   in Loop: Header=BB2_8591 Depth=3
	v_and_b32_e32 v8, 0x7fffffff, v4
	v_mov_b32_e32 v9, v29
	v_cmp_gt_u64_e32 vcc, s[78:79], v[8:9]
	v_and_b32_sdwa v5, v4, s96 dst_sel:DWORD dst_unused:UNUSED_PAD src0_sel:BYTE_3 src1_sel:DWORD
                                        ; implicit-def: $vgpr47
	s_and_saveexec_b64 s[40:41], vcc
	s_xor_b64 s[38:39], exec, s[40:41]
	s_cbranch_execz .LBB2_9368
; %bb.9359:                             ;   in Loop: Header=BB2_8591 Depth=3
	v_mov_b32_e32 v47, 0
	v_cmp_ne_u32_e32 vcc, 0, v4
	s_and_saveexec_b64 s[48:49], vcc
	s_cbranch_execz .LBB2_9367
; %bb.9360:                             ;   in Loop: Header=BB2_8591 Depth=3
	v_bfe_u32 v8, v4, 23, 8
	v_cmp_gt_u32_e64 s[40:41], s46, v8
	v_sub_u32_e32 v4, 0x71, v8
	v_cmp_eq_u32_e32 vcc, 0, v8
	v_cndmask_b32_e64 v4, 0, v4, s[40:41]
	v_mov_b32_e32 v9, 0x70
	v_cndmask_b32_e32 v9, v4, v9, vcc
	v_or_b32_e32 v16, 0x800000, v2
	v_add_u32_e32 v4, 21, v9
	v_cndmask_b32_e32 v2, v16, v2, vcc
	v_lshlrev_b64 v[16:17], v4, -1
	v_add_u32_e32 v4, 20, v9
	v_bfi_b32 v16, v16, 0, v2
	v_lshlrev_b64 v[30:31], v4, 1
	v_lshrrev_b64 v[2:3], v9, v[2:3]
	v_bfi_b32 v17, v17, 0, 0
	v_cmp_eq_u64_e64 s[40:41], v[16:17], v[30:31]
	v_mov_b32_e32 v4, v3
	v_mov_b32_e32 v3, v2
	s_and_saveexec_b64 s[50:51], s[40:41]
; %bb.9361:                             ;   in Loop: Header=BB2_8591 Depth=3
	v_bfe_u32 v3, v2, 21, 1
	v_add_co_u32_e64 v3, s[40:41], v2, v3
	v_add_co_u32_e64 v3, s[40:41], -1, v3
; %bb.9362:                             ;   in Loop: Header=BB2_8591 Depth=3
	s_or_b64 exec, exec, s[50:51]
	v_add_u32_e32 v4, 0xffffff81, v8
	v_cndmask_b32_e32 v4, v4, v1, vcc
	v_lshrrev_b32_e32 v8, 23, v2
	v_add3_u32 v9, v9, v4, v8
	v_add_u32_e32 v8, 14, v9
	v_and_b32_e32 v3, 0x1fffff, v3
	v_add_u32_e32 v2, v3, v2
	v_mov_b32_e32 v3, v29
	v_cmp_ne_u32_e32 vcc, 0, v8
                                        ; implicit-def: $vgpr4
	s_and_saveexec_b64 s[40:41], vcc
	s_xor_b64 s[40:41], exec, s[40:41]
; %bb.9363:                             ;   in Loop: Header=BB2_8591 Depth=3
	v_cmp_lt_u64_e32 vcc, s[88:89], v[2:3]
	v_add_u32_e32 v4, 15, v9
	v_cndmask_b32_e32 v4, v8, v4, vcc
	v_cndmask_b32_e64 v8, 0, 1, vcc
	v_lshrrev_b64 v[2:3], v8, v[2:3]
; %bb.9364:                             ;   in Loop: Header=BB2_8591 Depth=3
	s_andn2_saveexec_b64 s[40:41], s[40:41]
; %bb.9365:                             ;   in Loop: Header=BB2_8591 Depth=3
	v_bfe_u32 v4, v2, 23, 1
; %bb.9366:                             ;   in Loop: Header=BB2_8591 Depth=3
	s_or_b64 exec, exec, s[40:41]
	v_lshrrev_b64 v[2:3], 21, v[2:3]
	v_cmp_gt_i32_e32 vcc, 32, v4
	v_cndmask_b32_e32 v3, 0, v3, vcc
	v_cndmask_b32_e32 v2, 3, v2, vcc
	v_cmp_eq_u64_e64 s[40:41], 0, v[2:3]
	v_min_i32_e32 v3, 31, v4
	v_lshlrev_b32_e32 v3, 2, v3
	v_cmp_eq_u32_e32 vcc, 0, v4
	v_and_b32_e32 v3, 0xfc, v3
	v_and_or_b32 v2, v2, 3, v3
	s_and_b64 s[40:41], vcc, s[40:41]
	v_cndmask_b32_e64 v2, v2, 0, s[40:41]
	v_or_b32_e32 v47, v2, v5
.LBB2_9367:                             ;   in Loop: Header=BB2_8591 Depth=3
	s_or_b64 exec, exec, s[48:49]
                                        ; implicit-def: $vgpr5
.LBB2_9368:                             ;   in Loop: Header=BB2_8591 Depth=3
	s_andn2_saveexec_b64 s[40:41], s[38:39]
; %bb.9369:                             ;   in Loop: Header=BB2_8591 Depth=3
	v_or_b32_e32 v47, 0x7b, v5
; %bb.9370:                             ;   in Loop: Header=BB2_8591 Depth=3
	s_or_b64 exec, exec, s[40:41]
                                        ; implicit-def: $vgpr4
                                        ; implicit-def: $vgpr2_vgpr3
.LBB2_9371:                             ;   in Loop: Header=BB2_8591 Depth=3
	s_andn2_saveexec_b64 s[40:41], s[42:43]
	s_cbranch_execz .LBB2_9377
; %bb.9372:                             ;   in Loop: Header=BB2_8591 Depth=3
	v_cmp_ne_u64_e32 vcc, 0, v[2:3]
                                        ; implicit-def: $vgpr47
	s_and_saveexec_b64 s[42:43], vcc
	s_xor_b64 s[42:43], exec, s[42:43]
; %bb.9373:                             ;   in Loop: Header=BB2_8591 Depth=3
	v_or_b32_sdwa v47, v4, s47 dst_sel:DWORD dst_unused:UNUSED_PAD src0_sel:BYTE_3 src1_sel:DWORD
                                        ; implicit-def: $vgpr4
; %bb.9374:                             ;   in Loop: Header=BB2_8591 Depth=3
	s_andn2_saveexec_b64 s[42:43], s[42:43]
; %bb.9375:                             ;   in Loop: Header=BB2_8591 Depth=3
	v_cmp_lt_i32_e32 vcc, -1, v4
	v_cndmask_b32_e32 v47, v6, v22, vcc
; %bb.9376:                             ;   in Loop: Header=BB2_8591 Depth=3
	s_or_b64 exec, exec, s[42:43]
.LBB2_9377:                             ;   in Loop: Header=BB2_8591 Depth=3
	s_or_b64 exec, exec, s[40:41]
	v_and_b32_sdwa v4, v28, s87 dst_sel:DWORD dst_unused:UNUSED_PAD src0_sel:WORD_1 src1_sel:DWORD
	v_lshrrev_b32_e32 v2, 16, v28
	v_cmp_ne_u16_e32 vcc, 0, v4
	v_mov_b32_e32 v3, 0
	s_and_saveexec_b64 s[40:41], vcc
	s_cbranch_execz .LBB2_9385
; %bb.9378:                             ;   in Loop: Header=BB2_8591 Depth=3
	v_cmp_ne_u16_e32 vcc, s96, v4
	v_bfrev_b32_e32 v3, 1
	s_and_saveexec_b64 s[42:43], vcc
	s_cbranch_execz .LBB2_9384
; %bb.9379:                             ;   in Loop: Header=BB2_8591 Depth=3
	v_and_b32_e32 v3, 0x7c0000, v28
	v_bfe_u32 v4, v28, 16, 2
	v_cmp_ne_u32_e32 vcc, s44, v3
                                        ; implicit-def: $vgpr3
	s_and_saveexec_b64 s[38:39], vcc
	s_xor_b64 s[38:39], exec, s[38:39]
	s_cbranch_execz .LBB2_9381
; %bb.9380:                             ;   in Loop: Header=BB2_8591 Depth=3
	v_ffbh_u32_e32 v3, v4
	v_min_u32_e32 v8, 32, v3
	v_subrev_u32_e32 v3, 29, v8
	v_lshlrev_b64 v[2:3], v3, v[2:3]
	v_bfe_u32 v5, v28, 18, 5
	v_and_b32_e32 v2, 3, v2
	v_cmp_eq_u32_e32 vcc, 0, v5
	v_sub_u32_e32 v3, 30, v8
	v_cndmask_b32_e32 v2, v4, v2, vcc
	v_lshlrev_b32_e32 v4, 8, v28
	v_cndmask_b32_e32 v3, v5, v3, vcc
	v_and_b32_e32 v4, 0x80000000, v4
	v_lshl_add_u32 v3, v3, 23, v4
	v_lshl_or_b32 v2, v2, 21, v3
	v_add_u32_e32 v3, 0x38000000, v2
                                        ; implicit-def: $vgpr4
                                        ; implicit-def: $vgpr2
.LBB2_9381:                             ;   in Loop: Header=BB2_8591 Depth=3
	s_andn2_saveexec_b64 s[38:39], s[38:39]
; %bb.9382:                             ;   in Loop: Header=BB2_8591 Depth=3
	v_cmp_gt_i16_sdwa vcc, sext(v2), v48 src0_sel:BYTE_0 src1_sel:DWORD
	v_cndmask_b32_e32 v2, v7, v0, vcc
	v_cmp_eq_u32_e32 vcc, 0, v4
	v_cndmask_b32_e32 v3, v35, v2, vcc
; %bb.9383:                             ;   in Loop: Header=BB2_8591 Depth=3
	s_or_b64 exec, exec, s[38:39]
.LBB2_9384:                             ;   in Loop: Header=BB2_8591 Depth=3
	s_or_b64 exec, exec, s[42:43]
.LBB2_9385:                             ;   in Loop: Header=BB2_8591 Depth=3
	s_or_b64 exec, exec, s[40:41]
	v_lshrrev_b32_e32 v2, 16, v10
	v_cmp_gt_i16_sdwa s[42:43], v2, s47 src0_sel:BYTE_0 src1_sel:DWORD
	s_mov_b64 s[40:41], 0
	s_and_saveexec_b64 vcc, s[42:43]
	s_xor_b64 s[42:43], exec, vcc
	s_cbranch_execz .LBB2_9584
; %bb.9386:                             ;   in Loop: Header=BB2_8591 Depth=3
	v_cmp_eq_u16_sdwa s[38:39], v2, s96 src0_sel:BYTE_0 src1_sel:DWORD
	s_mov_b64 s[40:41], -1
	s_and_saveexec_b64 vcc, s[38:39]
; %bb.9387:                             ;   in Loop: Header=BB2_8591 Depth=3
	s_xor_b64 s[40:41], exec, -1
; %bb.9388:                             ;   in Loop: Header=BB2_8591 Depth=3
	s_or_b64 exec, exec, vcc
	s_and_b64 s[40:41], s[40:41], exec
	s_or_saveexec_b64 s[42:43], s[42:43]
	v_bfrev_b32_e32 v4, 1
	s_xor_b64 exec, exec, s[42:43]
	s_cbranch_execnz .LBB2_9585
.LBB2_9389:                             ;   in Loop: Header=BB2_8591 Depth=3
	s_or_b64 exec, exec, s[42:43]
	s_and_saveexec_b64 s[38:39], s[40:41]
	s_cbranch_execz .LBB2_9391
.LBB2_9390:                             ;   in Loop: Header=BB2_8591 Depth=3
	v_and_b32_e32 v8, 3, v2
	v_and_b32_e32 v4, 0x7c0000, v10
	v_cmp_eq_u32_e32 vcc, s44, v4
	v_ffbh_u32_e32 v4, v8
	v_min_u32_e32 v16, 32, v4
	v_subrev_u32_e32 v4, 29, v16
	v_bfe_u32 v9, v10, 18, 5
	v_lshlrev_b64 v[4:5], v4, v[2:3]
	v_cmp_eq_u32_e64 s[40:41], 0, v9
	v_sub_u32_e32 v5, 30, v16
	v_cndmask_b32_e64 v5, v9, v5, s[40:41]
	v_lshlrev_b32_e32 v9, 24, v2
	v_and_b32_e32 v4, 3, v4
	v_and_b32_e32 v9, 0x80000000, v9
	v_cndmask_b32_e64 v4, v8, v4, s[40:41]
	v_lshl_add_u32 v5, v5, 23, v9
	v_cmp_gt_i16_sdwa s[42:43], sext(v2), v48 src0_sel:BYTE_0 src1_sel:DWORD
	v_lshl_or_b32 v4, v4, 21, v5
	v_cmp_eq_u32_e64 s[40:41], 0, v8
	v_cndmask_b32_e64 v2, v7, v0, s[42:43]
	v_add_u32_e32 v4, 0x38000000, v4
	v_cndmask_b32_e64 v2, v35, v2, s[40:41]
	v_cndmask_b32_e32 v4, v4, v2, vcc
.LBB2_9391:                             ;   in Loop: Header=BB2_8591 Depth=3
	s_or_b64 exec, exec, s[38:39]
	v_add_f32_e32 v4, v3, v4
	v_and_b32_e32 v8, 0x7f800000, v4
	v_mov_b32_e32 v9, v29
	v_cmp_ne_u64_e32 vcc, s[76:77], v[8:9]
	v_and_b32_e32 v2, 0x7fffff, v4
	v_mov_b32_e32 v3, v29
                                        ; implicit-def: $vgpr58
	s_and_saveexec_b64 s[40:41], vcc
	s_xor_b64 s[42:43], exec, s[40:41]
	s_cbranch_execz .LBB2_9405
; %bb.9392:                             ;   in Loop: Header=BB2_8591 Depth=3
	v_and_b32_e32 v8, 0x7fffffff, v4
	v_mov_b32_e32 v9, v29
	v_cmp_gt_u64_e32 vcc, s[78:79], v[8:9]
	v_and_b32_sdwa v5, v4, s96 dst_sel:DWORD dst_unused:UNUSED_PAD src0_sel:BYTE_3 src1_sel:DWORD
                                        ; implicit-def: $vgpr58
	s_and_saveexec_b64 s[40:41], vcc
	s_xor_b64 s[38:39], exec, s[40:41]
	s_cbranch_execz .LBB2_9402
; %bb.9393:                             ;   in Loop: Header=BB2_8591 Depth=3
	v_mov_b32_e32 v58, 0
	v_cmp_ne_u32_e32 vcc, 0, v4
	s_and_saveexec_b64 s[48:49], vcc
	s_cbranch_execz .LBB2_9401
; %bb.9394:                             ;   in Loop: Header=BB2_8591 Depth=3
	v_bfe_u32 v8, v4, 23, 8
	v_cmp_gt_u32_e64 s[40:41], s46, v8
	v_sub_u32_e32 v4, 0x71, v8
	v_cmp_eq_u32_e32 vcc, 0, v8
	v_cndmask_b32_e64 v4, 0, v4, s[40:41]
	v_mov_b32_e32 v9, 0x70
	v_cndmask_b32_e32 v9, v4, v9, vcc
	v_or_b32_e32 v16, 0x800000, v2
	v_add_u32_e32 v4, 21, v9
	v_cndmask_b32_e32 v2, v16, v2, vcc
	v_lshlrev_b64 v[16:17], v4, -1
	v_add_u32_e32 v4, 20, v9
	v_bfi_b32 v16, v16, 0, v2
	v_lshlrev_b64 v[30:31], v4, 1
	v_lshrrev_b64 v[2:3], v9, v[2:3]
	v_bfi_b32 v17, v17, 0, 0
	v_cmp_eq_u64_e64 s[40:41], v[16:17], v[30:31]
	v_mov_b32_e32 v4, v3
	v_mov_b32_e32 v3, v2
	s_and_saveexec_b64 s[50:51], s[40:41]
; %bb.9395:                             ;   in Loop: Header=BB2_8591 Depth=3
	v_bfe_u32 v3, v2, 21, 1
	v_add_co_u32_e64 v3, s[40:41], v2, v3
	v_add_co_u32_e64 v3, s[40:41], -1, v3
; %bb.9396:                             ;   in Loop: Header=BB2_8591 Depth=3
	s_or_b64 exec, exec, s[50:51]
	v_add_u32_e32 v4, 0xffffff81, v8
	v_cndmask_b32_e32 v4, v4, v1, vcc
	v_lshrrev_b32_e32 v8, 23, v2
	v_add3_u32 v9, v9, v4, v8
	v_add_u32_e32 v8, 14, v9
	v_and_b32_e32 v3, 0x1fffff, v3
	v_add_u32_e32 v2, v3, v2
	v_mov_b32_e32 v3, v29
	v_cmp_ne_u32_e32 vcc, 0, v8
                                        ; implicit-def: $vgpr4
	s_and_saveexec_b64 s[40:41], vcc
	s_xor_b64 s[40:41], exec, s[40:41]
; %bb.9397:                             ;   in Loop: Header=BB2_8591 Depth=3
	v_cmp_lt_u64_e32 vcc, s[88:89], v[2:3]
	v_add_u32_e32 v4, 15, v9
	v_cndmask_b32_e32 v4, v8, v4, vcc
	v_cndmask_b32_e64 v8, 0, 1, vcc
	v_lshrrev_b64 v[2:3], v8, v[2:3]
; %bb.9398:                             ;   in Loop: Header=BB2_8591 Depth=3
	s_andn2_saveexec_b64 s[40:41], s[40:41]
; %bb.9399:                             ;   in Loop: Header=BB2_8591 Depth=3
	v_bfe_u32 v4, v2, 23, 1
; %bb.9400:                             ;   in Loop: Header=BB2_8591 Depth=3
	s_or_b64 exec, exec, s[40:41]
	v_lshrrev_b64 v[2:3], 21, v[2:3]
	v_cmp_gt_i32_e32 vcc, 32, v4
	v_cndmask_b32_e32 v3, 0, v3, vcc
	v_cndmask_b32_e32 v2, 3, v2, vcc
	v_cmp_eq_u64_e64 s[40:41], 0, v[2:3]
	v_min_i32_e32 v3, 31, v4
	v_lshlrev_b32_e32 v3, 2, v3
	v_cmp_eq_u32_e32 vcc, 0, v4
	v_and_b32_e32 v3, 0xfc, v3
	v_and_or_b32 v2, v2, 3, v3
	s_and_b64 s[40:41], vcc, s[40:41]
	v_cndmask_b32_e64 v2, v2, 0, s[40:41]
	v_or_b32_e32 v58, v2, v5
.LBB2_9401:                             ;   in Loop: Header=BB2_8591 Depth=3
	s_or_b64 exec, exec, s[48:49]
                                        ; implicit-def: $vgpr5
.LBB2_9402:                             ;   in Loop: Header=BB2_8591 Depth=3
	s_andn2_saveexec_b64 s[40:41], s[38:39]
; %bb.9403:                             ;   in Loop: Header=BB2_8591 Depth=3
	v_or_b32_e32 v58, 0x7b, v5
; %bb.9404:                             ;   in Loop: Header=BB2_8591 Depth=3
	s_or_b64 exec, exec, s[40:41]
                                        ; implicit-def: $vgpr4
                                        ; implicit-def: $vgpr2_vgpr3
.LBB2_9405:                             ;   in Loop: Header=BB2_8591 Depth=3
	s_andn2_saveexec_b64 s[40:41], s[42:43]
	s_cbranch_execz .LBB2_9411
; %bb.9406:                             ;   in Loop: Header=BB2_8591 Depth=3
	v_cmp_ne_u64_e32 vcc, 0, v[2:3]
                                        ; implicit-def: $vgpr58
	s_and_saveexec_b64 s[42:43], vcc
	s_xor_b64 s[42:43], exec, s[42:43]
; %bb.9407:                             ;   in Loop: Header=BB2_8591 Depth=3
	v_or_b32_sdwa v58, v4, s47 dst_sel:DWORD dst_unused:UNUSED_PAD src0_sel:BYTE_3 src1_sel:DWORD
                                        ; implicit-def: $vgpr4
; %bb.9408:                             ;   in Loop: Header=BB2_8591 Depth=3
	s_andn2_saveexec_b64 s[42:43], s[42:43]
; %bb.9409:                             ;   in Loop: Header=BB2_8591 Depth=3
	v_cmp_lt_i32_e32 vcc, -1, v4
	v_cndmask_b32_e32 v58, v6, v22, vcc
; %bb.9410:                             ;   in Loop: Header=BB2_8591 Depth=3
	s_or_b64 exec, exec, s[42:43]
.LBB2_9411:                             ;   in Loop: Header=BB2_8591 Depth=3
	s_or_b64 exec, exec, s[40:41]
	v_cmp_lt_u32_e32 vcc, s57, v28
	v_mov_b32_e32 v3, 0
	s_and_saveexec_b64 s[40:41], vcc
	s_cbranch_execz .LBB2_9419
; %bb.9412:                             ;   in Loop: Header=BB2_8591 Depth=3
	v_lshrrev_b32_e32 v2, 24, v28
	v_cmp_ne_u32_e32 vcc, s96, v2
	v_bfrev_b32_e32 v3, 1
	s_and_saveexec_b64 s[42:43], vcc
	s_cbranch_execz .LBB2_9418
; %bb.9413:                             ;   in Loop: Header=BB2_8591 Depth=3
	v_and_b32_e32 v3, 0x7c000000, v28
	v_bfe_u32 v4, v28, 24, 2
	v_cmp_ne_u32_e32 vcc, s45, v3
                                        ; implicit-def: $vgpr3
	s_and_saveexec_b64 s[38:39], vcc
	s_xor_b64 s[38:39], exec, s[38:39]
	s_cbranch_execz .LBB2_9415
; %bb.9414:                             ;   in Loop: Header=BB2_8591 Depth=3
	v_ffbh_u32_e32 v3, v4
	v_min_u32_e32 v8, 32, v3
	v_subrev_u32_e32 v3, 29, v8
	v_lshlrev_b64 v[2:3], v3, v[2:3]
	v_bfe_u32 v5, v28, 26, 5
	v_sub_u32_e32 v3, 30, v8
	v_and_b32_e32 v2, 3, v2
	v_cmp_eq_u32_e32 vcc, 0, v5
	v_cndmask_b32_e32 v3, v5, v3, vcc
	v_cndmask_b32_e32 v2, v4, v2, vcc
	v_and_b32_e32 v4, 0x80000000, v28
	v_lshl_add_u32 v3, v3, 23, v4
	v_lshl_or_b32 v2, v2, 21, v3
	v_add_u32_e32 v3, 0x38000000, v2
                                        ; implicit-def: $vgpr4
.LBB2_9415:                             ;   in Loop: Header=BB2_8591 Depth=3
	s_andn2_saveexec_b64 s[38:39], s[38:39]
; %bb.9416:                             ;   in Loop: Header=BB2_8591 Depth=3
	v_cmp_lt_i32_e32 vcc, -1, v28
	v_cndmask_b32_e32 v2, v7, v0, vcc
	v_cmp_eq_u32_e32 vcc, 0, v4
	v_cndmask_b32_e32 v3, v35, v2, vcc
; %bb.9417:                             ;   in Loop: Header=BB2_8591 Depth=3
	s_or_b64 exec, exec, s[38:39]
.LBB2_9418:                             ;   in Loop: Header=BB2_8591 Depth=3
	s_or_b64 exec, exec, s[42:43]
.LBB2_9419:                             ;   in Loop: Header=BB2_8591 Depth=3
	s_or_b64 exec, exec, s[40:41]
	v_bfe_u32 v8, v10, 24, 2
	v_and_b32_e32 v4, 0x7c000000, v10
	v_cmp_eq_u32_e32 vcc, s45, v4
	v_ffbh_u32_e32 v4, v8
	v_min_u32_e32 v16, 32, v4
	v_lshrrev_b32_e32 v2, 24, v10
	v_subrev_u32_e32 v4, 29, v16
	v_bfe_u32 v9, v10, 26, 5
	v_lshlrev_b64 v[4:5], v4, v[2:3]
	v_cmp_eq_u32_e64 s[40:41], 0, v9
	v_sub_u32_e32 v5, 30, v16
	v_and_b32_e32 v4, 3, v4
	v_cndmask_b32_e64 v5, v9, v5, s[40:41]
	v_and_b32_e32 v9, 0x80000000, v10
	v_cndmask_b32_e64 v4, v8, v4, s[40:41]
	v_lshl_add_u32 v5, v5, 23, v9
	v_cmp_lt_i32_e64 s[42:43], -1, v10
	v_lshl_or_b32 v4, v4, 21, v5
	v_cmp_eq_u32_e64 s[40:41], 0, v8
	v_cndmask_b32_e64 v5, v7, v0, s[42:43]
	v_add_u32_e32 v4, 0x38000000, v4
	v_cndmask_b32_e64 v5, v35, v5, s[40:41]
	v_cndmask_b32_e32 v4, v4, v5, vcc
	v_cmp_ne_u32_e32 vcc, s96, v2
	v_bfrev_b32_e32 v2, 1
	v_cndmask_b32_e32 v2, v2, v4, vcc
	v_cmp_lt_u32_e32 vcc, s57, v10
	v_cndmask_b32_e32 v2, 0, v2, vcc
	v_add_f32_e32 v2, v2, v3
	v_and_b32_e32 v3, 0x7f800000, v2
	v_mov_b32_e32 v4, v29
	v_cmp_ne_u64_e32 vcc, s[76:77], v[3:4]
	v_and_b32_e32 v28, 0x7fffff, v2
                                        ; implicit-def: $vgpr59
	s_and_saveexec_b64 s[40:41], vcc
	s_xor_b64 s[42:43], exec, s[40:41]
	s_cbranch_execz .LBB2_9433
; %bb.9420:                             ;   in Loop: Header=BB2_8591 Depth=3
	v_and_b32_e32 v3, 0x7fffffff, v2
	v_mov_b32_e32 v4, v29
	v_cmp_gt_u64_e32 vcc, s[78:79], v[3:4]
	v_and_b32_sdwa v5, v2, s96 dst_sel:DWORD dst_unused:UNUSED_PAD src0_sel:BYTE_3 src1_sel:DWORD
                                        ; implicit-def: $vgpr59
	s_and_saveexec_b64 s[40:41], vcc
	s_xor_b64 s[38:39], exec, s[40:41]
	s_cbranch_execz .LBB2_9430
; %bb.9421:                             ;   in Loop: Header=BB2_8591 Depth=3
	v_mov_b32_e32 v59, 0
	v_cmp_ne_u32_e32 vcc, 0, v2
	s_and_saveexec_b64 s[48:49], vcc
	s_cbranch_execz .LBB2_9429
; %bb.9422:                             ;   in Loop: Header=BB2_8591 Depth=3
	v_bfe_u32 v8, v2, 23, 8
	v_cmp_gt_u32_e64 s[40:41], s46, v8
	v_sub_u32_e32 v2, 0x71, v8
	v_cmp_eq_u32_e32 vcc, 0, v8
	v_cndmask_b32_e64 v2, 0, v2, s[40:41]
	v_mov_b32_e32 v4, 0x70
	v_cndmask_b32_e32 v9, v2, v4, vcc
	v_add_u32_e32 v4, 21, v9
	v_or_b32_e32 v3, 0x800000, v28
	v_lshlrev_b64 v[16:17], v4, -1
	v_cndmask_b32_e32 v2, v3, v28, vcc
	v_mov_b32_e32 v3, v29
	v_add_u32_e32 v4, 20, v9
	v_bfi_b32 v16, v16, 0, v2
	v_lshlrev_b64 v[30:31], v4, 1
	v_lshrrev_b64 v[2:3], v9, v[2:3]
	v_bfi_b32 v17, v17, 0, 0
	v_cmp_eq_u64_e64 s[40:41], v[16:17], v[30:31]
	v_mov_b32_e32 v4, v3
	v_mov_b32_e32 v3, v2
	s_and_saveexec_b64 s[50:51], s[40:41]
; %bb.9423:                             ;   in Loop: Header=BB2_8591 Depth=3
	v_bfe_u32 v3, v2, 21, 1
	v_add_co_u32_e64 v3, s[40:41], v2, v3
	v_add_co_u32_e64 v3, s[40:41], -1, v3
; %bb.9424:                             ;   in Loop: Header=BB2_8591 Depth=3
	s_or_b64 exec, exec, s[50:51]
	v_add_u32_e32 v4, 0xffffff81, v8
	v_cndmask_b32_e32 v4, v4, v1, vcc
	v_lshrrev_b32_e32 v8, 23, v2
	v_add3_u32 v9, v9, v4, v8
	v_add_u32_e32 v8, 14, v9
	v_and_b32_e32 v3, 0x1fffff, v3
	v_add_u32_e32 v28, v3, v2
	v_cmp_ne_u32_e32 vcc, 0, v8
                                        ; implicit-def: $vgpr2_vgpr3
                                        ; implicit-def: $vgpr4
	s_and_saveexec_b64 s[40:41], vcc
	s_xor_b64 s[40:41], exec, s[40:41]
; %bb.9425:                             ;   in Loop: Header=BB2_8591 Depth=3
	v_cmp_lt_u64_e32 vcc, s[88:89], v[28:29]
	v_add_u32_e32 v2, 15, v9
	v_cndmask_b32_e32 v4, v8, v2, vcc
	v_cndmask_b32_e64 v2, 0, 1, vcc
	v_lshrrev_b64 v[2:3], v2, v[28:29]
; %bb.9426:                             ;   in Loop: Header=BB2_8591 Depth=3
	s_andn2_saveexec_b64 s[40:41], s[40:41]
; %bb.9427:                             ;   in Loop: Header=BB2_8591 Depth=3
	v_mov_b32_e32 v2, v28
	v_mov_b32_e32 v3, v29
	v_bfe_u32 v4, v28, 23, 1
; %bb.9428:                             ;   in Loop: Header=BB2_8591 Depth=3
	s_or_b64 exec, exec, s[40:41]
	v_lshrrev_b64 v[2:3], 21, v[2:3]
	v_cmp_gt_i32_e32 vcc, 32, v4
	v_cndmask_b32_e32 v3, 0, v3, vcc
	v_cndmask_b32_e32 v2, 3, v2, vcc
	v_cmp_eq_u64_e64 s[40:41], 0, v[2:3]
	v_min_i32_e32 v3, 31, v4
	v_lshlrev_b32_e32 v3, 2, v3
	v_cmp_eq_u32_e32 vcc, 0, v4
	v_and_b32_e32 v3, 0xfc, v3
	v_and_or_b32 v2, v2, 3, v3
	s_and_b64 s[40:41], vcc, s[40:41]
	v_cndmask_b32_e64 v2, v2, 0, s[40:41]
	v_or_b32_e32 v59, v2, v5
.LBB2_9429:                             ;   in Loop: Header=BB2_8591 Depth=3
	s_or_b64 exec, exec, s[48:49]
                                        ; implicit-def: $vgpr5
.LBB2_9430:                             ;   in Loop: Header=BB2_8591 Depth=3
	s_andn2_saveexec_b64 s[40:41], s[38:39]
; %bb.9431:                             ;   in Loop: Header=BB2_8591 Depth=3
	v_or_b32_e32 v59, 0x7b, v5
; %bb.9432:                             ;   in Loop: Header=BB2_8591 Depth=3
	s_or_b64 exec, exec, s[40:41]
                                        ; implicit-def: $vgpr2
.LBB2_9433:                             ;   in Loop: Header=BB2_8591 Depth=3
	s_andn2_saveexec_b64 s[40:41], s[42:43]
	s_cbranch_execz .LBB2_9439
; %bb.9434:                             ;   in Loop: Header=BB2_8591 Depth=3
	v_cmp_ne_u64_e32 vcc, 0, v[28:29]
                                        ; implicit-def: $vgpr59
	s_and_saveexec_b64 s[42:43], vcc
	s_xor_b64 s[42:43], exec, s[42:43]
; %bb.9435:                             ;   in Loop: Header=BB2_8591 Depth=3
	v_or_b32_sdwa v59, v2, s47 dst_sel:DWORD dst_unused:UNUSED_PAD src0_sel:BYTE_3 src1_sel:DWORD
                                        ; implicit-def: $vgpr2
; %bb.9436:                             ;   in Loop: Header=BB2_8591 Depth=3
	s_andn2_saveexec_b64 s[42:43], s[42:43]
; %bb.9437:                             ;   in Loop: Header=BB2_8591 Depth=3
	v_cmp_lt_i32_e32 vcc, -1, v2
	v_cndmask_b32_e32 v59, v6, v22, vcc
; %bb.9438:                             ;   in Loop: Header=BB2_8591 Depth=3
	s_or_b64 exec, exec, s[42:43]
.LBB2_9439:                             ;   in Loop: Header=BB2_8591 Depth=3
	s_or_b64 exec, exec, s[40:41]
	v_lshlrev_b32_e32 v2, 24, v56
	v_lshlrev_b32_e32 v3, 16, v46
	v_lshl_or_b32 v17, v53, 8, v37
	v_or3_b32 v28, v3, v2, v17
	v_cmp_ne_u32_e32 vcc, 0, v37
	v_mov_b32_e32 v2, 0
	s_and_saveexec_b64 s[42:43], vcc
	s_cbranch_execz .LBB2_9447
; %bb.9440:                             ;   in Loop: Header=BB2_8591 Depth=3
	v_cmp_ne_u32_e32 vcc, s96, v37
	v_bfrev_b32_e32 v2, 1
	s_and_saveexec_b64 s[38:39], vcc
	s_cbranch_execz .LBB2_9446
; %bb.9441:                             ;   in Loop: Header=BB2_8591 Depth=3
	v_and_b32_e32 v2, 0x7c, v37
	v_and_b32_e32 v3, 3, v37
	v_cmp_ne_u32_e32 vcc, s85, v2
                                        ; implicit-def: $vgpr2
	s_and_saveexec_b64 s[40:41], vcc
	s_xor_b64 s[40:41], exec, s[40:41]
	s_cbranch_execz .LBB2_9443
; %bb.9442:                             ;   in Loop: Header=BB2_8591 Depth=3
	v_ffbh_u32_e32 v4, v3
	v_min_u32_e32 v8, 32, v4
	v_subrev_u32_e32 v4, 29, v8
	v_lshlrev_b64 v[4:5], v4, v[28:29]
	v_bfe_u32 v2, v37, 2, 5
	v_and_b32_e32 v4, 3, v4
	v_cmp_eq_u32_e32 vcc, 0, v2
	v_sub_u32_e32 v5, 30, v8
	v_cndmask_b32_e32 v3, v3, v4, vcc
	v_lshlrev_b32_e32 v4, 24, v37
	v_cndmask_b32_e32 v2, v2, v5, vcc
	v_and_b32_e32 v4, 0x80000000, v4
	v_lshl_add_u32 v2, v2, 23, v4
	v_lshl_or_b32 v2, v3, 21, v2
	v_add_u32_e32 v2, 0x38000000, v2
                                        ; implicit-def: $vgpr3
                                        ; implicit-def: $vgpr37
.LBB2_9443:                             ;   in Loop: Header=BB2_8591 Depth=3
	s_andn2_saveexec_b64 s[48:49], s[40:41]
; %bb.9444:                             ;   in Loop: Header=BB2_8591 Depth=3
	v_and_b32_e32 v2, 0x80, v37
	v_cmp_eq_u32_e64 s[40:41], 0, v2
	v_cmp_eq_u32_e32 vcc, 0, v3
	v_cndmask_b32_e64 v2, v7, v0, s[40:41]
	v_cndmask_b32_e32 v2, v35, v2, vcc
; %bb.9445:                             ;   in Loop: Header=BB2_8591 Depth=3
	s_or_b64 exec, exec, s[48:49]
.LBB2_9446:                             ;   in Loop: Header=BB2_8591 Depth=3
	s_or_b64 exec, exec, s[38:39]
.LBB2_9447:                             ;   in Loop: Header=BB2_8591 Depth=3
	s_or_b64 exec, exec, s[42:43]
	v_cmp_gt_i16_sdwa s[42:43], v11, s47 src0_sel:BYTE_0 src1_sel:DWORD
	s_mov_b64 s[40:41], 0
	s_and_saveexec_b64 vcc, s[42:43]
	s_xor_b64 s[42:43], exec, vcc
	s_cbranch_execz .LBB2_9451
; %bb.9448:                             ;   in Loop: Header=BB2_8591 Depth=3
	v_cmp_eq_u16_sdwa s[38:39], v11, s96 src0_sel:BYTE_0 src1_sel:DWORD
	s_mov_b64 s[40:41], -1
	s_and_saveexec_b64 vcc, s[38:39]
; %bb.9449:                             ;   in Loop: Header=BB2_8591 Depth=3
	s_xor_b64 s[40:41], exec, -1
; %bb.9450:                             ;   in Loop: Header=BB2_8591 Depth=3
	s_or_b64 exec, exec, vcc
	s_and_b64 s[40:41], s[40:41], exec
.LBB2_9451:                             ;   in Loop: Header=BB2_8591 Depth=3
	s_or_saveexec_b64 s[42:43], s[42:43]
	v_bfrev_b32_e32 v3, 1
	s_xor_b64 exec, exec, s[42:43]
; %bb.9452:                             ;   in Loop: Header=BB2_8591 Depth=3
	v_cmp_ne_u16_sdwa vcc, v11, v29 src0_sel:BYTE_0 src1_sel:DWORD
	s_andn2_b64 s[40:41], s[40:41], exec
	s_and_b64 vcc, vcc, exec
	v_mov_b32_e32 v3, 0
	s_or_b64 s[40:41], s[40:41], vcc
; %bb.9453:                             ;   in Loop: Header=BB2_8591 Depth=3
	s_or_b64 exec, exec, s[42:43]
	v_mov_b32_e32 v4, v11
	v_mov_b32_e32 v5, v29
	s_and_saveexec_b64 s[38:39], s[40:41]
	s_cbranch_execz .LBB2_9455
; %bb.9454:                             ;   in Loop: Header=BB2_8591 Depth=3
	v_and_b32_e32 v3, 3, v11
	v_and_b32_e32 v8, 0x7c, v11
	v_cmp_eq_u32_e32 vcc, s85, v8
	v_ffbh_u32_e32 v8, v3
	v_min_u32_e32 v30, 32, v8
	v_subrev_u32_e32 v8, 29, v30
	v_bfe_u32 v16, v11, 2, 5
	v_lshlrev_b64 v[8:9], v8, v[4:5]
	v_cmp_eq_u32_e64 s[40:41], 0, v16
	v_sub_u32_e32 v5, 30, v30
	v_lshlrev_b32_e32 v9, 24, v11
	v_and_b32_e32 v8, 3, v8
	v_cndmask_b32_e64 v5, v16, v5, s[40:41]
	v_and_b32_e32 v9, 0x80000000, v9
	v_cndmask_b32_e64 v8, v3, v8, s[40:41]
	v_lshl_add_u32 v5, v5, 23, v9
	v_cmp_gt_i16_sdwa s[42:43], sext(v11), v48 src0_sel:BYTE_0 src1_sel:DWORD
	v_lshl_or_b32 v5, v8, 21, v5
	v_cmp_eq_u32_e64 s[40:41], 0, v3
	v_cndmask_b32_e64 v3, v7, v0, s[42:43]
	v_add_u32_e32 v5, 0x38000000, v5
	v_cndmask_b32_e64 v3, v35, v3, s[40:41]
	v_cndmask_b32_e32 v3, v5, v3, vcc
.LBB2_9455:                             ;   in Loop: Header=BB2_8591 Depth=3
	s_or_b64 exec, exec, s[38:39]
	v_add_f32_e32 v8, v2, v3
	v_and_b32_e32 v30, 0x7f800000, v8
	v_mov_b32_e32 v31, v29
	v_cmp_ne_u64_e32 vcc, s[76:77], v[30:31]
	v_and_b32_e32 v2, 0x7fffff, v8
	v_mov_b32_e32 v3, v29
                                        ; implicit-def: $vgpr5
	s_and_saveexec_b64 s[40:41], vcc
	s_xor_b64 s[42:43], exec, s[40:41]
	s_cbranch_execz .LBB2_9469
; %bb.9456:                             ;   in Loop: Header=BB2_8591 Depth=3
	v_and_b32_e32 v30, 0x7fffffff, v8
	v_mov_b32_e32 v31, v29
	v_cmp_gt_u64_e32 vcc, s[78:79], v[30:31]
	v_and_b32_sdwa v37, v8, s96 dst_sel:DWORD dst_unused:UNUSED_PAD src0_sel:BYTE_3 src1_sel:DWORD
                                        ; implicit-def: $vgpr5
	s_and_saveexec_b64 s[40:41], vcc
	s_xor_b64 s[38:39], exec, s[40:41]
	s_cbranch_execz .LBB2_9466
; %bb.9457:                             ;   in Loop: Header=BB2_8591 Depth=3
	v_mov_b32_e32 v5, 0
	v_cmp_ne_u32_e32 vcc, 0, v8
	s_and_saveexec_b64 s[48:49], vcc
	s_cbranch_execz .LBB2_9465
; %bb.9458:                             ;   in Loop: Header=BB2_8591 Depth=3
	v_bfe_u32 v5, v8, 23, 8
	v_cmp_gt_u32_e64 s[40:41], s46, v5
	v_sub_u32_e32 v8, 0x71, v5
	v_cmp_eq_u32_e32 vcc, 0, v5
	v_cndmask_b32_e64 v8, 0, v8, s[40:41]
	v_mov_b32_e32 v16, 0x70
	v_cndmask_b32_e32 v49, v8, v16, vcc
	v_or_b32_e32 v9, 0x800000, v2
	v_add_u32_e32 v8, 21, v49
	v_cndmask_b32_e32 v2, v9, v2, vcc
	v_lshlrev_b64 v[8:9], v8, -1
	v_add_u32_e32 v16, 20, v49
	v_bfi_b32 v8, v8, 0, v2
	v_lshlrev_b64 v[30:31], v16, 1
	v_lshrrev_b64 v[2:3], v49, v[2:3]
	v_bfi_b32 v9, v9, 0, 0
	v_cmp_eq_u64_e64 s[40:41], v[8:9], v[30:31]
	v_mov_b32_e32 v9, v3
	v_mov_b32_e32 v8, v2
	s_and_saveexec_b64 s[50:51], s[40:41]
; %bb.9459:                             ;   in Loop: Header=BB2_8591 Depth=3
	v_bfe_u32 v3, v2, 21, 1
	v_add_co_u32_e64 v3, s[40:41], v2, v3
	v_add_co_u32_e64 v8, s[40:41], -1, v3
; %bb.9460:                             ;   in Loop: Header=BB2_8591 Depth=3
	s_or_b64 exec, exec, s[50:51]
	v_add_u32_e32 v3, 0xffffff81, v5
	v_cndmask_b32_e32 v3, v3, v1, vcc
	v_lshrrev_b32_e32 v5, 23, v2
	v_add3_u32 v49, v49, v3, v5
	v_add_u32_e32 v9, 14, v49
	v_and_b32_e32 v3, 0x1fffff, v8
	v_add_u32_e32 v2, v3, v2
	v_mov_b32_e32 v3, v29
	v_cmp_ne_u32_e32 vcc, 0, v9
                                        ; implicit-def: $vgpr5
	s_and_saveexec_b64 s[40:41], vcc
	s_xor_b64 s[40:41], exec, s[40:41]
; %bb.9461:                             ;   in Loop: Header=BB2_8591 Depth=3
	v_cmp_lt_u64_e32 vcc, s[88:89], v[2:3]
	v_add_u32_e32 v5, 15, v49
	v_cndmask_b32_e64 v8, 0, 1, vcc
	v_cndmask_b32_e32 v5, v9, v5, vcc
	v_lshrrev_b64 v[2:3], v8, v[2:3]
; %bb.9462:                             ;   in Loop: Header=BB2_8591 Depth=3
	s_andn2_saveexec_b64 s[40:41], s[40:41]
; %bb.9463:                             ;   in Loop: Header=BB2_8591 Depth=3
	v_bfe_u32 v5, v2, 23, 1
; %bb.9464:                             ;   in Loop: Header=BB2_8591 Depth=3
	s_or_b64 exec, exec, s[40:41]
	v_lshrrev_b64 v[2:3], 21, v[2:3]
	v_cmp_gt_i32_e32 vcc, 32, v5
	v_cndmask_b32_e32 v3, 0, v3, vcc
	v_cndmask_b32_e32 v2, 3, v2, vcc
	v_cmp_eq_u64_e64 s[40:41], 0, v[2:3]
	v_min_i32_e32 v3, 31, v5
	v_lshlrev_b32_e32 v3, 2, v3
	v_cmp_eq_u32_e32 vcc, 0, v5
	v_and_b32_e32 v3, 0xfc, v3
	v_and_or_b32 v2, v2, 3, v3
	s_and_b64 s[40:41], vcc, s[40:41]
	v_cndmask_b32_e64 v2, v2, 0, s[40:41]
	v_or_b32_e32 v5, v2, v37
.LBB2_9465:                             ;   in Loop: Header=BB2_8591 Depth=3
	s_or_b64 exec, exec, s[48:49]
                                        ; implicit-def: $vgpr37
.LBB2_9466:                             ;   in Loop: Header=BB2_8591 Depth=3
	s_andn2_saveexec_b64 s[40:41], s[38:39]
; %bb.9467:                             ;   in Loop: Header=BB2_8591 Depth=3
	v_or_b32_e32 v5, 0x7b, v37
; %bb.9468:                             ;   in Loop: Header=BB2_8591 Depth=3
	s_or_b64 exec, exec, s[40:41]
                                        ; implicit-def: $vgpr8
                                        ; implicit-def: $vgpr2_vgpr3
.LBB2_9469:                             ;   in Loop: Header=BB2_8591 Depth=3
	s_andn2_saveexec_b64 s[40:41], s[42:43]
	s_cbranch_execz .LBB2_9475
; %bb.9470:                             ;   in Loop: Header=BB2_8591 Depth=3
	v_cmp_ne_u64_e32 vcc, 0, v[2:3]
                                        ; implicit-def: $vgpr5
	s_and_saveexec_b64 s[42:43], vcc
	s_xor_b64 s[42:43], exec, s[42:43]
; %bb.9471:                             ;   in Loop: Header=BB2_8591 Depth=3
	v_or_b32_sdwa v5, v8, s47 dst_sel:DWORD dst_unused:UNUSED_PAD src0_sel:BYTE_3 src1_sel:DWORD
                                        ; implicit-def: $vgpr8
; %bb.9472:                             ;   in Loop: Header=BB2_8591 Depth=3
	s_andn2_saveexec_b64 s[42:43], s[42:43]
; %bb.9473:                             ;   in Loop: Header=BB2_8591 Depth=3
	v_cmp_lt_i32_e32 vcc, -1, v8
	v_cndmask_b32_e32 v5, v6, v22, vcc
; %bb.9474:                             ;   in Loop: Header=BB2_8591 Depth=3
	s_or_b64 exec, exec, s[42:43]
.LBB2_9475:                             ;   in Loop: Header=BB2_8591 Depth=3
	s_or_b64 exec, exec, s[40:41]
	v_lshrrev_b16_e32 v2, 8, v17
	v_cmp_ne_u16_e32 vcc, 0, v2
	v_mov_b32_e32 v8, 0
	s_and_saveexec_b64 s[40:41], vcc
	s_cbranch_execz .LBB2_9483
; %bb.9476:                             ;   in Loop: Header=BB2_8591 Depth=3
	v_cmp_ne_u16_e32 vcc, s96, v2
	v_bfrev_b32_e32 v8, 1
	s_and_saveexec_b64 s[42:43], vcc
	s_cbranch_execz .LBB2_9482
; %bb.9477:                             ;   in Loop: Header=BB2_8591 Depth=3
	v_and_b32_e32 v3, 0x7c, v2
	v_and_b32_e32 v9, 3, v2
	v_cmp_ne_u32_e32 vcc, s85, v3
                                        ; implicit-def: $vgpr8
	s_and_saveexec_b64 s[38:39], vcc
	s_xor_b64 s[38:39], exec, s[38:39]
	s_cbranch_execz .LBB2_9479
; %bb.9478:                             ;   in Loop: Header=BB2_8591 Depth=3
	v_ffbh_u32_e32 v16, v9
	v_min_u32_e32 v16, 32, v16
	v_mov_b32_e32 v3, v29
	v_subrev_u32_e32 v30, 29, v16
	v_bfe_u32 v8, v2, 2, 5
	v_lshlrev_b64 v[2:3], v30, v[2:3]
	v_sub_u32_e32 v3, 30, v16
	v_cmp_eq_u32_e32 vcc, 0, v8
	v_cndmask_b32_e32 v3, v8, v3, vcc
	v_lshlrev_b32_e32 v8, 16, v17
	v_and_b32_e32 v2, 3, v2
	v_and_b32_e32 v8, 0x80000000, v8
	v_cndmask_b32_e32 v2, v9, v2, vcc
	v_lshl_add_u32 v3, v3, 23, v8
	v_lshl_or_b32 v2, v2, 21, v3
	v_add_u32_e32 v8, 0x38000000, v2
                                        ; implicit-def: $vgpr9
                                        ; implicit-def: $vgpr17
.LBB2_9479:                             ;   in Loop: Header=BB2_8591 Depth=3
	s_andn2_saveexec_b64 s[38:39], s[38:39]
; %bb.9480:                             ;   in Loop: Header=BB2_8591 Depth=3
	v_cmp_lt_i16_e32 vcc, -1, v17
	v_cndmask_b32_e32 v2, v7, v0, vcc
	v_cmp_eq_u32_e32 vcc, 0, v9
	v_cndmask_b32_e32 v8, v35, v2, vcc
; %bb.9481:                             ;   in Loop: Header=BB2_8591 Depth=3
	s_or_b64 exec, exec, s[38:39]
.LBB2_9482:                             ;   in Loop: Header=BB2_8591 Depth=3
	s_or_b64 exec, exec, s[42:43]
.LBB2_9483:                             ;   in Loop: Header=BB2_8591 Depth=3
	s_or_b64 exec, exec, s[40:41]
	v_lshrrev_b16_e32 v2, 8, v4
	v_cmp_lt_i16_e32 vcc, s47, v2
	s_mov_b64 s[40:41], 0
	s_and_saveexec_b64 s[42:43], vcc
	s_xor_b64 s[42:43], exec, s[42:43]
	s_cbranch_execz .LBB2_9586
; %bb.9484:                             ;   in Loop: Header=BB2_8591 Depth=3
	v_cmp_eq_u16_e32 vcc, s96, v2
	s_mov_b64 s[40:41], -1
	s_and_saveexec_b64 s[38:39], vcc
; %bb.9485:                             ;   in Loop: Header=BB2_8591 Depth=3
	s_xor_b64 s[40:41], exec, -1
; %bb.9486:                             ;   in Loop: Header=BB2_8591 Depth=3
	s_or_b64 exec, exec, s[38:39]
	s_and_b64 s[40:41], s[40:41], exec
	s_or_saveexec_b64 s[42:43], s[42:43]
	v_bfrev_b32_e32 v3, 1
	s_xor_b64 exec, exec, s[42:43]
	s_cbranch_execnz .LBB2_9587
.LBB2_9487:                             ;   in Loop: Header=BB2_8591 Depth=3
	s_or_b64 exec, exec, s[42:43]
	s_and_saveexec_b64 s[38:39], s[40:41]
	s_cbranch_execz .LBB2_9489
.LBB2_9488:                             ;   in Loop: Header=BB2_8591 Depth=3
	v_and_b32_e32 v9, 3, v2
	v_and_b32_e32 v16, 0x7c, v2
	v_cmp_eq_u32_e32 vcc, s85, v16
	v_ffbh_u32_e32 v16, v9
	v_min_u32_e32 v31, 32, v16
	v_mov_b32_e32 v3, v29
	v_subrev_u32_e32 v16, 29, v31
	v_bfe_u32 v30, v2, 2, 5
	v_lshlrev_b64 v[16:17], v16, v[2:3]
	v_cmp_eq_u32_e64 s[40:41], 0, v30
	v_sub_u32_e32 v3, 30, v31
	v_lshlrev_b32_e32 v2, 24, v2
	v_and_b32_e32 v16, 3, v16
	v_cndmask_b32_e64 v3, v30, v3, s[40:41]
	v_and_b32_e32 v2, 0x80000000, v2
	v_cndmask_b32_e64 v16, v9, v16, s[40:41]
	v_lshl_add_u32 v2, v3, 23, v2
	v_cmp_lt_i16_e64 s[42:43], -1, v4
	v_lshl_or_b32 v2, v16, 21, v2
	v_cmp_eq_u32_e64 s[40:41], 0, v9
	v_cndmask_b32_e64 v3, v7, v0, s[42:43]
	v_add_u32_e32 v2, 0x38000000, v2
	v_cndmask_b32_e64 v3, v35, v3, s[40:41]
	v_cndmask_b32_e32 v3, v2, v3, vcc
.LBB2_9489:                             ;   in Loop: Header=BB2_8591 Depth=3
	s_or_b64 exec, exec, s[38:39]
	v_add_f32_e32 v4, v8, v3
	v_and_b32_e32 v8, 0x7f800000, v4
	v_mov_b32_e32 v9, v29
	v_cmp_ne_u64_e32 vcc, s[76:77], v[8:9]
	v_and_b32_e32 v2, 0x7fffff, v4
	v_mov_b32_e32 v3, v29
                                        ; implicit-def: $vgpr8
	s_and_saveexec_b64 s[40:41], vcc
	s_xor_b64 s[42:43], exec, s[40:41]
	s_cbranch_execz .LBB2_9503
; %bb.9490:                             ;   in Loop: Header=BB2_8591 Depth=3
	v_and_b32_e32 v8, 0x7fffffff, v4
	v_mov_b32_e32 v9, v29
	v_cmp_gt_u64_e32 vcc, s[78:79], v[8:9]
	v_and_b32_sdwa v9, v4, s96 dst_sel:DWORD dst_unused:UNUSED_PAD src0_sel:BYTE_3 src1_sel:DWORD
                                        ; implicit-def: $vgpr8
	s_and_saveexec_b64 s[40:41], vcc
	s_xor_b64 s[38:39], exec, s[40:41]
	s_cbranch_execz .LBB2_9500
; %bb.9491:                             ;   in Loop: Header=BB2_8591 Depth=3
	v_mov_b32_e32 v8, 0
	v_cmp_ne_u32_e32 vcc, 0, v4
	s_and_saveexec_b64 s[48:49], vcc
	s_cbranch_execz .LBB2_9499
; %bb.9492:                             ;   in Loop: Header=BB2_8591 Depth=3
	v_bfe_u32 v8, v4, 23, 8
	v_cmp_gt_u32_e64 s[40:41], s46, v8
	v_sub_u32_e32 v4, 0x71, v8
	v_cmp_eq_u32_e32 vcc, 0, v8
	v_cndmask_b32_e64 v4, 0, v4, s[40:41]
	v_mov_b32_e32 v17, 0x70
	v_cndmask_b32_e32 v17, v4, v17, vcc
	v_add_u32_e32 v4, 21, v17
	v_or_b32_e32 v16, 0x800000, v2
	v_lshlrev_b64 v[30:31], v4, -1
	v_cndmask_b32_e32 v2, v16, v2, vcc
	v_add_u32_e32 v4, 20, v17
	v_bfi_b32 v30, v30, 0, v2
	v_lshlrev_b64 v[37:38], v4, 1
	v_lshrrev_b64 v[2:3], v17, v[2:3]
	v_bfi_b32 v31, v31, 0, 0
	v_cmp_eq_u64_e64 s[40:41], v[30:31], v[37:38]
	v_mov_b32_e32 v4, v3
	v_mov_b32_e32 v3, v2
	s_and_saveexec_b64 s[50:51], s[40:41]
; %bb.9493:                             ;   in Loop: Header=BB2_8591 Depth=3
	v_bfe_u32 v3, v2, 21, 1
	v_add_co_u32_e64 v3, s[40:41], v2, v3
	v_add_co_u32_e64 v3, s[40:41], -1, v3
; %bb.9494:                             ;   in Loop: Header=BB2_8591 Depth=3
	s_or_b64 exec, exec, s[50:51]
	v_add_u32_e32 v4, 0xffffff81, v8
	v_cndmask_b32_e32 v4, v4, v1, vcc
	v_lshrrev_b32_e32 v8, 23, v2
	v_add3_u32 v17, v17, v4, v8
	v_add_u32_e32 v8, 14, v17
	v_and_b32_e32 v3, 0x1fffff, v3
	v_add_u32_e32 v2, v3, v2
	v_mov_b32_e32 v3, v29
	v_cmp_ne_u32_e32 vcc, 0, v8
                                        ; implicit-def: $vgpr4
	s_and_saveexec_b64 s[40:41], vcc
	s_xor_b64 s[40:41], exec, s[40:41]
; %bb.9495:                             ;   in Loop: Header=BB2_8591 Depth=3
	v_cmp_lt_u64_e32 vcc, s[88:89], v[2:3]
	v_add_u32_e32 v4, 15, v17
	v_cndmask_b32_e32 v4, v8, v4, vcc
	v_cndmask_b32_e64 v8, 0, 1, vcc
	v_lshrrev_b64 v[2:3], v8, v[2:3]
; %bb.9496:                             ;   in Loop: Header=BB2_8591 Depth=3
	s_andn2_saveexec_b64 s[40:41], s[40:41]
; %bb.9497:                             ;   in Loop: Header=BB2_8591 Depth=3
	v_bfe_u32 v4, v2, 23, 1
; %bb.9498:                             ;   in Loop: Header=BB2_8591 Depth=3
	s_or_b64 exec, exec, s[40:41]
	v_lshrrev_b64 v[2:3], 21, v[2:3]
	v_cmp_gt_i32_e32 vcc, 32, v4
	v_cndmask_b32_e32 v3, 0, v3, vcc
	v_cndmask_b32_e32 v2, 3, v2, vcc
	v_cmp_eq_u64_e64 s[40:41], 0, v[2:3]
	v_min_i32_e32 v3, 31, v4
	v_lshlrev_b32_e32 v3, 2, v3
	v_cmp_eq_u32_e32 vcc, 0, v4
	v_and_b32_e32 v3, 0xfc, v3
	v_and_or_b32 v2, v2, 3, v3
	s_and_b64 s[40:41], vcc, s[40:41]
	v_cndmask_b32_e64 v2, v2, 0, s[40:41]
	v_or_b32_e32 v8, v2, v9
.LBB2_9499:                             ;   in Loop: Header=BB2_8591 Depth=3
	s_or_b64 exec, exec, s[48:49]
                                        ; implicit-def: $vgpr9
.LBB2_9500:                             ;   in Loop: Header=BB2_8591 Depth=3
	s_andn2_saveexec_b64 s[40:41], s[38:39]
; %bb.9501:                             ;   in Loop: Header=BB2_8591 Depth=3
	v_or_b32_e32 v8, 0x7b, v9
; %bb.9502:                             ;   in Loop: Header=BB2_8591 Depth=3
	s_or_b64 exec, exec, s[40:41]
                                        ; implicit-def: $vgpr4
                                        ; implicit-def: $vgpr2_vgpr3
.LBB2_9503:                             ;   in Loop: Header=BB2_8591 Depth=3
	s_andn2_saveexec_b64 s[40:41], s[42:43]
	s_cbranch_execz .LBB2_9509
; %bb.9504:                             ;   in Loop: Header=BB2_8591 Depth=3
	v_cmp_ne_u64_e32 vcc, 0, v[2:3]
                                        ; implicit-def: $vgpr8
	s_and_saveexec_b64 s[42:43], vcc
	s_xor_b64 s[42:43], exec, s[42:43]
; %bb.9505:                             ;   in Loop: Header=BB2_8591 Depth=3
	v_or_b32_sdwa v8, v4, s47 dst_sel:DWORD dst_unused:UNUSED_PAD src0_sel:BYTE_3 src1_sel:DWORD
                                        ; implicit-def: $vgpr4
; %bb.9506:                             ;   in Loop: Header=BB2_8591 Depth=3
	s_andn2_saveexec_b64 s[42:43], s[42:43]
; %bb.9507:                             ;   in Loop: Header=BB2_8591 Depth=3
	v_cmp_lt_i32_e32 vcc, -1, v4
	v_cndmask_b32_e32 v8, v6, v22, vcc
; %bb.9508:                             ;   in Loop: Header=BB2_8591 Depth=3
	s_or_b64 exec, exec, s[42:43]
.LBB2_9509:                             ;   in Loop: Header=BB2_8591 Depth=3
	s_or_b64 exec, exec, s[40:41]
	v_and_b32_sdwa v4, v28, s87 dst_sel:DWORD dst_unused:UNUSED_PAD src0_sel:WORD_1 src1_sel:DWORD
	v_lshrrev_b32_e32 v2, 16, v28
	v_cmp_ne_u16_e32 vcc, 0, v4
	v_mov_b32_e32 v3, 0
	s_and_saveexec_b64 s[40:41], vcc
	s_cbranch_execz .LBB2_9517
; %bb.9510:                             ;   in Loop: Header=BB2_8591 Depth=3
	v_cmp_ne_u16_e32 vcc, s96, v4
	v_bfrev_b32_e32 v3, 1
	s_and_saveexec_b64 s[42:43], vcc
	s_cbranch_execz .LBB2_9516
; %bb.9511:                             ;   in Loop: Header=BB2_8591 Depth=3
	v_and_b32_e32 v3, 0x7c0000, v28
	v_bfe_u32 v4, v28, 16, 2
	v_cmp_ne_u32_e32 vcc, s44, v3
                                        ; implicit-def: $vgpr3
	s_and_saveexec_b64 s[38:39], vcc
	s_xor_b64 s[38:39], exec, s[38:39]
	s_cbranch_execz .LBB2_9513
; %bb.9512:                             ;   in Loop: Header=BB2_8591 Depth=3
	v_ffbh_u32_e32 v3, v4
	v_min_u32_e32 v16, 32, v3
	v_subrev_u32_e32 v3, 29, v16
	v_lshlrev_b64 v[2:3], v3, v[2:3]
	v_bfe_u32 v9, v28, 18, 5
	v_and_b32_e32 v2, 3, v2
	v_cmp_eq_u32_e32 vcc, 0, v9
	v_sub_u32_e32 v3, 30, v16
	v_cndmask_b32_e32 v2, v4, v2, vcc
	v_lshlrev_b32_e32 v4, 8, v28
	v_cndmask_b32_e32 v3, v9, v3, vcc
	v_and_b32_e32 v4, 0x80000000, v4
	v_lshl_add_u32 v3, v3, 23, v4
	v_lshl_or_b32 v2, v2, 21, v3
	v_add_u32_e32 v3, 0x38000000, v2
                                        ; implicit-def: $vgpr4
                                        ; implicit-def: $vgpr2
.LBB2_9513:                             ;   in Loop: Header=BB2_8591 Depth=3
	s_andn2_saveexec_b64 s[38:39], s[38:39]
; %bb.9514:                             ;   in Loop: Header=BB2_8591 Depth=3
	v_cmp_gt_i16_sdwa vcc, sext(v2), v48 src0_sel:BYTE_0 src1_sel:DWORD
	v_cndmask_b32_e32 v2, v7, v0, vcc
	v_cmp_eq_u32_e32 vcc, 0, v4
	v_cndmask_b32_e32 v3, v35, v2, vcc
; %bb.9515:                             ;   in Loop: Header=BB2_8591 Depth=3
	s_or_b64 exec, exec, s[38:39]
.LBB2_9516:                             ;   in Loop: Header=BB2_8591 Depth=3
	s_or_b64 exec, exec, s[42:43]
.LBB2_9517:                             ;   in Loop: Header=BB2_8591 Depth=3
	s_or_b64 exec, exec, s[40:41]
	v_lshrrev_b32_e32 v2, 16, v11
	v_cmp_gt_i16_sdwa s[42:43], v2, s47 src0_sel:BYTE_0 src1_sel:DWORD
	s_mov_b64 s[40:41], 0
	s_and_saveexec_b64 vcc, s[42:43]
	s_xor_b64 s[42:43], exec, vcc
	s_cbranch_execz .LBB2_9588
; %bb.9518:                             ;   in Loop: Header=BB2_8591 Depth=3
	v_cmp_eq_u16_sdwa s[38:39], v2, s96 src0_sel:BYTE_0 src1_sel:DWORD
	s_mov_b64 s[40:41], -1
	s_and_saveexec_b64 vcc, s[38:39]
; %bb.9519:                             ;   in Loop: Header=BB2_8591 Depth=3
	s_xor_b64 s[40:41], exec, -1
; %bb.9520:                             ;   in Loop: Header=BB2_8591 Depth=3
	s_or_b64 exec, exec, vcc
	s_and_b64 s[40:41], s[40:41], exec
	s_or_saveexec_b64 s[42:43], s[42:43]
	v_bfrev_b32_e32 v4, 1
	s_xor_b64 exec, exec, s[42:43]
	s_cbranch_execnz .LBB2_9589
.LBB2_9521:                             ;   in Loop: Header=BB2_8591 Depth=3
	s_or_b64 exec, exec, s[42:43]
	s_and_saveexec_b64 s[38:39], s[40:41]
	s_cbranch_execz .LBB2_9523
.LBB2_9522:                             ;   in Loop: Header=BB2_8591 Depth=3
	v_and_b32_e32 v4, 3, v2
	v_and_b32_e32 v16, 0x7c0000, v11
	v_cmp_eq_u32_e32 vcc, s44, v16
	v_ffbh_u32_e32 v16, v4
	v_min_u32_e32 v30, 32, v16
	v_subrev_u32_e32 v16, 29, v30
	v_bfe_u32 v9, v11, 18, 5
	v_lshlrev_b64 v[16:17], v16, v[2:3]
	v_cmp_eq_u32_e64 s[40:41], 0, v9
	v_sub_u32_e32 v17, 30, v30
	v_cndmask_b32_e64 v9, v9, v17, s[40:41]
	v_lshlrev_b32_e32 v17, 24, v2
	v_and_b32_e32 v16, 3, v16
	v_and_b32_e32 v17, 0x80000000, v17
	v_cndmask_b32_e64 v16, v4, v16, s[40:41]
	v_lshl_add_u32 v9, v9, 23, v17
	v_cmp_gt_i16_sdwa s[42:43], sext(v2), v48 src0_sel:BYTE_0 src1_sel:DWORD
	v_lshl_or_b32 v9, v16, 21, v9
	v_cmp_eq_u32_e64 s[40:41], 0, v4
	v_cndmask_b32_e64 v2, v7, v0, s[42:43]
	v_add_u32_e32 v9, 0x38000000, v9
	v_cndmask_b32_e64 v2, v35, v2, s[40:41]
	v_cndmask_b32_e32 v4, v9, v2, vcc
.LBB2_9523:                             ;   in Loop: Header=BB2_8591 Depth=3
	s_or_b64 exec, exec, s[38:39]
	v_add_f32_e32 v4, v3, v4
	v_and_b32_e32 v16, 0x7f800000, v4
	v_mov_b32_e32 v17, v29
	v_cmp_ne_u64_e32 vcc, s[76:77], v[16:17]
	v_and_b32_e32 v2, 0x7fffff, v4
	v_mov_b32_e32 v3, v29
                                        ; implicit-def: $vgpr9
	s_and_saveexec_b64 s[40:41], vcc
	s_xor_b64 s[42:43], exec, s[40:41]
	s_cbranch_execz .LBB2_9537
; %bb.9524:                             ;   in Loop: Header=BB2_8591 Depth=3
	v_and_b32_e32 v16, 0x7fffffff, v4
	v_mov_b32_e32 v17, v29
	v_cmp_gt_u64_e32 vcc, s[78:79], v[16:17]
	v_and_b32_sdwa v17, v4, s96 dst_sel:DWORD dst_unused:UNUSED_PAD src0_sel:BYTE_3 src1_sel:DWORD
                                        ; implicit-def: $vgpr9
	s_and_saveexec_b64 s[40:41], vcc
	s_xor_b64 s[38:39], exec, s[40:41]
	s_cbranch_execz .LBB2_9534
; %bb.9525:                             ;   in Loop: Header=BB2_8591 Depth=3
	v_mov_b32_e32 v9, 0
	v_cmp_ne_u32_e32 vcc, 0, v4
	s_and_saveexec_b64 s[48:49], vcc
	s_cbranch_execz .LBB2_9533
; %bb.9526:                             ;   in Loop: Header=BB2_8591 Depth=3
	v_bfe_u32 v9, v4, 23, 8
	v_cmp_gt_u32_e64 s[40:41], s46, v9
	v_sub_u32_e32 v4, 0x71, v9
	v_cmp_eq_u32_e32 vcc, 0, v9
	v_cndmask_b32_e64 v4, 0, v4, s[40:41]
	v_mov_b32_e32 v30, 0x70
	v_cndmask_b32_e32 v37, v4, v30, vcc
	v_add_u32_e32 v4, 21, v37
	v_or_b32_e32 v16, 0x800000, v2
	v_lshlrev_b64 v[30:31], v4, -1
	v_cndmask_b32_e32 v2, v16, v2, vcc
	v_add_u32_e32 v4, 20, v37
	v_bfi_b32 v30, v30, 0, v2
	v_lshlrev_b64 v[38:39], v4, 1
	v_lshrrev_b64 v[2:3], v37, v[2:3]
	v_bfi_b32 v31, v31, 0, 0
	v_cmp_eq_u64_e64 s[40:41], v[30:31], v[38:39]
	v_mov_b32_e32 v4, v3
	v_mov_b32_e32 v3, v2
	s_and_saveexec_b64 s[50:51], s[40:41]
; %bb.9527:                             ;   in Loop: Header=BB2_8591 Depth=3
	v_bfe_u32 v3, v2, 21, 1
	v_add_co_u32_e64 v3, s[40:41], v2, v3
	v_add_co_u32_e64 v3, s[40:41], -1, v3
; %bb.9528:                             ;   in Loop: Header=BB2_8591 Depth=3
	s_or_b64 exec, exec, s[50:51]
	v_add_u32_e32 v4, 0xffffff81, v9
	v_cndmask_b32_e32 v4, v4, v1, vcc
	v_lshrrev_b32_e32 v9, 23, v2
	v_add3_u32 v37, v37, v4, v9
	v_add_u32_e32 v9, 14, v37
	v_and_b32_e32 v3, 0x1fffff, v3
	v_add_u32_e32 v2, v3, v2
	v_mov_b32_e32 v3, v29
	v_cmp_ne_u32_e32 vcc, 0, v9
                                        ; implicit-def: $vgpr4
	s_and_saveexec_b64 s[40:41], vcc
	s_xor_b64 s[40:41], exec, s[40:41]
; %bb.9529:                             ;   in Loop: Header=BB2_8591 Depth=3
	v_cmp_lt_u64_e32 vcc, s[88:89], v[2:3]
	v_add_u32_e32 v4, 15, v37
	v_cndmask_b32_e32 v4, v9, v4, vcc
	v_cndmask_b32_e64 v9, 0, 1, vcc
	v_lshrrev_b64 v[2:3], v9, v[2:3]
; %bb.9530:                             ;   in Loop: Header=BB2_8591 Depth=3
	s_andn2_saveexec_b64 s[40:41], s[40:41]
; %bb.9531:                             ;   in Loop: Header=BB2_8591 Depth=3
	v_bfe_u32 v4, v2, 23, 1
; %bb.9532:                             ;   in Loop: Header=BB2_8591 Depth=3
	s_or_b64 exec, exec, s[40:41]
	v_lshrrev_b64 v[2:3], 21, v[2:3]
	v_cmp_gt_i32_e32 vcc, 32, v4
	v_cndmask_b32_e32 v3, 0, v3, vcc
	v_cndmask_b32_e32 v2, 3, v2, vcc
	v_cmp_eq_u64_e64 s[40:41], 0, v[2:3]
	v_min_i32_e32 v3, 31, v4
	v_lshlrev_b32_e32 v3, 2, v3
	v_cmp_eq_u32_e32 vcc, 0, v4
	v_and_b32_e32 v3, 0xfc, v3
	v_and_or_b32 v2, v2, 3, v3
	s_and_b64 s[40:41], vcc, s[40:41]
	v_cndmask_b32_e64 v2, v2, 0, s[40:41]
	v_or_b32_e32 v9, v2, v17
.LBB2_9533:                             ;   in Loop: Header=BB2_8591 Depth=3
	s_or_b64 exec, exec, s[48:49]
                                        ; implicit-def: $vgpr17
.LBB2_9534:                             ;   in Loop: Header=BB2_8591 Depth=3
	s_andn2_saveexec_b64 s[40:41], s[38:39]
; %bb.9535:                             ;   in Loop: Header=BB2_8591 Depth=3
	v_or_b32_e32 v9, 0x7b, v17
; %bb.9536:                             ;   in Loop: Header=BB2_8591 Depth=3
	s_or_b64 exec, exec, s[40:41]
                                        ; implicit-def: $vgpr4
                                        ; implicit-def: $vgpr2_vgpr3
.LBB2_9537:                             ;   in Loop: Header=BB2_8591 Depth=3
	s_andn2_saveexec_b64 s[40:41], s[42:43]
	s_cbranch_execz .LBB2_9543
; %bb.9538:                             ;   in Loop: Header=BB2_8591 Depth=3
	v_cmp_ne_u64_e32 vcc, 0, v[2:3]
                                        ; implicit-def: $vgpr9
	s_and_saveexec_b64 s[42:43], vcc
	s_xor_b64 s[42:43], exec, s[42:43]
; %bb.9539:                             ;   in Loop: Header=BB2_8591 Depth=3
	v_or_b32_sdwa v9, v4, s47 dst_sel:DWORD dst_unused:UNUSED_PAD src0_sel:BYTE_3 src1_sel:DWORD
                                        ; implicit-def: $vgpr4
; %bb.9540:                             ;   in Loop: Header=BB2_8591 Depth=3
	s_andn2_saveexec_b64 s[42:43], s[42:43]
; %bb.9541:                             ;   in Loop: Header=BB2_8591 Depth=3
	v_cmp_lt_i32_e32 vcc, -1, v4
	v_cndmask_b32_e32 v9, v6, v22, vcc
; %bb.9542:                             ;   in Loop: Header=BB2_8591 Depth=3
	s_or_b64 exec, exec, s[42:43]
.LBB2_9543:                             ;   in Loop: Header=BB2_8591 Depth=3
	s_or_b64 exec, exec, s[40:41]
	v_cmp_lt_u32_e32 vcc, s57, v28
	v_mov_b32_e32 v3, 0
	s_and_saveexec_b64 s[40:41], vcc
	s_cbranch_execz .LBB2_9551
; %bb.9544:                             ;   in Loop: Header=BB2_8591 Depth=3
	v_lshrrev_b32_e32 v2, 24, v28
	v_cmp_ne_u32_e32 vcc, s96, v2
	v_bfrev_b32_e32 v3, 1
	s_and_saveexec_b64 s[42:43], vcc
	s_cbranch_execz .LBB2_9550
; %bb.9545:                             ;   in Loop: Header=BB2_8591 Depth=3
	v_and_b32_e32 v3, 0x7c000000, v28
	v_bfe_u32 v4, v28, 24, 2
	v_cmp_ne_u32_e32 vcc, s45, v3
                                        ; implicit-def: $vgpr3
	s_and_saveexec_b64 s[38:39], vcc
	s_xor_b64 s[38:39], exec, s[38:39]
	s_cbranch_execz .LBB2_9547
; %bb.9546:                             ;   in Loop: Header=BB2_8591 Depth=3
	v_ffbh_u32_e32 v3, v4
	v_min_u32_e32 v17, 32, v3
	v_subrev_u32_e32 v3, 29, v17
	v_lshlrev_b64 v[2:3], v3, v[2:3]
	v_bfe_u32 v16, v28, 26, 5
	v_sub_u32_e32 v3, 30, v17
	v_and_b32_e32 v2, 3, v2
	v_cmp_eq_u32_e32 vcc, 0, v16
	v_cndmask_b32_e32 v3, v16, v3, vcc
	v_cndmask_b32_e32 v2, v4, v2, vcc
	v_and_b32_e32 v4, 0x80000000, v28
	v_lshl_add_u32 v3, v3, 23, v4
	v_lshl_or_b32 v2, v2, 21, v3
	v_add_u32_e32 v3, 0x38000000, v2
                                        ; implicit-def: $vgpr4
.LBB2_9547:                             ;   in Loop: Header=BB2_8591 Depth=3
	s_andn2_saveexec_b64 s[38:39], s[38:39]
; %bb.9548:                             ;   in Loop: Header=BB2_8591 Depth=3
	v_cmp_lt_i32_e32 vcc, -1, v28
	v_cndmask_b32_e32 v2, v7, v0, vcc
	v_cmp_eq_u32_e32 vcc, 0, v4
	v_cndmask_b32_e32 v3, v35, v2, vcc
; %bb.9549:                             ;   in Loop: Header=BB2_8591 Depth=3
	s_or_b64 exec, exec, s[38:39]
.LBB2_9550:                             ;   in Loop: Header=BB2_8591 Depth=3
	s_or_b64 exec, exec, s[42:43]
.LBB2_9551:                             ;   in Loop: Header=BB2_8591 Depth=3
	s_or_b64 exec, exec, s[40:41]
	v_bfe_u32 v4, v11, 24, 2
	v_and_b32_e32 v16, 0x7c000000, v11
	v_cmp_eq_u32_e32 vcc, s45, v16
	v_ffbh_u32_e32 v16, v4
	v_min_u32_e32 v30, 32, v16
	v_lshrrev_b32_e32 v2, 24, v11
	v_subrev_u32_e32 v16, 29, v30
	v_bfe_u32 v28, v11, 26, 5
	v_lshlrev_b64 v[16:17], v16, v[2:3]
	v_cmp_eq_u32_e64 s[40:41], 0, v28
	v_sub_u32_e32 v17, 30, v30
	v_and_b32_e32 v16, 3, v16
	v_cndmask_b32_e64 v17, v28, v17, s[40:41]
	v_and_b32_e32 v28, 0x80000000, v11
	v_cmp_lt_i64_e64 s[42:43], -1, v[10:11]
	v_cndmask_b32_e64 v16, v4, v16, s[40:41]
	v_lshl_add_u32 v17, v17, 23, v28
	v_lshl_or_b32 v16, v16, 21, v17
	v_cmp_eq_u32_e64 s[40:41], 0, v4
	v_cndmask_b32_e64 v4, v7, v0, s[42:43]
	v_add_u32_e32 v16, 0x38000000, v16
	v_cndmask_b32_e64 v4, v35, v4, s[40:41]
	v_cndmask_b32_e32 v4, v16, v4, vcc
	v_cmp_ne_u32_e32 vcc, s96, v2
	v_bfrev_b32_e32 v2, 1
	v_cndmask_b32_e32 v2, v2, v4, vcc
	v_cmp_lt_u64_e32 vcc, s[56:57], v[10:11]
	v_mov_b32_e32 v11, v29
	v_cndmask_b32_e32 v2, 0, v2, vcc
	v_add_f32_e32 v3, v2, v3
	v_and_b32_e32 v10, 0x7f800000, v3
	v_cmp_ne_u64_e32 vcc, s[76:77], v[10:11]
	v_and_b32_e32 v28, 0x7fffff, v3
                                        ; implicit-def: $vgpr2
	s_and_saveexec_b64 s[40:41], vcc
	s_xor_b64 s[42:43], exec, s[40:41]
	s_cbranch_execz .LBB2_9565
; %bb.9552:                             ;   in Loop: Header=BB2_8591 Depth=3
	v_and_b32_e32 v10, 0x7fffffff, v3
	v_mov_b32_e32 v11, v29
	v_cmp_gt_u64_e32 vcc, s[78:79], v[10:11]
	v_and_b32_sdwa v10, v3, s96 dst_sel:DWORD dst_unused:UNUSED_PAD src0_sel:BYTE_3 src1_sel:DWORD
                                        ; implicit-def: $vgpr2
	s_and_saveexec_b64 s[40:41], vcc
	s_xor_b64 s[38:39], exec, s[40:41]
	s_cbranch_execz .LBB2_9562
; %bb.9553:                             ;   in Loop: Header=BB2_8591 Depth=3
	v_mov_b32_e32 v2, 0
	v_cmp_ne_u32_e32 vcc, 0, v3
	s_and_saveexec_b64 s[48:49], vcc
	s_cbranch_execz .LBB2_9561
; %bb.9554:                             ;   in Loop: Header=BB2_8591 Depth=3
	v_bfe_u32 v11, v3, 23, 8
	v_cmp_gt_u32_e64 s[40:41], s46, v11
	v_sub_u32_e32 v2, 0x71, v11
	v_cmp_eq_u32_e32 vcc, 0, v11
	v_cndmask_b32_e64 v2, 0, v2, s[40:41]
	v_mov_b32_e32 v4, 0x70
	v_cndmask_b32_e32 v17, v2, v4, vcc
	v_add_u32_e32 v4, 21, v17
	v_or_b32_e32 v3, 0x800000, v28
	v_lshlrev_b64 v[30:31], v4, -1
	v_cndmask_b32_e32 v2, v3, v28, vcc
	v_mov_b32_e32 v3, v29
	v_add_u32_e32 v4, 20, v17
	v_bfi_b32 v30, v30, 0, v2
	v_lshlrev_b64 v[37:38], v4, 1
	v_lshrrev_b64 v[2:3], v17, v[2:3]
	v_bfi_b32 v31, v31, 0, 0
	v_cmp_eq_u64_e64 s[40:41], v[30:31], v[37:38]
	v_mov_b32_e32 v4, v3
	v_mov_b32_e32 v3, v2
	s_and_saveexec_b64 s[50:51], s[40:41]
; %bb.9555:                             ;   in Loop: Header=BB2_8591 Depth=3
	v_bfe_u32 v3, v2, 21, 1
	v_add_co_u32_e64 v3, s[40:41], v2, v3
	v_add_co_u32_e64 v3, s[40:41], -1, v3
; %bb.9556:                             ;   in Loop: Header=BB2_8591 Depth=3
	s_or_b64 exec, exec, s[50:51]
	v_add_u32_e32 v4, 0xffffff81, v11
	v_cndmask_b32_e32 v4, v4, v1, vcc
	v_lshrrev_b32_e32 v11, 23, v2
	v_add3_u32 v17, v17, v4, v11
	v_add_u32_e32 v11, 14, v17
	v_and_b32_e32 v3, 0x1fffff, v3
	v_add_u32_e32 v28, v3, v2
	v_cmp_ne_u32_e32 vcc, 0, v11
                                        ; implicit-def: $vgpr2_vgpr3
                                        ; implicit-def: $vgpr4
	s_and_saveexec_b64 s[40:41], vcc
	s_xor_b64 s[40:41], exec, s[40:41]
; %bb.9557:                             ;   in Loop: Header=BB2_8591 Depth=3
	v_cmp_lt_u64_e32 vcc, s[88:89], v[28:29]
	v_add_u32_e32 v2, 15, v17
	v_cndmask_b32_e32 v4, v11, v2, vcc
	v_cndmask_b32_e64 v2, 0, 1, vcc
	v_lshrrev_b64 v[2:3], v2, v[28:29]
; %bb.9558:                             ;   in Loop: Header=BB2_8591 Depth=3
	s_andn2_saveexec_b64 s[40:41], s[40:41]
; %bb.9559:                             ;   in Loop: Header=BB2_8591 Depth=3
	v_mov_b32_e32 v2, v28
	v_mov_b32_e32 v3, v29
	v_bfe_u32 v4, v28, 23, 1
; %bb.9560:                             ;   in Loop: Header=BB2_8591 Depth=3
	s_or_b64 exec, exec, s[40:41]
	v_lshrrev_b64 v[2:3], 21, v[2:3]
	v_cmp_gt_i32_e32 vcc, 32, v4
	v_cndmask_b32_e32 v3, 0, v3, vcc
	v_cndmask_b32_e32 v2, 3, v2, vcc
	v_cmp_eq_u64_e64 s[40:41], 0, v[2:3]
	v_min_i32_e32 v3, 31, v4
	v_lshlrev_b32_e32 v3, 2, v3
	v_cmp_eq_u32_e32 vcc, 0, v4
	v_and_b32_e32 v3, 0xfc, v3
	v_and_or_b32 v2, v2, 3, v3
	s_and_b64 s[40:41], vcc, s[40:41]
	v_cndmask_b32_e64 v2, v2, 0, s[40:41]
	v_or_b32_e32 v2, v2, v10
.LBB2_9561:                             ;   in Loop: Header=BB2_8591 Depth=3
	s_or_b64 exec, exec, s[48:49]
                                        ; implicit-def: $vgpr10
.LBB2_9562:                             ;   in Loop: Header=BB2_8591 Depth=3
	s_andn2_saveexec_b64 s[40:41], s[38:39]
; %bb.9563:                             ;   in Loop: Header=BB2_8591 Depth=3
	v_or_b32_e32 v2, 0x7b, v10
; %bb.9564:                             ;   in Loop: Header=BB2_8591 Depth=3
	s_or_b64 exec, exec, s[40:41]
                                        ; implicit-def: $vgpr3
.LBB2_9565:                             ;   in Loop: Header=BB2_8591 Depth=3
	s_andn2_saveexec_b64 s[40:41], s[42:43]
	s_cbranch_execz .LBB2_8590
; %bb.9566:                             ;   in Loop: Header=BB2_8591 Depth=3
	v_cmp_ne_u64_e32 vcc, 0, v[28:29]
                                        ; implicit-def: $vgpr2
	s_and_saveexec_b64 s[42:43], vcc
	s_xor_b64 s[42:43], exec, s[42:43]
; %bb.9567:                             ;   in Loop: Header=BB2_8591 Depth=3
	v_or_b32_sdwa v2, v3, s47 dst_sel:DWORD dst_unused:UNUSED_PAD src0_sel:BYTE_3 src1_sel:DWORD
                                        ; implicit-def: $vgpr3
; %bb.9568:                             ;   in Loop: Header=BB2_8591 Depth=3
	s_andn2_saveexec_b64 s[42:43], s[42:43]
	s_cbranch_execz .LBB2_8589
; %bb.9569:                             ;   in Loop: Header=BB2_8591 Depth=3
	v_cmp_lt_i32_e32 vcc, -1, v3
	v_cndmask_b32_e32 v2, v6, v22, vcc
	s_branch .LBB2_8589
.LBB2_9570:                             ;   in Loop: Header=BB2_8591 Depth=3
	s_or_saveexec_b64 s[42:43], s[42:43]
	v_bfrev_b32_e32 v3, 1
	s_xor_b64 exec, exec, s[42:43]
	s_cbranch_execz .LBB2_9059
.LBB2_9571:                             ;   in Loop: Header=BB2_8591 Depth=3
	v_cmp_ne_u16_sdwa vcc, v8, v29 src0_sel:BYTE_0 src1_sel:DWORD
	s_andn2_b64 s[40:41], s[40:41], exec
	s_and_b64 vcc, vcc, exec
	v_mov_b32_e32 v3, 0
	s_or_b64 s[40:41], s[40:41], vcc
	s_or_b64 exec, exec, s[42:43]
	s_and_saveexec_b64 s[38:39], s[40:41]
	s_cbranch_execnz .LBB2_9060
	s_branch .LBB2_9061
.LBB2_9572:                             ;   in Loop: Header=BB2_8591 Depth=3
	s_or_saveexec_b64 s[42:43], s[42:43]
	v_bfrev_b32_e32 v3, 1
	s_xor_b64 exec, exec, s[42:43]
	s_cbranch_execz .LBB2_9093
.LBB2_9573:                             ;   in Loop: Header=BB2_8591 Depth=3
	v_cmp_ne_u16_e32 vcc, 0, v2
	s_andn2_b64 s[40:41], s[40:41], exec
	s_and_b64 vcc, vcc, exec
	v_mov_b32_e32 v3, 0
	s_or_b64 s[40:41], s[40:41], vcc
	s_or_b64 exec, exec, s[42:43]
	s_and_saveexec_b64 s[38:39], s[40:41]
	s_cbranch_execnz .LBB2_9094
	s_branch .LBB2_9095
.LBB2_9574:                             ;   in Loop: Header=BB2_8591 Depth=3
	s_or_saveexec_b64 s[42:43], s[42:43]
	v_bfrev_b32_e32 v4, 1
	s_xor_b64 exec, exec, s[42:43]
	s_cbranch_execz .LBB2_9127
.LBB2_9575:                             ;   in Loop: Header=BB2_8591 Depth=3
	v_cmp_ne_u16_sdwa vcc, v2, v29 src0_sel:BYTE_0 src1_sel:DWORD
	s_andn2_b64 s[40:41], s[40:41], exec
	s_and_b64 vcc, vcc, exec
	v_mov_b32_e32 v4, 0
	s_or_b64 s[40:41], s[40:41], vcc
	s_or_b64 exec, exec, s[42:43]
	s_and_saveexec_b64 s[38:39], s[40:41]
	s_cbranch_execnz .LBB2_9128
	s_branch .LBB2_9129
.LBB2_9576:                             ;   in Loop: Header=BB2_8591 Depth=3
	s_or_saveexec_b64 s[42:43], s[42:43]
	v_bfrev_b32_e32 v3, 1
	s_xor_b64 exec, exec, s[42:43]
	s_cbranch_execz .LBB2_9225
.LBB2_9577:                             ;   in Loop: Header=BB2_8591 Depth=3
	v_cmp_ne_u16_e32 vcc, 0, v2
	s_andn2_b64 s[40:41], s[40:41], exec
	s_and_b64 vcc, vcc, exec
	v_mov_b32_e32 v3, 0
	s_or_b64 s[40:41], s[40:41], vcc
	s_or_b64 exec, exec, s[42:43]
	s_and_saveexec_b64 s[38:39], s[40:41]
	s_cbranch_execnz .LBB2_9226
	s_branch .LBB2_9227
.LBB2_9578:                             ;   in Loop: Header=BB2_8591 Depth=3
	s_or_saveexec_b64 s[42:43], s[42:43]
	v_bfrev_b32_e32 v4, 1
	s_xor_b64 exec, exec, s[42:43]
	s_cbranch_execz .LBB2_9259
.LBB2_9579:                             ;   in Loop: Header=BB2_8591 Depth=3
	v_cmp_ne_u16_sdwa vcc, v2, v29 src0_sel:BYTE_0 src1_sel:DWORD
	s_andn2_b64 s[40:41], s[40:41], exec
	s_and_b64 vcc, vcc, exec
	v_mov_b32_e32 v4, 0
	s_or_b64 s[40:41], s[40:41], vcc
	s_or_b64 exec, exec, s[42:43]
	s_and_saveexec_b64 s[38:39], s[40:41]
	s_cbranch_execnz .LBB2_9260
	s_branch .LBB2_9261
.LBB2_9580:                             ;   in Loop: Header=BB2_8591 Depth=3
	s_or_saveexec_b64 s[42:43], s[42:43]
	v_bfrev_b32_e32 v3, 1
	s_xor_b64 exec, exec, s[42:43]
	s_cbranch_execz .LBB2_9321
.LBB2_9581:                             ;   in Loop: Header=BB2_8591 Depth=3
	v_cmp_ne_u16_sdwa vcc, v10, v29 src0_sel:BYTE_0 src1_sel:DWORD
	s_andn2_b64 s[40:41], s[40:41], exec
	s_and_b64 vcc, vcc, exec
	v_mov_b32_e32 v3, 0
	s_or_b64 s[40:41], s[40:41], vcc
	s_or_b64 exec, exec, s[42:43]
	s_and_saveexec_b64 s[38:39], s[40:41]
	s_cbranch_execnz .LBB2_9322
	s_branch .LBB2_9323
.LBB2_9582:                             ;   in Loop: Header=BB2_8591 Depth=3
	s_or_saveexec_b64 s[42:43], s[42:43]
	v_bfrev_b32_e32 v3, 1
	s_xor_b64 exec, exec, s[42:43]
	s_cbranch_execz .LBB2_9355
.LBB2_9583:                             ;   in Loop: Header=BB2_8591 Depth=3
	v_cmp_ne_u16_e32 vcc, 0, v2
	s_andn2_b64 s[40:41], s[40:41], exec
	s_and_b64 vcc, vcc, exec
	v_mov_b32_e32 v3, 0
	s_or_b64 s[40:41], s[40:41], vcc
	s_or_b64 exec, exec, s[42:43]
	s_and_saveexec_b64 s[38:39], s[40:41]
	s_cbranch_execnz .LBB2_9356
	s_branch .LBB2_9357
.LBB2_9584:                             ;   in Loop: Header=BB2_8591 Depth=3
	s_or_saveexec_b64 s[42:43], s[42:43]
	v_bfrev_b32_e32 v4, 1
	s_xor_b64 exec, exec, s[42:43]
	s_cbranch_execz .LBB2_9389
.LBB2_9585:                             ;   in Loop: Header=BB2_8591 Depth=3
	v_cmp_ne_u16_sdwa vcc, v2, v29 src0_sel:BYTE_0 src1_sel:DWORD
	s_andn2_b64 s[40:41], s[40:41], exec
	s_and_b64 vcc, vcc, exec
	v_mov_b32_e32 v4, 0
	s_or_b64 s[40:41], s[40:41], vcc
	s_or_b64 exec, exec, s[42:43]
	s_and_saveexec_b64 s[38:39], s[40:41]
	s_cbranch_execnz .LBB2_9390
	s_branch .LBB2_9391
.LBB2_9586:                             ;   in Loop: Header=BB2_8591 Depth=3
	s_or_saveexec_b64 s[42:43], s[42:43]
	v_bfrev_b32_e32 v3, 1
	s_xor_b64 exec, exec, s[42:43]
	s_cbranch_execz .LBB2_9487
.LBB2_9587:                             ;   in Loop: Header=BB2_8591 Depth=3
	v_cmp_ne_u16_e32 vcc, 0, v2
	s_andn2_b64 s[40:41], s[40:41], exec
	s_and_b64 vcc, vcc, exec
	v_mov_b32_e32 v3, 0
	s_or_b64 s[40:41], s[40:41], vcc
	s_or_b64 exec, exec, s[42:43]
	s_and_saveexec_b64 s[38:39], s[40:41]
	s_cbranch_execnz .LBB2_9488
	s_branch .LBB2_9489
.LBB2_9588:                             ;   in Loop: Header=BB2_8591 Depth=3
	s_or_saveexec_b64 s[42:43], s[42:43]
	v_bfrev_b32_e32 v4, 1
	s_xor_b64 exec, exec, s[42:43]
	s_cbranch_execz .LBB2_9521
.LBB2_9589:                             ;   in Loop: Header=BB2_8591 Depth=3
	v_cmp_ne_u16_sdwa vcc, v2, v29 src0_sel:BYTE_0 src1_sel:DWORD
	s_andn2_b64 s[40:41], s[40:41], exec
	s_and_b64 vcc, vcc, exec
	v_mov_b32_e32 v4, 0
	s_or_b64 s[40:41], s[40:41], vcc
	s_or_b64 exec, exec, s[42:43]
	s_and_saveexec_b64 s[38:39], s[40:41]
	s_cbranch_execnz .LBB2_9522
	s_branch .LBB2_9523
.LBB2_9590:                             ;   in Loop: Header=BB2_4813 Depth=2
	s_or_b64 exec, exec, s[36:37]
	buffer_load_dword v41, off, s[0:3], s33 offset:188 ; 4-byte Folded Reload
	buffer_load_dword v42, off, s[0:3], s33 offset:192 ; 4-byte Folded Reload
	;; [unrolled: 1-line block ×9, first 2 shown]
.LBB2_9591:                             ;   in Loop: Header=BB2_4813 Depth=2
	s_or_b64 exec, exec, s[34:35]
	s_waitcnt vmcnt(0)
	v_and_b32_e32 v2, 15, v8
	v_cmp_lt_i32_e32 vcc, 0, v32
	v_sub_u32_e32 v3, v14, v2
	v_cndmask_b32_e64 v37, v14, v2, s[28:29]
	v_cndmask_b32_e32 v2, 0, v36, vcc
	v_cndmask_b32_e64 v3, 0, v3, s[28:29]
	v_sub_u32_e32 v2, v2, v32
	v_cmp_ne_u32_e32 vcc, 0, v37
	v_add3_u32 v47, v11, v9, v3
	v_lshl_add_u32 v56, v2, 6, v10
	s_and_b64 s[42:43], vcc, exec
.LBB2_9592:                             ;   in Loop: Header=BB2_4813 Depth=2
	s_or_b64 exec, exec, s[30:31]
	s_and_saveexec_b64 s[40:41], s[42:43]
	s_cbranch_execz .LBB2_10261
.LBB2_9593:                             ;   in Loop: Header=BB2_4813 Depth=2
	s_waitcnt vmcnt(0)
	v_ashrrev_i32_e32 v2, 31, v56
	v_ashrrev_i32_e32 v3, 31, v37
	v_lshrrev_b32_e32 v2, 26, v2
	v_lshrrev_b32_e32 v3, 23, v3
	v_add_u32_e32 v2, v56, v2
	v_add_u32_e32 v3, v37, v3
	v_ashrrev_i32_e32 v57, 6, v2
	v_ashrrev_i32_e32 v58, 9, v3
	v_sub_u32_e32 v23, v58, v57
	v_cmp_lt_i32_e32 vcc, 0, v23
	s_and_saveexec_b64 s[42:43], vcc
	s_cbranch_execz .LBB2_10179
; %bb.9594:                             ;   in Loop: Header=BB2_4813 Depth=2
	v_and_b32_e32 v2, 0xffffffc0, v2
	v_sub_u32_e32 v2, v56, v2
	v_lshlrev_b32_e32 v3, 9, v57
	v_add3_u32 v4, v47, v2, v3
	s_trap 2
	ds_read_b64 v[2:3], v0
	v_ashrrev_i32_e32 v5, 31, v4
	v_add_co_u32_e32 v8, vcc, v4, v43
	v_addc_co_u32_e32 v9, vcc, v5, v44, vcc
	s_waitcnt lgkmcnt(0)
	v_add_co_u32_e32 v10, vcc, v2, v4
	v_addc_co_u32_e32 v11, vcc, v3, v5, vcc
	v_add_co_u32_e32 v2, vcc, 0x1c0, v41
	v_addc_co_u32_e32 v3, vcc, 0, v42, vcc
	;; [unrolled: 2-line block ×3, first 2 shown]
	s_mov_b64 s[30:31], 0
	s_branch .LBB2_9597
.LBB2_9595:                             ;   in Loop: Header=BB2_9597 Depth=3
	s_or_b64 exec, exec, s[34:35]
.LBB2_9596:                             ;   in Loop: Header=BB2_9597 Depth=3
	s_or_b64 exec, exec, s[28:29]
	v_add_co_u32_e32 v30, vcc, 0xfffffe40, v51
	v_addc_co_u32_e32 v31, vcc, -1, v52, vcc
	v_add_co_u32_e32 v17, vcc, 0xfffffe80, v51
	flat_store_byte v[30:31], v18 glc slc
	v_addc_co_u32_e32 v18, vcc, -1, v52, vcc
	v_add_co_u32_e32 v4, vcc, 0xfffffec0, v51
	flat_store_byte v[17:18], v5 glc slc
	v_addc_co_u32_e32 v5, vcc, -1, v52, vcc
	flat_store_byte v[4:5], v33 glc slc
	v_add_co_u32_e32 v4, vcc, 0xffffff00, v51
	v_addc_co_u32_e32 v5, vcc, -1, v52, vcc
	flat_store_byte v[4:5], v32 glc slc
	v_add_co_u32_e32 v4, vcc, 0xffffff40, v51
	;; [unrolled: 3-line block ×4, first 2 shown]
	v_addc_co_u32_e32 v5, vcc, -1, v52, vcc
	flat_store_byte v[4:5], v16 glc slc
	flat_store_byte v[51:52], v3 glc slc
	buffer_load_dword v2, off, s[0:3], s33 offset:60 ; 4-byte Folded Reload
	v_sub_u32_e32 v23, v23, v36
	s_waitcnt vmcnt(0)
	v_add_co_u32_e32 v8, vcc, v8, v2
	v_addc_co_u32_e32 v9, vcc, 0, v9, vcc
	v_add_co_u32_e32 v10, vcc, v10, v2
	v_addc_co_u32_e32 v11, vcc, 0, v11, vcc
	v_cmp_gt_i32_e32 vcc, 1, v23
	s_or_b64 s[30:31], vcc, s[30:31]
	v_add_co_u32_e32 v51, vcc, v51, v2
	v_addc_co_u32_e32 v52, vcc, 0, v52, vcc
	s_andn2_b64 exec, exec, s[30:31]
	s_cbranch_execz .LBB2_10178
.LBB2_9597:                             ;   Parent Loop BB2_47 Depth=1
                                        ;     Parent Loop BB2_4813 Depth=2
                                        ; =>    This Inner Loop Header: Depth=3
	s_trap 2
	ds_read_b64 v[2:3], v0
	v_mov_b32_e32 v5, 0
	s_waitcnt lgkmcnt(0)
	v_cmp_eq_u32_sdwa vcc, v2, v29 src0_sel:BYTE_0 src1_sel:DWORD
	v_readfirstlane_b32 s28, v2
	v_readfirstlane_b32 s29, v3
	v_mov_b32_e32 v3, 0
	s_and_b64 vcc, exec, vcc
	s_cbranch_vccnz .LBB2_9603
; %bb.9598:                             ;   in Loop: Header=BB2_9597 Depth=3
	s_bfe_i32 s35, s28, 0x80000
	s_and_b32 vcc_lo, 0xffff, s35
	s_cmpk_eq_u32 vcc_lo, 0xff80
	v_bfrev_b32_e32 v5, 1
	s_cbranch_scc1 .LBB2_9603
; %bb.9599:                             ;   in Loop: Header=BB2_9597 Depth=3
	s_and_b32 s34, s28, 3
	s_and_b32 s36, s28, 0x7c
	s_mov_b64 vcc, -1
	s_cmpk_lg_i32 s36, 0x7c
	s_sext_i32_i16 s35, s35
                                        ; implicit-def: $sgpr36
	s_cbranch_scc0 .LBB2_9601
; %bb.9600:                             ;   in Loop: Header=BB2_9597 Depth=3
	s_flbit_i32_b32 vcc_hi, s34
	s_min_u32 vcc_hi, vcc_hi, 32
	s_sub_i32 s36, vcc_hi, 29
	s_bfe_u32 vcc_lo, s28, 0x50002
	s_lshl_b64 s[28:29], s[28:29], s36
	s_sub_i32 s29, 30, vcc_hi
	s_and_b32 s28, s28, 3
	s_cmp_eq_u32 vcc_lo, 0
	s_cselect_b32 s29, s29, vcc_lo
	s_cselect_b32 s28, s28, s34
	s_and_b32 vcc_lo, s35, 0x80000000
	s_lshl_b32 s29, s29, 23
	s_add_i32 s29, s29, vcc_lo
	s_lshl_b32 s28, s28, 21
	s_or_b32 s28, s29, s28
	s_add_i32 s36, s28, 0x38000000
	s_mov_b64 vcc, 0
.LBB2_9601:                             ;   in Loop: Header=BB2_9597 Depth=3
	s_andn2_b64 vcc, exec, vcc
	v_mov_b32_e32 v5, s36
	s_cbranch_vccnz .LBB2_9603
; %bb.9602:                             ;   in Loop: Header=BB2_9597 Depth=3
	s_cmp_eq_u32 s34, 0
	s_cselect_b64 vcc, -1, 0
	s_cmp_gt_i32 s35, -1
	s_cselect_b64 s[28:29], -1, 0
	v_cndmask_b32_e64 v2, v7, v0, s[28:29]
	v_cndmask_b32_e32 v5, v35, v2, vcc
.LBB2_9603:                             ;   in Loop: Header=BB2_9597 Depth=3
	flat_load_sbyte v2, v[8:9] glc slc
	s_waitcnt vmcnt(0) lgkmcnt(0)
	v_cmp_ne_u16_e32 vcc, 0, v2
	s_and_saveexec_b64 s[28:29], vcc
	s_cbranch_execz .LBB2_9611
; %bb.9604:                             ;   in Loop: Header=BB2_9597 Depth=3
	v_cmp_ne_u16_e32 vcc, s97, v2
	v_bfrev_b32_e32 v3, 1
	s_and_saveexec_b64 s[34:35], vcc
	s_cbranch_execz .LBB2_9610
; %bb.9605:                             ;   in Loop: Header=BB2_9597 Depth=3
	v_and_b32_e32 v3, 0x7c, v2
	v_and_b32_e32 v4, 3, v2
	v_cmp_ne_u32_e32 vcc, s85, v3
                                        ; implicit-def: $vgpr3
	s_and_saveexec_b64 s[36:37], vcc
	s_xor_b64 s[36:37], exec, s[36:37]
	s_cbranch_execz .LBB2_9607
; %bb.9606:                             ;   in Loop: Header=BB2_9597 Depth=3
	v_and_b32_e32 v14, 0xff, v2
	v_bfe_u32 v16, v14, 2, 5
	v_ffbh_u32_e32 v14, v4
	v_min_u32_e32 v17, 32, v14
	v_mov_b32_e32 v3, v29
	v_subrev_u32_e32 v14, 29, v17
	v_lshlrev_b64 v[14:15], v14, v[2:3]
	v_sub_u32_e32 v3, 30, v17
	v_cmp_eq_u32_e32 vcc, 0, v16
	v_and_b32_e32 v14, 3, v14
	v_cndmask_b32_e32 v3, v16, v3, vcc
	v_and_b32_sdwa v2, sext(v2), s86 dst_sel:DWORD dst_unused:UNUSED_PAD src0_sel:WORD_0 src1_sel:DWORD
	v_cndmask_b32_e32 v4, v4, v14, vcc
	v_lshl_add_u32 v2, v3, 23, v2
	v_lshl_or_b32 v2, v4, 21, v2
	v_add_u32_e32 v3, 0x38000000, v2
                                        ; implicit-def: $vgpr4
                                        ; implicit-def: $vgpr2
.LBB2_9607:                             ;   in Loop: Header=BB2_9597 Depth=3
	s_andn2_saveexec_b64 s[36:37], s[36:37]
; %bb.9608:                             ;   in Loop: Header=BB2_9597 Depth=3
	v_cmp_lt_i16_e32 vcc, -1, v2
	v_cndmask_b32_e32 v2, v7, v0, vcc
	v_cmp_eq_u32_e32 vcc, 0, v4
	v_cndmask_b32_e32 v3, v35, v2, vcc
; %bb.9609:                             ;   in Loop: Header=BB2_9597 Depth=3
	s_or_b64 exec, exec, s[36:37]
.LBB2_9610:                             ;   in Loop: Header=BB2_9597 Depth=3
	s_or_b64 exec, exec, s[34:35]
.LBB2_9611:                             ;   in Loop: Header=BB2_9597 Depth=3
	s_or_b64 exec, exec, s[28:29]
	v_mul_f32_e32 v2, v5, v3
	v_and_b32_e32 v3, 0x7f800000, v2
	v_mov_b32_e32 v4, v29
	v_cmp_ne_u64_e32 vcc, s[76:77], v[3:4]
	v_and_b32_e32 v28, 0x7fffff, v2
                                        ; implicit-def: $vgpr17
	s_and_saveexec_b64 s[28:29], vcc
	s_xor_b64 s[34:35], exec, s[28:29]
	s_cbranch_execz .LBB2_9629
; %bb.9612:                             ;   in Loop: Header=BB2_9597 Depth=3
	v_and_b32_e32 v3, 0x7fffffff, v2
	v_mov_b32_e32 v4, v29
	v_cmp_gt_u64_e32 vcc, s[78:79], v[3:4]
	v_and_b32_sdwa v14, v2, s96 dst_sel:DWORD dst_unused:UNUSED_PAD src0_sel:BYTE_3 src1_sel:DWORD
                                        ; implicit-def: $vgpr17
	s_and_saveexec_b64 s[28:29], vcc
	s_xor_b64 s[36:37], exec, s[28:29]
	s_cbranch_execz .LBB2_9626
; %bb.9613:                             ;   in Loop: Header=BB2_9597 Depth=3
	v_cmp_ne_u32_e32 vcc, 0, v2
	v_mov_b32_e32 v17, 0
	s_and_saveexec_b64 s[38:39], vcc
	s_cbranch_execz .LBB2_9625
; %bb.9614:                             ;   in Loop: Header=BB2_9597 Depth=3
	v_bfe_u32 v15, v2, 23, 8
	v_cmp_gt_u32_e64 s[28:29], s46, v15
	v_sub_u32_e32 v2, 0x71, v15
	v_cmp_eq_u32_e32 vcc, 0, v15
	v_cndmask_b32_e64 v2, 0, v2, s[28:29]
	v_mov_b32_e32 v4, 0x70
	v_cndmask_b32_e32 v16, v2, v4, vcc
	v_add_u32_e32 v4, 21, v16
	v_or_b32_e32 v3, 0x800000, v28
	v_lshlrev_b64 v[17:18], v4, -1
	v_cndmask_b32_e32 v2, v3, v28, vcc
	v_mov_b32_e32 v3, v29
	v_add_u32_e32 v4, 20, v16
	v_bfi_b32 v17, v17, 0, v2
	v_lshlrev_b64 v[30:31], v4, 1
	v_lshrrev_b64 v[2:3], v16, v[2:3]
	v_bfi_b32 v18, v18, 0, 0
	v_cmp_eq_u64_e64 s[28:29], v[17:18], v[30:31]
	v_mov_b32_e32 v4, v3
	v_mov_b32_e32 v3, v2
	s_and_saveexec_b64 s[48:49], s[28:29]
; %bb.9615:                             ;   in Loop: Header=BB2_9597 Depth=3
	v_bfe_u32 v3, v2, 21, 1
	v_add_co_u32_e64 v3, s[28:29], v2, v3
	v_add_co_u32_e64 v3, s[28:29], -1, v3
; %bb.9616:                             ;   in Loop: Header=BB2_9597 Depth=3
	s_or_b64 exec, exec, s[48:49]
	v_add_u32_e32 v4, 0xffffff81, v15
	v_cndmask_b32_e32 v4, v4, v1, vcc
	v_lshrrev_b32_e32 v15, 23, v2
	v_add3_u32 v16, v16, v4, v15
	v_add_u32_e32 v15, 14, v16
	v_and_b32_e32 v3, 0x1fffff, v3
	v_add_u32_e32 v28, v3, v2
	v_cmp_ne_u32_e32 vcc, 0, v15
                                        ; implicit-def: $vgpr2_vgpr3
                                        ; implicit-def: $vgpr4
	s_and_saveexec_b64 s[28:29], vcc
	s_xor_b64 s[28:29], exec, s[28:29]
; %bb.9617:                             ;   in Loop: Header=BB2_9597 Depth=3
	v_cmp_lt_u64_e32 vcc, s[88:89], v[28:29]
	v_add_u32_e32 v2, 15, v16
	v_cndmask_b32_e32 v4, v15, v2, vcc
	v_cndmask_b32_e64 v2, 0, 1, vcc
	v_lshrrev_b64 v[2:3], v2, v[28:29]
; %bb.9618:                             ;   in Loop: Header=BB2_9597 Depth=3
	s_andn2_saveexec_b64 s[28:29], s[28:29]
; %bb.9619:                             ;   in Loop: Header=BB2_9597 Depth=3
	v_mov_b32_e32 v2, v28
	v_mov_b32_e32 v3, v29
	v_bfe_u32 v4, v28, 23, 1
; %bb.9620:                             ;   in Loop: Header=BB2_9597 Depth=3
	s_or_b64 exec, exec, s[28:29]
	v_lshrrev_b64 v[2:3], 21, v[2:3]
	v_cmp_gt_i32_e32 vcc, 32, v4
	v_cndmask_b32_e32 v3, 0, v3, vcc
	v_cndmask_b32_e32 v2, 3, v2, vcc
	v_cmp_ne_u64_e32 vcc, 0, v[2:3]
	v_cmp_ne_u32_e64 s[28:29], 0, v4
	s_or_b64 s[28:29], s[28:29], vcc
                                        ; implicit-def: $vgpr17
	s_and_saveexec_b64 vcc, s[28:29]
	s_xor_b64 s[28:29], exec, vcc
; %bb.9621:                             ;   in Loop: Header=BB2_9597 Depth=3
	v_min_i32_e32 v3, 31, v4
	v_lshl_or_b32 v3, v3, 2, v14
	v_and_or_b32 v17, v2, 3, v3
                                        ; implicit-def: $vgpr14
; %bb.9622:                             ;   in Loop: Header=BB2_9597 Depth=3
	s_andn2_saveexec_b64 s[28:29], s[28:29]
; %bb.9623:                             ;   in Loop: Header=BB2_9597 Depth=3
	v_mov_b32_e32 v17, v14
; %bb.9624:                             ;   in Loop: Header=BB2_9597 Depth=3
	s_or_b64 exec, exec, s[28:29]
.LBB2_9625:                             ;   in Loop: Header=BB2_9597 Depth=3
	s_or_b64 exec, exec, s[38:39]
                                        ; implicit-def: $vgpr14
.LBB2_9626:                             ;   in Loop: Header=BB2_9597 Depth=3
	s_andn2_saveexec_b64 s[28:29], s[36:37]
; %bb.9627:                             ;   in Loop: Header=BB2_9597 Depth=3
	v_or_b32_e32 v17, 0x7b, v14
; %bb.9628:                             ;   in Loop: Header=BB2_9597 Depth=3
	s_or_b64 exec, exec, s[28:29]
                                        ; implicit-def: $vgpr2
.LBB2_9629:                             ;   in Loop: Header=BB2_9597 Depth=3
	s_andn2_saveexec_b64 s[28:29], s[34:35]
	s_cbranch_execz .LBB2_9635
; %bb.9630:                             ;   in Loop: Header=BB2_9597 Depth=3
	v_cmp_ne_u64_e32 vcc, 0, v[28:29]
                                        ; implicit-def: $vgpr17
	s_and_saveexec_b64 s[34:35], vcc
	s_xor_b64 vcc, exec, s[34:35]
; %bb.9631:                             ;   in Loop: Header=BB2_9597 Depth=3
	v_or_b32_sdwa v17, v2, s47 dst_sel:DWORD dst_unused:UNUSED_PAD src0_sel:BYTE_3 src1_sel:DWORD
                                        ; implicit-def: $vgpr2
; %bb.9632:                             ;   in Loop: Header=BB2_9597 Depth=3
	s_andn2_saveexec_b64 s[34:35], vcc
; %bb.9633:                             ;   in Loop: Header=BB2_9597 Depth=3
	v_cmp_lt_i32_e32 vcc, -1, v2
	v_cndmask_b32_e32 v17, -4, v22, vcc
; %bb.9634:                             ;   in Loop: Header=BB2_9597 Depth=3
	s_or_b64 exec, exec, s[34:35]
.LBB2_9635:                             ;   in Loop: Header=BB2_9597 Depth=3
	s_or_b64 exec, exec, s[28:29]
	flat_load_sbyte v2, v[8:9] offset:64 glc slc
	v_mov_b32_e32 v3, 0
	s_waitcnt vmcnt(0) lgkmcnt(0)
	v_cmp_ne_u16_e32 vcc, 0, v2
	s_and_saveexec_b64 s[28:29], vcc
	s_cbranch_execz .LBB2_9643
; %bb.9636:                             ;   in Loop: Header=BB2_9597 Depth=3
	v_cmp_ne_u16_e32 vcc, s97, v2
	v_bfrev_b32_e32 v3, 1
	s_and_saveexec_b64 s[34:35], vcc
	s_cbranch_execz .LBB2_9642
; %bb.9637:                             ;   in Loop: Header=BB2_9597 Depth=3
	v_and_b32_e32 v3, 0x7c, v2
	v_and_b32_e32 v4, 3, v2
	v_cmp_ne_u32_e32 vcc, s85, v3
                                        ; implicit-def: $vgpr3
	s_and_saveexec_b64 s[36:37], vcc
	s_xor_b64 s[36:37], exec, s[36:37]
	s_cbranch_execz .LBB2_9639
; %bb.9638:                             ;   in Loop: Header=BB2_9597 Depth=3
	v_and_b32_e32 v14, 0xff, v2
	v_bfe_u32 v16, v14, 2, 5
	v_ffbh_u32_e32 v14, v4
	v_min_u32_e32 v18, 32, v14
	v_mov_b32_e32 v3, v29
	v_subrev_u32_e32 v14, 29, v18
	v_lshlrev_b64 v[14:15], v14, v[2:3]
	v_sub_u32_e32 v3, 30, v18
	v_cmp_eq_u32_e32 vcc, 0, v16
	v_and_b32_e32 v14, 3, v14
	v_cndmask_b32_e32 v3, v16, v3, vcc
	v_and_b32_sdwa v2, sext(v2), s86 dst_sel:DWORD dst_unused:UNUSED_PAD src0_sel:WORD_0 src1_sel:DWORD
	v_cndmask_b32_e32 v4, v4, v14, vcc
	v_lshl_add_u32 v2, v3, 23, v2
	v_lshl_or_b32 v2, v4, 21, v2
	v_add_u32_e32 v3, 0x38000000, v2
                                        ; implicit-def: $vgpr4
                                        ; implicit-def: $vgpr2
.LBB2_9639:                             ;   in Loop: Header=BB2_9597 Depth=3
	s_andn2_saveexec_b64 s[36:37], s[36:37]
; %bb.9640:                             ;   in Loop: Header=BB2_9597 Depth=3
	v_cmp_lt_i16_e32 vcc, -1, v2
	v_cndmask_b32_e32 v2, v7, v0, vcc
	v_cmp_eq_u32_e32 vcc, 0, v4
	v_cndmask_b32_e32 v3, v35, v2, vcc
; %bb.9641:                             ;   in Loop: Header=BB2_9597 Depth=3
	s_or_b64 exec, exec, s[36:37]
.LBB2_9642:                             ;   in Loop: Header=BB2_9597 Depth=3
	s_or_b64 exec, exec, s[34:35]
.LBB2_9643:                             ;   in Loop: Header=BB2_9597 Depth=3
	s_or_b64 exec, exec, s[28:29]
	v_mul_f32_e32 v2, v5, v3
	v_and_b32_e32 v3, 0x7f800000, v2
	v_mov_b32_e32 v4, v29
	v_cmp_ne_u64_e32 vcc, s[76:77], v[3:4]
	v_and_b32_e32 v28, 0x7fffff, v2
                                        ; implicit-def: $vgpr45
	s_and_saveexec_b64 s[28:29], vcc
	s_xor_b64 s[34:35], exec, s[28:29]
	s_cbranch_execz .LBB2_9661
; %bb.9644:                             ;   in Loop: Header=BB2_9597 Depth=3
	v_and_b32_e32 v3, 0x7fffffff, v2
	v_mov_b32_e32 v4, v29
	v_cmp_gt_u64_e32 vcc, s[78:79], v[3:4]
	v_and_b32_sdwa v14, v2, s96 dst_sel:DWORD dst_unused:UNUSED_PAD src0_sel:BYTE_3 src1_sel:DWORD
                                        ; implicit-def: $vgpr45
	s_and_saveexec_b64 s[28:29], vcc
	s_xor_b64 s[36:37], exec, s[28:29]
	s_cbranch_execz .LBB2_9658
; %bb.9645:                             ;   in Loop: Header=BB2_9597 Depth=3
	v_cmp_ne_u32_e32 vcc, 0, v2
	v_mov_b32_e32 v45, 0
	s_and_saveexec_b64 s[38:39], vcc
	s_cbranch_execz .LBB2_9657
; %bb.9646:                             ;   in Loop: Header=BB2_9597 Depth=3
	v_bfe_u32 v15, v2, 23, 8
	v_cmp_gt_u32_e64 s[28:29], s46, v15
	v_sub_u32_e32 v2, 0x71, v15
	v_cmp_eq_u32_e32 vcc, 0, v15
	v_cndmask_b32_e64 v2, 0, v2, s[28:29]
	v_mov_b32_e32 v4, 0x70
	v_cndmask_b32_e32 v16, v2, v4, vcc
	v_add_u32_e32 v4, 21, v16
	v_or_b32_e32 v3, 0x800000, v28
	v_lshlrev_b64 v[30:31], v4, -1
	v_cndmask_b32_e32 v2, v3, v28, vcc
	v_mov_b32_e32 v3, v29
	v_add_u32_e32 v4, 20, v16
	v_bfi_b32 v30, v30, 0, v2
	v_lshlrev_b64 v[32:33], v4, 1
	v_lshrrev_b64 v[2:3], v16, v[2:3]
	v_bfi_b32 v31, v31, 0, 0
	v_cmp_eq_u64_e64 s[28:29], v[30:31], v[32:33]
	v_mov_b32_e32 v4, v3
	v_mov_b32_e32 v3, v2
	s_and_saveexec_b64 s[48:49], s[28:29]
; %bb.9647:                             ;   in Loop: Header=BB2_9597 Depth=3
	v_bfe_u32 v3, v2, 21, 1
	v_add_co_u32_e64 v3, s[28:29], v2, v3
	v_add_co_u32_e64 v3, s[28:29], -1, v3
; %bb.9648:                             ;   in Loop: Header=BB2_9597 Depth=3
	s_or_b64 exec, exec, s[48:49]
	v_add_u32_e32 v4, 0xffffff81, v15
	v_cndmask_b32_e32 v4, v4, v1, vcc
	v_lshrrev_b32_e32 v15, 23, v2
	v_add3_u32 v16, v16, v4, v15
	v_add_u32_e32 v15, 14, v16
	v_and_b32_e32 v3, 0x1fffff, v3
	v_add_u32_e32 v28, v3, v2
	v_cmp_ne_u32_e32 vcc, 0, v15
                                        ; implicit-def: $vgpr2_vgpr3
                                        ; implicit-def: $vgpr4
	s_and_saveexec_b64 s[28:29], vcc
	s_xor_b64 s[28:29], exec, s[28:29]
; %bb.9649:                             ;   in Loop: Header=BB2_9597 Depth=3
	v_cmp_lt_u64_e32 vcc, s[88:89], v[28:29]
	v_add_u32_e32 v2, 15, v16
	v_cndmask_b32_e32 v4, v15, v2, vcc
	v_cndmask_b32_e64 v2, 0, 1, vcc
	v_lshrrev_b64 v[2:3], v2, v[28:29]
; %bb.9650:                             ;   in Loop: Header=BB2_9597 Depth=3
	s_andn2_saveexec_b64 s[28:29], s[28:29]
; %bb.9651:                             ;   in Loop: Header=BB2_9597 Depth=3
	v_mov_b32_e32 v2, v28
	v_mov_b32_e32 v3, v29
	v_bfe_u32 v4, v28, 23, 1
; %bb.9652:                             ;   in Loop: Header=BB2_9597 Depth=3
	s_or_b64 exec, exec, s[28:29]
	v_lshrrev_b64 v[2:3], 21, v[2:3]
	v_cmp_gt_i32_e32 vcc, 32, v4
	v_cndmask_b32_e32 v3, 0, v3, vcc
	v_cndmask_b32_e32 v2, 3, v2, vcc
	v_cmp_ne_u64_e32 vcc, 0, v[2:3]
	v_cmp_ne_u32_e64 s[28:29], 0, v4
	s_or_b64 s[28:29], s[28:29], vcc
                                        ; implicit-def: $vgpr45
	s_and_saveexec_b64 vcc, s[28:29]
	s_xor_b64 s[28:29], exec, vcc
; %bb.9653:                             ;   in Loop: Header=BB2_9597 Depth=3
	v_min_i32_e32 v3, 31, v4
	v_lshl_or_b32 v3, v3, 2, v14
	v_and_or_b32 v45, v2, 3, v3
                                        ; implicit-def: $vgpr14
; %bb.9654:                             ;   in Loop: Header=BB2_9597 Depth=3
	s_andn2_saveexec_b64 s[28:29], s[28:29]
; %bb.9655:                             ;   in Loop: Header=BB2_9597 Depth=3
	v_mov_b32_e32 v45, v14
; %bb.9656:                             ;   in Loop: Header=BB2_9597 Depth=3
	s_or_b64 exec, exec, s[28:29]
.LBB2_9657:                             ;   in Loop: Header=BB2_9597 Depth=3
	s_or_b64 exec, exec, s[38:39]
                                        ; implicit-def: $vgpr14
.LBB2_9658:                             ;   in Loop: Header=BB2_9597 Depth=3
	s_andn2_saveexec_b64 s[28:29], s[36:37]
; %bb.9659:                             ;   in Loop: Header=BB2_9597 Depth=3
	v_or_b32_e32 v45, 0x7b, v14
; %bb.9660:                             ;   in Loop: Header=BB2_9597 Depth=3
	s_or_b64 exec, exec, s[28:29]
                                        ; implicit-def: $vgpr2
.LBB2_9661:                             ;   in Loop: Header=BB2_9597 Depth=3
	s_andn2_saveexec_b64 s[28:29], s[34:35]
	s_cbranch_execz .LBB2_9667
; %bb.9662:                             ;   in Loop: Header=BB2_9597 Depth=3
	v_cmp_ne_u64_e32 vcc, 0, v[28:29]
                                        ; implicit-def: $vgpr45
	s_and_saveexec_b64 s[34:35], vcc
	s_xor_b64 vcc, exec, s[34:35]
; %bb.9663:                             ;   in Loop: Header=BB2_9597 Depth=3
	v_or_b32_sdwa v45, v2, s47 dst_sel:DWORD dst_unused:UNUSED_PAD src0_sel:BYTE_3 src1_sel:DWORD
                                        ; implicit-def: $vgpr2
; %bb.9664:                             ;   in Loop: Header=BB2_9597 Depth=3
	s_andn2_saveexec_b64 s[34:35], vcc
; %bb.9665:                             ;   in Loop: Header=BB2_9597 Depth=3
	v_cmp_lt_i32_e32 vcc, -1, v2
	v_cndmask_b32_e32 v45, -4, v22, vcc
; %bb.9666:                             ;   in Loop: Header=BB2_9597 Depth=3
	s_or_b64 exec, exec, s[34:35]
.LBB2_9667:                             ;   in Loop: Header=BB2_9597 Depth=3
	s_or_b64 exec, exec, s[28:29]
	flat_load_sbyte v2, v[8:9] offset:128 glc slc
	v_mov_b32_e32 v3, 0
	s_waitcnt vmcnt(0) lgkmcnt(0)
	v_cmp_ne_u16_e32 vcc, 0, v2
	s_and_saveexec_b64 s[28:29], vcc
	s_cbranch_execz .LBB2_9675
; %bb.9668:                             ;   in Loop: Header=BB2_9597 Depth=3
	v_cmp_ne_u16_e32 vcc, s97, v2
	v_bfrev_b32_e32 v3, 1
	s_and_saveexec_b64 s[34:35], vcc
	s_cbranch_execz .LBB2_9674
; %bb.9669:                             ;   in Loop: Header=BB2_9597 Depth=3
	v_and_b32_e32 v3, 0x7c, v2
	v_and_b32_e32 v4, 3, v2
	v_cmp_ne_u32_e32 vcc, s85, v3
                                        ; implicit-def: $vgpr3
	s_and_saveexec_b64 s[36:37], vcc
	s_xor_b64 s[36:37], exec, s[36:37]
	s_cbranch_execz .LBB2_9671
; %bb.9670:                             ;   in Loop: Header=BB2_9597 Depth=3
	v_and_b32_e32 v14, 0xff, v2
	v_bfe_u32 v16, v14, 2, 5
	v_ffbh_u32_e32 v14, v4
	v_min_u32_e32 v18, 32, v14
	v_mov_b32_e32 v3, v29
	v_subrev_u32_e32 v14, 29, v18
	v_lshlrev_b64 v[14:15], v14, v[2:3]
	v_sub_u32_e32 v3, 30, v18
	v_cmp_eq_u32_e32 vcc, 0, v16
	v_and_b32_e32 v14, 3, v14
	v_cndmask_b32_e32 v3, v16, v3, vcc
	v_and_b32_sdwa v2, sext(v2), s86 dst_sel:DWORD dst_unused:UNUSED_PAD src0_sel:WORD_0 src1_sel:DWORD
	v_cndmask_b32_e32 v4, v4, v14, vcc
	v_lshl_add_u32 v2, v3, 23, v2
	v_lshl_or_b32 v2, v4, 21, v2
	v_add_u32_e32 v3, 0x38000000, v2
                                        ; implicit-def: $vgpr4
                                        ; implicit-def: $vgpr2
.LBB2_9671:                             ;   in Loop: Header=BB2_9597 Depth=3
	s_andn2_saveexec_b64 s[36:37], s[36:37]
; %bb.9672:                             ;   in Loop: Header=BB2_9597 Depth=3
	v_cmp_lt_i16_e32 vcc, -1, v2
	v_cndmask_b32_e32 v2, v7, v0, vcc
	v_cmp_eq_u32_e32 vcc, 0, v4
	v_cndmask_b32_e32 v3, v35, v2, vcc
; %bb.9673:                             ;   in Loop: Header=BB2_9597 Depth=3
	s_or_b64 exec, exec, s[36:37]
.LBB2_9674:                             ;   in Loop: Header=BB2_9597 Depth=3
	s_or_b64 exec, exec, s[34:35]
.LBB2_9675:                             ;   in Loop: Header=BB2_9597 Depth=3
	s_or_b64 exec, exec, s[28:29]
	v_mul_f32_e32 v2, v5, v3
	v_and_b32_e32 v3, 0x7f800000, v2
	v_mov_b32_e32 v4, v29
	v_cmp_ne_u64_e32 vcc, s[76:77], v[3:4]
	v_and_b32_e32 v28, 0x7fffff, v2
                                        ; implicit-def: $vgpr44
	s_and_saveexec_b64 s[28:29], vcc
	s_xor_b64 s[34:35], exec, s[28:29]
	s_cbranch_execz .LBB2_9693
; %bb.9676:                             ;   in Loop: Header=BB2_9597 Depth=3
	v_and_b32_e32 v3, 0x7fffffff, v2
	v_mov_b32_e32 v4, v29
	v_cmp_gt_u64_e32 vcc, s[78:79], v[3:4]
	v_and_b32_sdwa v14, v2, s96 dst_sel:DWORD dst_unused:UNUSED_PAD src0_sel:BYTE_3 src1_sel:DWORD
                                        ; implicit-def: $vgpr44
	s_and_saveexec_b64 s[28:29], vcc
	s_xor_b64 s[36:37], exec, s[28:29]
	s_cbranch_execz .LBB2_9690
; %bb.9677:                             ;   in Loop: Header=BB2_9597 Depth=3
	v_cmp_ne_u32_e32 vcc, 0, v2
	v_mov_b32_e32 v44, 0
	s_and_saveexec_b64 s[38:39], vcc
	s_cbranch_execz .LBB2_9689
; %bb.9678:                             ;   in Loop: Header=BB2_9597 Depth=3
	v_bfe_u32 v15, v2, 23, 8
	v_cmp_gt_u32_e64 s[28:29], s46, v15
	v_sub_u32_e32 v2, 0x71, v15
	v_cmp_eq_u32_e32 vcc, 0, v15
	v_cndmask_b32_e64 v2, 0, v2, s[28:29]
	v_mov_b32_e32 v4, 0x70
	v_cndmask_b32_e32 v16, v2, v4, vcc
	v_add_u32_e32 v4, 21, v16
	v_or_b32_e32 v3, 0x800000, v28
	v_lshlrev_b64 v[30:31], v4, -1
	v_cndmask_b32_e32 v2, v3, v28, vcc
	v_mov_b32_e32 v3, v29
	v_add_u32_e32 v4, 20, v16
	v_bfi_b32 v30, v30, 0, v2
	v_lshlrev_b64 v[32:33], v4, 1
	v_lshrrev_b64 v[2:3], v16, v[2:3]
	v_bfi_b32 v31, v31, 0, 0
	v_cmp_eq_u64_e64 s[28:29], v[30:31], v[32:33]
	v_mov_b32_e32 v4, v3
	v_mov_b32_e32 v3, v2
	s_and_saveexec_b64 s[48:49], s[28:29]
; %bb.9679:                             ;   in Loop: Header=BB2_9597 Depth=3
	v_bfe_u32 v3, v2, 21, 1
	v_add_co_u32_e64 v3, s[28:29], v2, v3
	v_add_co_u32_e64 v3, s[28:29], -1, v3
; %bb.9680:                             ;   in Loop: Header=BB2_9597 Depth=3
	s_or_b64 exec, exec, s[48:49]
	v_add_u32_e32 v4, 0xffffff81, v15
	v_cndmask_b32_e32 v4, v4, v1, vcc
	v_lshrrev_b32_e32 v15, 23, v2
	v_add3_u32 v16, v16, v4, v15
	v_add_u32_e32 v15, 14, v16
	v_and_b32_e32 v3, 0x1fffff, v3
	v_add_u32_e32 v28, v3, v2
	v_cmp_ne_u32_e32 vcc, 0, v15
                                        ; implicit-def: $vgpr2_vgpr3
                                        ; implicit-def: $vgpr4
	s_and_saveexec_b64 s[28:29], vcc
	s_xor_b64 s[28:29], exec, s[28:29]
; %bb.9681:                             ;   in Loop: Header=BB2_9597 Depth=3
	v_cmp_lt_u64_e32 vcc, s[88:89], v[28:29]
	v_add_u32_e32 v2, 15, v16
	v_cndmask_b32_e32 v4, v15, v2, vcc
	v_cndmask_b32_e64 v2, 0, 1, vcc
	v_lshrrev_b64 v[2:3], v2, v[28:29]
; %bb.9682:                             ;   in Loop: Header=BB2_9597 Depth=3
	s_andn2_saveexec_b64 s[28:29], s[28:29]
; %bb.9683:                             ;   in Loop: Header=BB2_9597 Depth=3
	v_mov_b32_e32 v2, v28
	v_mov_b32_e32 v3, v29
	v_bfe_u32 v4, v28, 23, 1
; %bb.9684:                             ;   in Loop: Header=BB2_9597 Depth=3
	s_or_b64 exec, exec, s[28:29]
	v_lshrrev_b64 v[2:3], 21, v[2:3]
	v_cmp_gt_i32_e32 vcc, 32, v4
	v_cndmask_b32_e32 v3, 0, v3, vcc
	v_cndmask_b32_e32 v2, 3, v2, vcc
	v_cmp_ne_u64_e32 vcc, 0, v[2:3]
	v_cmp_ne_u32_e64 s[28:29], 0, v4
	s_or_b64 s[28:29], s[28:29], vcc
                                        ; implicit-def: $vgpr44
	s_and_saveexec_b64 vcc, s[28:29]
	s_xor_b64 s[28:29], exec, vcc
; %bb.9685:                             ;   in Loop: Header=BB2_9597 Depth=3
	v_min_i32_e32 v3, 31, v4
	v_lshl_or_b32 v3, v3, 2, v14
	v_and_or_b32 v44, v2, 3, v3
                                        ; implicit-def: $vgpr14
; %bb.9686:                             ;   in Loop: Header=BB2_9597 Depth=3
	s_andn2_saveexec_b64 s[28:29], s[28:29]
; %bb.9687:                             ;   in Loop: Header=BB2_9597 Depth=3
	v_mov_b32_e32 v44, v14
; %bb.9688:                             ;   in Loop: Header=BB2_9597 Depth=3
	s_or_b64 exec, exec, s[28:29]
.LBB2_9689:                             ;   in Loop: Header=BB2_9597 Depth=3
	s_or_b64 exec, exec, s[38:39]
                                        ; implicit-def: $vgpr14
.LBB2_9690:                             ;   in Loop: Header=BB2_9597 Depth=3
	s_andn2_saveexec_b64 s[28:29], s[36:37]
; %bb.9691:                             ;   in Loop: Header=BB2_9597 Depth=3
	v_or_b32_e32 v44, 0x7b, v14
; %bb.9692:                             ;   in Loop: Header=BB2_9597 Depth=3
	s_or_b64 exec, exec, s[28:29]
                                        ; implicit-def: $vgpr2
.LBB2_9693:                             ;   in Loop: Header=BB2_9597 Depth=3
	s_andn2_saveexec_b64 s[28:29], s[34:35]
	s_cbranch_execz .LBB2_9699
; %bb.9694:                             ;   in Loop: Header=BB2_9597 Depth=3
	v_cmp_ne_u64_e32 vcc, 0, v[28:29]
                                        ; implicit-def: $vgpr44
	s_and_saveexec_b64 s[34:35], vcc
	s_xor_b64 vcc, exec, s[34:35]
; %bb.9695:                             ;   in Loop: Header=BB2_9597 Depth=3
	v_or_b32_sdwa v44, v2, s47 dst_sel:DWORD dst_unused:UNUSED_PAD src0_sel:BYTE_3 src1_sel:DWORD
                                        ; implicit-def: $vgpr2
; %bb.9696:                             ;   in Loop: Header=BB2_9597 Depth=3
	s_andn2_saveexec_b64 s[34:35], vcc
; %bb.9697:                             ;   in Loop: Header=BB2_9597 Depth=3
	v_cmp_lt_i32_e32 vcc, -1, v2
	v_cndmask_b32_e32 v44, -4, v22, vcc
; %bb.9698:                             ;   in Loop: Header=BB2_9597 Depth=3
	s_or_b64 exec, exec, s[34:35]
.LBB2_9699:                             ;   in Loop: Header=BB2_9597 Depth=3
	s_or_b64 exec, exec, s[28:29]
	flat_load_sbyte v2, v[8:9] offset:192 glc slc
	v_mov_b32_e32 v3, 0
	s_waitcnt vmcnt(0) lgkmcnt(0)
	v_cmp_ne_u16_e32 vcc, 0, v2
	s_and_saveexec_b64 s[28:29], vcc
	s_cbranch_execz .LBB2_9707
; %bb.9700:                             ;   in Loop: Header=BB2_9597 Depth=3
	v_cmp_ne_u16_e32 vcc, s97, v2
	v_bfrev_b32_e32 v3, 1
	s_and_saveexec_b64 s[34:35], vcc
	s_cbranch_execz .LBB2_9706
; %bb.9701:                             ;   in Loop: Header=BB2_9597 Depth=3
	v_and_b32_e32 v3, 0x7c, v2
	v_and_b32_e32 v4, 3, v2
	v_cmp_ne_u32_e32 vcc, s85, v3
                                        ; implicit-def: $vgpr3
	s_and_saveexec_b64 s[36:37], vcc
	s_xor_b64 s[36:37], exec, s[36:37]
	s_cbranch_execz .LBB2_9703
; %bb.9702:                             ;   in Loop: Header=BB2_9597 Depth=3
	v_and_b32_e32 v14, 0xff, v2
	v_bfe_u32 v16, v14, 2, 5
	v_ffbh_u32_e32 v14, v4
	v_min_u32_e32 v18, 32, v14
	v_mov_b32_e32 v3, v29
	v_subrev_u32_e32 v14, 29, v18
	v_lshlrev_b64 v[14:15], v14, v[2:3]
	v_sub_u32_e32 v3, 30, v18
	v_cmp_eq_u32_e32 vcc, 0, v16
	v_and_b32_e32 v14, 3, v14
	v_cndmask_b32_e32 v3, v16, v3, vcc
	v_and_b32_sdwa v2, sext(v2), s86 dst_sel:DWORD dst_unused:UNUSED_PAD src0_sel:WORD_0 src1_sel:DWORD
	v_cndmask_b32_e32 v4, v4, v14, vcc
	v_lshl_add_u32 v2, v3, 23, v2
	v_lshl_or_b32 v2, v4, 21, v2
	v_add_u32_e32 v3, 0x38000000, v2
                                        ; implicit-def: $vgpr4
                                        ; implicit-def: $vgpr2
.LBB2_9703:                             ;   in Loop: Header=BB2_9597 Depth=3
	s_andn2_saveexec_b64 s[36:37], s[36:37]
; %bb.9704:                             ;   in Loop: Header=BB2_9597 Depth=3
	v_cmp_lt_i16_e32 vcc, -1, v2
	v_cndmask_b32_e32 v2, v7, v0, vcc
	v_cmp_eq_u32_e32 vcc, 0, v4
	v_cndmask_b32_e32 v3, v35, v2, vcc
; %bb.9705:                             ;   in Loop: Header=BB2_9597 Depth=3
	s_or_b64 exec, exec, s[36:37]
.LBB2_9706:                             ;   in Loop: Header=BB2_9597 Depth=3
	s_or_b64 exec, exec, s[34:35]
.LBB2_9707:                             ;   in Loop: Header=BB2_9597 Depth=3
	s_or_b64 exec, exec, s[28:29]
	v_mul_f32_e32 v2, v5, v3
	v_and_b32_e32 v3, 0x7f800000, v2
	v_mov_b32_e32 v4, v29
	v_cmp_ne_u64_e32 vcc, s[76:77], v[3:4]
	v_and_b32_e32 v28, 0x7fffff, v2
                                        ; implicit-def: $vgpr43
	s_and_saveexec_b64 s[28:29], vcc
	s_xor_b64 s[34:35], exec, s[28:29]
	s_cbranch_execz .LBB2_9725
; %bb.9708:                             ;   in Loop: Header=BB2_9597 Depth=3
	v_and_b32_e32 v3, 0x7fffffff, v2
	v_mov_b32_e32 v4, v29
	v_cmp_gt_u64_e32 vcc, s[78:79], v[3:4]
	v_and_b32_sdwa v14, v2, s96 dst_sel:DWORD dst_unused:UNUSED_PAD src0_sel:BYTE_3 src1_sel:DWORD
                                        ; implicit-def: $vgpr43
	s_and_saveexec_b64 s[28:29], vcc
	s_xor_b64 s[36:37], exec, s[28:29]
	s_cbranch_execz .LBB2_9722
; %bb.9709:                             ;   in Loop: Header=BB2_9597 Depth=3
	v_cmp_ne_u32_e32 vcc, 0, v2
	v_mov_b32_e32 v43, 0
	s_and_saveexec_b64 s[38:39], vcc
	s_cbranch_execz .LBB2_9721
; %bb.9710:                             ;   in Loop: Header=BB2_9597 Depth=3
	v_bfe_u32 v15, v2, 23, 8
	v_cmp_gt_u32_e64 s[28:29], s46, v15
	v_sub_u32_e32 v2, 0x71, v15
	v_cmp_eq_u32_e32 vcc, 0, v15
	v_cndmask_b32_e64 v2, 0, v2, s[28:29]
	v_mov_b32_e32 v4, 0x70
	v_cndmask_b32_e32 v16, v2, v4, vcc
	v_add_u32_e32 v4, 21, v16
	v_or_b32_e32 v3, 0x800000, v28
	v_lshlrev_b64 v[30:31], v4, -1
	v_cndmask_b32_e32 v2, v3, v28, vcc
	v_mov_b32_e32 v3, v29
	v_add_u32_e32 v4, 20, v16
	v_bfi_b32 v30, v30, 0, v2
	v_lshlrev_b64 v[32:33], v4, 1
	v_lshrrev_b64 v[2:3], v16, v[2:3]
	v_bfi_b32 v31, v31, 0, 0
	v_cmp_eq_u64_e64 s[28:29], v[30:31], v[32:33]
	v_mov_b32_e32 v4, v3
	v_mov_b32_e32 v3, v2
	s_and_saveexec_b64 s[48:49], s[28:29]
; %bb.9711:                             ;   in Loop: Header=BB2_9597 Depth=3
	v_bfe_u32 v3, v2, 21, 1
	v_add_co_u32_e64 v3, s[28:29], v2, v3
	v_add_co_u32_e64 v3, s[28:29], -1, v3
; %bb.9712:                             ;   in Loop: Header=BB2_9597 Depth=3
	s_or_b64 exec, exec, s[48:49]
	v_add_u32_e32 v4, 0xffffff81, v15
	v_cndmask_b32_e32 v4, v4, v1, vcc
	v_lshrrev_b32_e32 v15, 23, v2
	v_add3_u32 v16, v16, v4, v15
	v_add_u32_e32 v15, 14, v16
	v_and_b32_e32 v3, 0x1fffff, v3
	v_add_u32_e32 v28, v3, v2
	v_cmp_ne_u32_e32 vcc, 0, v15
                                        ; implicit-def: $vgpr2_vgpr3
                                        ; implicit-def: $vgpr4
	s_and_saveexec_b64 s[28:29], vcc
	s_xor_b64 s[28:29], exec, s[28:29]
; %bb.9713:                             ;   in Loop: Header=BB2_9597 Depth=3
	v_cmp_lt_u64_e32 vcc, s[88:89], v[28:29]
	v_add_u32_e32 v2, 15, v16
	v_cndmask_b32_e32 v4, v15, v2, vcc
	v_cndmask_b32_e64 v2, 0, 1, vcc
	v_lshrrev_b64 v[2:3], v2, v[28:29]
; %bb.9714:                             ;   in Loop: Header=BB2_9597 Depth=3
	s_andn2_saveexec_b64 s[28:29], s[28:29]
; %bb.9715:                             ;   in Loop: Header=BB2_9597 Depth=3
	v_mov_b32_e32 v2, v28
	v_mov_b32_e32 v3, v29
	v_bfe_u32 v4, v28, 23, 1
; %bb.9716:                             ;   in Loop: Header=BB2_9597 Depth=3
	s_or_b64 exec, exec, s[28:29]
	v_lshrrev_b64 v[2:3], 21, v[2:3]
	v_cmp_gt_i32_e32 vcc, 32, v4
	v_cndmask_b32_e32 v3, 0, v3, vcc
	v_cndmask_b32_e32 v2, 3, v2, vcc
	v_cmp_ne_u64_e32 vcc, 0, v[2:3]
	v_cmp_ne_u32_e64 s[28:29], 0, v4
	s_or_b64 s[28:29], s[28:29], vcc
                                        ; implicit-def: $vgpr43
	s_and_saveexec_b64 vcc, s[28:29]
	s_xor_b64 s[28:29], exec, vcc
; %bb.9717:                             ;   in Loop: Header=BB2_9597 Depth=3
	v_min_i32_e32 v3, 31, v4
	v_lshl_or_b32 v3, v3, 2, v14
	v_and_or_b32 v43, v2, 3, v3
                                        ; implicit-def: $vgpr14
; %bb.9718:                             ;   in Loop: Header=BB2_9597 Depth=3
	s_andn2_saveexec_b64 s[28:29], s[28:29]
; %bb.9719:                             ;   in Loop: Header=BB2_9597 Depth=3
	v_mov_b32_e32 v43, v14
; %bb.9720:                             ;   in Loop: Header=BB2_9597 Depth=3
	s_or_b64 exec, exec, s[28:29]
.LBB2_9721:                             ;   in Loop: Header=BB2_9597 Depth=3
	s_or_b64 exec, exec, s[38:39]
                                        ; implicit-def: $vgpr14
.LBB2_9722:                             ;   in Loop: Header=BB2_9597 Depth=3
	s_andn2_saveexec_b64 s[28:29], s[36:37]
; %bb.9723:                             ;   in Loop: Header=BB2_9597 Depth=3
	v_or_b32_e32 v43, 0x7b, v14
; %bb.9724:                             ;   in Loop: Header=BB2_9597 Depth=3
	s_or_b64 exec, exec, s[28:29]
                                        ; implicit-def: $vgpr2
.LBB2_9725:                             ;   in Loop: Header=BB2_9597 Depth=3
	s_andn2_saveexec_b64 s[28:29], s[34:35]
	s_cbranch_execz .LBB2_9731
; %bb.9726:                             ;   in Loop: Header=BB2_9597 Depth=3
	v_cmp_ne_u64_e32 vcc, 0, v[28:29]
                                        ; implicit-def: $vgpr43
	s_and_saveexec_b64 s[34:35], vcc
	s_xor_b64 vcc, exec, s[34:35]
; %bb.9727:                             ;   in Loop: Header=BB2_9597 Depth=3
	v_or_b32_sdwa v43, v2, s47 dst_sel:DWORD dst_unused:UNUSED_PAD src0_sel:BYTE_3 src1_sel:DWORD
                                        ; implicit-def: $vgpr2
; %bb.9728:                             ;   in Loop: Header=BB2_9597 Depth=3
	s_andn2_saveexec_b64 s[34:35], vcc
; %bb.9729:                             ;   in Loop: Header=BB2_9597 Depth=3
	v_cmp_lt_i32_e32 vcc, -1, v2
	v_cndmask_b32_e32 v43, -4, v22, vcc
; %bb.9730:                             ;   in Loop: Header=BB2_9597 Depth=3
	s_or_b64 exec, exec, s[34:35]
.LBB2_9731:                             ;   in Loop: Header=BB2_9597 Depth=3
	s_or_b64 exec, exec, s[28:29]
	flat_load_sbyte v2, v[8:9] offset:256 glc slc
	v_mov_b32_e32 v3, 0
	s_waitcnt vmcnt(0) lgkmcnt(0)
	v_cmp_ne_u16_e32 vcc, 0, v2
	s_and_saveexec_b64 s[28:29], vcc
	s_cbranch_execz .LBB2_9739
; %bb.9732:                             ;   in Loop: Header=BB2_9597 Depth=3
	v_cmp_ne_u16_e32 vcc, s97, v2
	v_bfrev_b32_e32 v3, 1
	s_and_saveexec_b64 s[34:35], vcc
	s_cbranch_execz .LBB2_9738
; %bb.9733:                             ;   in Loop: Header=BB2_9597 Depth=3
	v_and_b32_e32 v3, 0x7c, v2
	v_and_b32_e32 v4, 3, v2
	v_cmp_ne_u32_e32 vcc, s85, v3
                                        ; implicit-def: $vgpr3
	s_and_saveexec_b64 s[36:37], vcc
	s_xor_b64 s[36:37], exec, s[36:37]
	s_cbranch_execz .LBB2_9735
; %bb.9734:                             ;   in Loop: Header=BB2_9597 Depth=3
	v_and_b32_e32 v14, 0xff, v2
	v_bfe_u32 v16, v14, 2, 5
	v_ffbh_u32_e32 v14, v4
	v_min_u32_e32 v18, 32, v14
	v_mov_b32_e32 v3, v29
	v_subrev_u32_e32 v14, 29, v18
	v_lshlrev_b64 v[14:15], v14, v[2:3]
	v_sub_u32_e32 v3, 30, v18
	v_cmp_eq_u32_e32 vcc, 0, v16
	v_and_b32_e32 v14, 3, v14
	v_cndmask_b32_e32 v3, v16, v3, vcc
	v_and_b32_sdwa v2, sext(v2), s86 dst_sel:DWORD dst_unused:UNUSED_PAD src0_sel:WORD_0 src1_sel:DWORD
	v_cndmask_b32_e32 v4, v4, v14, vcc
	v_lshl_add_u32 v2, v3, 23, v2
	v_lshl_or_b32 v2, v4, 21, v2
	v_add_u32_e32 v3, 0x38000000, v2
                                        ; implicit-def: $vgpr4
                                        ; implicit-def: $vgpr2
.LBB2_9735:                             ;   in Loop: Header=BB2_9597 Depth=3
	s_andn2_saveexec_b64 s[36:37], s[36:37]
; %bb.9736:                             ;   in Loop: Header=BB2_9597 Depth=3
	v_cmp_lt_i16_e32 vcc, -1, v2
	v_cndmask_b32_e32 v2, v7, v0, vcc
	v_cmp_eq_u32_e32 vcc, 0, v4
	v_cndmask_b32_e32 v3, v35, v2, vcc
; %bb.9737:                             ;   in Loop: Header=BB2_9597 Depth=3
	s_or_b64 exec, exec, s[36:37]
.LBB2_9738:                             ;   in Loop: Header=BB2_9597 Depth=3
	s_or_b64 exec, exec, s[34:35]
.LBB2_9739:                             ;   in Loop: Header=BB2_9597 Depth=3
	s_or_b64 exec, exec, s[28:29]
	v_mul_f32_e32 v2, v5, v3
	v_and_b32_e32 v3, 0x7f800000, v2
	v_mov_b32_e32 v4, v29
	v_cmp_ne_u64_e32 vcc, s[76:77], v[3:4]
	v_and_b32_e32 v28, 0x7fffff, v2
                                        ; implicit-def: $vgpr42
	s_and_saveexec_b64 s[28:29], vcc
	s_xor_b64 s[34:35], exec, s[28:29]
	s_cbranch_execz .LBB2_9757
; %bb.9740:                             ;   in Loop: Header=BB2_9597 Depth=3
	v_and_b32_e32 v3, 0x7fffffff, v2
	v_mov_b32_e32 v4, v29
	v_cmp_gt_u64_e32 vcc, s[78:79], v[3:4]
	v_and_b32_sdwa v14, v2, s96 dst_sel:DWORD dst_unused:UNUSED_PAD src0_sel:BYTE_3 src1_sel:DWORD
                                        ; implicit-def: $vgpr42
	s_and_saveexec_b64 s[28:29], vcc
	s_xor_b64 s[36:37], exec, s[28:29]
	s_cbranch_execz .LBB2_9754
; %bb.9741:                             ;   in Loop: Header=BB2_9597 Depth=3
	v_cmp_ne_u32_e32 vcc, 0, v2
	v_mov_b32_e32 v42, 0
	s_and_saveexec_b64 s[38:39], vcc
	s_cbranch_execz .LBB2_9753
; %bb.9742:                             ;   in Loop: Header=BB2_9597 Depth=3
	v_bfe_u32 v15, v2, 23, 8
	v_cmp_gt_u32_e64 s[28:29], s46, v15
	v_sub_u32_e32 v2, 0x71, v15
	v_cmp_eq_u32_e32 vcc, 0, v15
	v_cndmask_b32_e64 v2, 0, v2, s[28:29]
	v_mov_b32_e32 v4, 0x70
	v_cndmask_b32_e32 v16, v2, v4, vcc
	v_add_u32_e32 v4, 21, v16
	v_or_b32_e32 v3, 0x800000, v28
	v_lshlrev_b64 v[30:31], v4, -1
	v_cndmask_b32_e32 v2, v3, v28, vcc
	v_mov_b32_e32 v3, v29
	v_add_u32_e32 v4, 20, v16
	v_bfi_b32 v30, v30, 0, v2
	v_lshlrev_b64 v[32:33], v4, 1
	v_lshrrev_b64 v[2:3], v16, v[2:3]
	v_bfi_b32 v31, v31, 0, 0
	v_cmp_eq_u64_e64 s[28:29], v[30:31], v[32:33]
	v_mov_b32_e32 v4, v3
	v_mov_b32_e32 v3, v2
	s_and_saveexec_b64 s[48:49], s[28:29]
; %bb.9743:                             ;   in Loop: Header=BB2_9597 Depth=3
	v_bfe_u32 v3, v2, 21, 1
	v_add_co_u32_e64 v3, s[28:29], v2, v3
	v_add_co_u32_e64 v3, s[28:29], -1, v3
; %bb.9744:                             ;   in Loop: Header=BB2_9597 Depth=3
	s_or_b64 exec, exec, s[48:49]
	v_add_u32_e32 v4, 0xffffff81, v15
	v_cndmask_b32_e32 v4, v4, v1, vcc
	v_lshrrev_b32_e32 v15, 23, v2
	v_add3_u32 v16, v16, v4, v15
	v_add_u32_e32 v15, 14, v16
	v_and_b32_e32 v3, 0x1fffff, v3
	v_add_u32_e32 v28, v3, v2
	v_cmp_ne_u32_e32 vcc, 0, v15
                                        ; implicit-def: $vgpr2_vgpr3
                                        ; implicit-def: $vgpr4
	s_and_saveexec_b64 s[28:29], vcc
	s_xor_b64 s[28:29], exec, s[28:29]
; %bb.9745:                             ;   in Loop: Header=BB2_9597 Depth=3
	v_cmp_lt_u64_e32 vcc, s[88:89], v[28:29]
	v_add_u32_e32 v2, 15, v16
	v_cndmask_b32_e32 v4, v15, v2, vcc
	v_cndmask_b32_e64 v2, 0, 1, vcc
	v_lshrrev_b64 v[2:3], v2, v[28:29]
; %bb.9746:                             ;   in Loop: Header=BB2_9597 Depth=3
	s_andn2_saveexec_b64 s[28:29], s[28:29]
; %bb.9747:                             ;   in Loop: Header=BB2_9597 Depth=3
	v_mov_b32_e32 v2, v28
	v_mov_b32_e32 v3, v29
	v_bfe_u32 v4, v28, 23, 1
; %bb.9748:                             ;   in Loop: Header=BB2_9597 Depth=3
	s_or_b64 exec, exec, s[28:29]
	v_lshrrev_b64 v[2:3], 21, v[2:3]
	v_cmp_gt_i32_e32 vcc, 32, v4
	v_cndmask_b32_e32 v3, 0, v3, vcc
	v_cndmask_b32_e32 v2, 3, v2, vcc
	v_cmp_ne_u64_e32 vcc, 0, v[2:3]
	v_cmp_ne_u32_e64 s[28:29], 0, v4
	s_or_b64 s[28:29], s[28:29], vcc
                                        ; implicit-def: $vgpr42
	s_and_saveexec_b64 vcc, s[28:29]
	s_xor_b64 s[28:29], exec, vcc
; %bb.9749:                             ;   in Loop: Header=BB2_9597 Depth=3
	v_min_i32_e32 v3, 31, v4
	v_lshl_or_b32 v3, v3, 2, v14
	v_and_or_b32 v42, v2, 3, v3
                                        ; implicit-def: $vgpr14
; %bb.9750:                             ;   in Loop: Header=BB2_9597 Depth=3
	s_andn2_saveexec_b64 s[28:29], s[28:29]
; %bb.9751:                             ;   in Loop: Header=BB2_9597 Depth=3
	v_mov_b32_e32 v42, v14
; %bb.9752:                             ;   in Loop: Header=BB2_9597 Depth=3
	s_or_b64 exec, exec, s[28:29]
.LBB2_9753:                             ;   in Loop: Header=BB2_9597 Depth=3
	s_or_b64 exec, exec, s[38:39]
                                        ; implicit-def: $vgpr14
.LBB2_9754:                             ;   in Loop: Header=BB2_9597 Depth=3
	s_andn2_saveexec_b64 s[28:29], s[36:37]
; %bb.9755:                             ;   in Loop: Header=BB2_9597 Depth=3
	v_or_b32_e32 v42, 0x7b, v14
; %bb.9756:                             ;   in Loop: Header=BB2_9597 Depth=3
	s_or_b64 exec, exec, s[28:29]
                                        ; implicit-def: $vgpr2
.LBB2_9757:                             ;   in Loop: Header=BB2_9597 Depth=3
	s_andn2_saveexec_b64 s[28:29], s[34:35]
	s_cbranch_execz .LBB2_9763
; %bb.9758:                             ;   in Loop: Header=BB2_9597 Depth=3
	v_cmp_ne_u64_e32 vcc, 0, v[28:29]
                                        ; implicit-def: $vgpr42
	s_and_saveexec_b64 s[34:35], vcc
	s_xor_b64 vcc, exec, s[34:35]
; %bb.9759:                             ;   in Loop: Header=BB2_9597 Depth=3
	v_or_b32_sdwa v42, v2, s47 dst_sel:DWORD dst_unused:UNUSED_PAD src0_sel:BYTE_3 src1_sel:DWORD
                                        ; implicit-def: $vgpr2
; %bb.9760:                             ;   in Loop: Header=BB2_9597 Depth=3
	s_andn2_saveexec_b64 s[34:35], vcc
; %bb.9761:                             ;   in Loop: Header=BB2_9597 Depth=3
	v_cmp_lt_i32_e32 vcc, -1, v2
	v_cndmask_b32_e32 v42, -4, v22, vcc
; %bb.9762:                             ;   in Loop: Header=BB2_9597 Depth=3
	s_or_b64 exec, exec, s[34:35]
.LBB2_9763:                             ;   in Loop: Header=BB2_9597 Depth=3
	s_or_b64 exec, exec, s[28:29]
	flat_load_sbyte v2, v[8:9] offset:320 glc slc
	v_mov_b32_e32 v3, 0
	s_waitcnt vmcnt(0) lgkmcnt(0)
	v_cmp_ne_u16_e32 vcc, 0, v2
	s_and_saveexec_b64 s[28:29], vcc
	s_cbranch_execz .LBB2_9771
; %bb.9764:                             ;   in Loop: Header=BB2_9597 Depth=3
	v_cmp_ne_u16_e32 vcc, s97, v2
	v_bfrev_b32_e32 v3, 1
	s_and_saveexec_b64 s[34:35], vcc
	s_cbranch_execz .LBB2_9770
; %bb.9765:                             ;   in Loop: Header=BB2_9597 Depth=3
	v_and_b32_e32 v3, 0x7c, v2
	v_and_b32_e32 v4, 3, v2
	v_cmp_ne_u32_e32 vcc, s85, v3
                                        ; implicit-def: $vgpr3
	s_and_saveexec_b64 s[36:37], vcc
	s_xor_b64 s[36:37], exec, s[36:37]
	s_cbranch_execz .LBB2_9767
; %bb.9766:                             ;   in Loop: Header=BB2_9597 Depth=3
	v_and_b32_e32 v14, 0xff, v2
	v_bfe_u32 v16, v14, 2, 5
	v_ffbh_u32_e32 v14, v4
	v_min_u32_e32 v18, 32, v14
	v_mov_b32_e32 v3, v29
	v_subrev_u32_e32 v14, 29, v18
	v_lshlrev_b64 v[14:15], v14, v[2:3]
	v_sub_u32_e32 v3, 30, v18
	v_cmp_eq_u32_e32 vcc, 0, v16
	v_and_b32_e32 v14, 3, v14
	v_cndmask_b32_e32 v3, v16, v3, vcc
	v_and_b32_sdwa v2, sext(v2), s86 dst_sel:DWORD dst_unused:UNUSED_PAD src0_sel:WORD_0 src1_sel:DWORD
	v_cndmask_b32_e32 v4, v4, v14, vcc
	v_lshl_add_u32 v2, v3, 23, v2
	v_lshl_or_b32 v2, v4, 21, v2
	v_add_u32_e32 v3, 0x38000000, v2
                                        ; implicit-def: $vgpr4
                                        ; implicit-def: $vgpr2
.LBB2_9767:                             ;   in Loop: Header=BB2_9597 Depth=3
	s_andn2_saveexec_b64 s[36:37], s[36:37]
; %bb.9768:                             ;   in Loop: Header=BB2_9597 Depth=3
	v_cmp_lt_i16_e32 vcc, -1, v2
	v_cndmask_b32_e32 v2, v7, v0, vcc
	v_cmp_eq_u32_e32 vcc, 0, v4
	v_cndmask_b32_e32 v3, v35, v2, vcc
; %bb.9769:                             ;   in Loop: Header=BB2_9597 Depth=3
	s_or_b64 exec, exec, s[36:37]
.LBB2_9770:                             ;   in Loop: Header=BB2_9597 Depth=3
	s_or_b64 exec, exec, s[34:35]
.LBB2_9771:                             ;   in Loop: Header=BB2_9597 Depth=3
	s_or_b64 exec, exec, s[28:29]
	v_mul_f32_e32 v2, v5, v3
	v_and_b32_e32 v3, 0x7f800000, v2
	v_mov_b32_e32 v4, v29
	v_cmp_ne_u64_e32 vcc, s[76:77], v[3:4]
	v_and_b32_e32 v28, 0x7fffff, v2
                                        ; implicit-def: $vgpr41
	s_and_saveexec_b64 s[28:29], vcc
	s_xor_b64 s[34:35], exec, s[28:29]
	s_cbranch_execz .LBB2_9789
; %bb.9772:                             ;   in Loop: Header=BB2_9597 Depth=3
	v_and_b32_e32 v3, 0x7fffffff, v2
	v_mov_b32_e32 v4, v29
	v_cmp_gt_u64_e32 vcc, s[78:79], v[3:4]
	v_and_b32_sdwa v14, v2, s96 dst_sel:DWORD dst_unused:UNUSED_PAD src0_sel:BYTE_3 src1_sel:DWORD
                                        ; implicit-def: $vgpr41
	s_and_saveexec_b64 s[28:29], vcc
	s_xor_b64 s[36:37], exec, s[28:29]
	s_cbranch_execz .LBB2_9786
; %bb.9773:                             ;   in Loop: Header=BB2_9597 Depth=3
	v_cmp_ne_u32_e32 vcc, 0, v2
	v_mov_b32_e32 v41, 0
	s_and_saveexec_b64 s[38:39], vcc
	s_cbranch_execz .LBB2_9785
; %bb.9774:                             ;   in Loop: Header=BB2_9597 Depth=3
	v_bfe_u32 v15, v2, 23, 8
	v_cmp_gt_u32_e64 s[28:29], s46, v15
	v_sub_u32_e32 v2, 0x71, v15
	v_cmp_eq_u32_e32 vcc, 0, v15
	v_cndmask_b32_e64 v2, 0, v2, s[28:29]
	v_mov_b32_e32 v4, 0x70
	v_cndmask_b32_e32 v16, v2, v4, vcc
	v_add_u32_e32 v4, 21, v16
	v_or_b32_e32 v3, 0x800000, v28
	v_lshlrev_b64 v[30:31], v4, -1
	v_cndmask_b32_e32 v2, v3, v28, vcc
	v_mov_b32_e32 v3, v29
	v_add_u32_e32 v4, 20, v16
	v_bfi_b32 v30, v30, 0, v2
	v_lshlrev_b64 v[32:33], v4, 1
	v_lshrrev_b64 v[2:3], v16, v[2:3]
	v_bfi_b32 v31, v31, 0, 0
	v_cmp_eq_u64_e64 s[28:29], v[30:31], v[32:33]
	v_mov_b32_e32 v4, v3
	v_mov_b32_e32 v3, v2
	s_and_saveexec_b64 s[48:49], s[28:29]
; %bb.9775:                             ;   in Loop: Header=BB2_9597 Depth=3
	v_bfe_u32 v3, v2, 21, 1
	v_add_co_u32_e64 v3, s[28:29], v2, v3
	v_add_co_u32_e64 v3, s[28:29], -1, v3
; %bb.9776:                             ;   in Loop: Header=BB2_9597 Depth=3
	s_or_b64 exec, exec, s[48:49]
	v_add_u32_e32 v4, 0xffffff81, v15
	v_cndmask_b32_e32 v4, v4, v1, vcc
	v_lshrrev_b32_e32 v15, 23, v2
	v_add3_u32 v16, v16, v4, v15
	v_add_u32_e32 v15, 14, v16
	v_and_b32_e32 v3, 0x1fffff, v3
	v_add_u32_e32 v28, v3, v2
	v_cmp_ne_u32_e32 vcc, 0, v15
                                        ; implicit-def: $vgpr2_vgpr3
                                        ; implicit-def: $vgpr4
	s_and_saveexec_b64 s[28:29], vcc
	s_xor_b64 s[28:29], exec, s[28:29]
; %bb.9777:                             ;   in Loop: Header=BB2_9597 Depth=3
	v_cmp_lt_u64_e32 vcc, s[88:89], v[28:29]
	v_add_u32_e32 v2, 15, v16
	v_cndmask_b32_e32 v4, v15, v2, vcc
	v_cndmask_b32_e64 v2, 0, 1, vcc
	v_lshrrev_b64 v[2:3], v2, v[28:29]
; %bb.9778:                             ;   in Loop: Header=BB2_9597 Depth=3
	s_andn2_saveexec_b64 s[28:29], s[28:29]
; %bb.9779:                             ;   in Loop: Header=BB2_9597 Depth=3
	v_mov_b32_e32 v2, v28
	v_mov_b32_e32 v3, v29
	v_bfe_u32 v4, v28, 23, 1
; %bb.9780:                             ;   in Loop: Header=BB2_9597 Depth=3
	s_or_b64 exec, exec, s[28:29]
	v_lshrrev_b64 v[2:3], 21, v[2:3]
	v_cmp_gt_i32_e32 vcc, 32, v4
	v_cndmask_b32_e32 v3, 0, v3, vcc
	v_cndmask_b32_e32 v2, 3, v2, vcc
	v_cmp_ne_u64_e32 vcc, 0, v[2:3]
	v_cmp_ne_u32_e64 s[28:29], 0, v4
	s_or_b64 s[28:29], s[28:29], vcc
                                        ; implicit-def: $vgpr41
	s_and_saveexec_b64 vcc, s[28:29]
	s_xor_b64 s[28:29], exec, vcc
; %bb.9781:                             ;   in Loop: Header=BB2_9597 Depth=3
	v_min_i32_e32 v3, 31, v4
	v_lshl_or_b32 v3, v3, 2, v14
	v_and_or_b32 v41, v2, 3, v3
                                        ; implicit-def: $vgpr14
; %bb.9782:                             ;   in Loop: Header=BB2_9597 Depth=3
	s_andn2_saveexec_b64 s[28:29], s[28:29]
; %bb.9783:                             ;   in Loop: Header=BB2_9597 Depth=3
	v_mov_b32_e32 v41, v14
; %bb.9784:                             ;   in Loop: Header=BB2_9597 Depth=3
	s_or_b64 exec, exec, s[28:29]
.LBB2_9785:                             ;   in Loop: Header=BB2_9597 Depth=3
	s_or_b64 exec, exec, s[38:39]
                                        ; implicit-def: $vgpr14
.LBB2_9786:                             ;   in Loop: Header=BB2_9597 Depth=3
	s_andn2_saveexec_b64 s[28:29], s[36:37]
; %bb.9787:                             ;   in Loop: Header=BB2_9597 Depth=3
	v_or_b32_e32 v41, 0x7b, v14
; %bb.9788:                             ;   in Loop: Header=BB2_9597 Depth=3
	s_or_b64 exec, exec, s[28:29]
                                        ; implicit-def: $vgpr2
.LBB2_9789:                             ;   in Loop: Header=BB2_9597 Depth=3
	s_andn2_saveexec_b64 s[28:29], s[34:35]
	s_cbranch_execz .LBB2_9795
; %bb.9790:                             ;   in Loop: Header=BB2_9597 Depth=3
	v_cmp_ne_u64_e32 vcc, 0, v[28:29]
                                        ; implicit-def: $vgpr41
	s_and_saveexec_b64 s[34:35], vcc
	s_xor_b64 vcc, exec, s[34:35]
; %bb.9791:                             ;   in Loop: Header=BB2_9597 Depth=3
	v_or_b32_sdwa v41, v2, s47 dst_sel:DWORD dst_unused:UNUSED_PAD src0_sel:BYTE_3 src1_sel:DWORD
                                        ; implicit-def: $vgpr2
; %bb.9792:                             ;   in Loop: Header=BB2_9597 Depth=3
	s_andn2_saveexec_b64 s[34:35], vcc
; %bb.9793:                             ;   in Loop: Header=BB2_9597 Depth=3
	v_cmp_lt_i32_e32 vcc, -1, v2
	v_cndmask_b32_e32 v41, -4, v22, vcc
; %bb.9794:                             ;   in Loop: Header=BB2_9597 Depth=3
	s_or_b64 exec, exec, s[34:35]
.LBB2_9795:                             ;   in Loop: Header=BB2_9597 Depth=3
	s_or_b64 exec, exec, s[28:29]
	flat_load_sbyte v2, v[8:9] offset:384 glc slc
	v_mov_b32_e32 v3, 0
	s_waitcnt vmcnt(0) lgkmcnt(0)
	v_cmp_ne_u16_e32 vcc, 0, v2
	s_and_saveexec_b64 s[28:29], vcc
	s_cbranch_execz .LBB2_9803
; %bb.9796:                             ;   in Loop: Header=BB2_9597 Depth=3
	v_cmp_ne_u16_e32 vcc, s97, v2
	v_bfrev_b32_e32 v3, 1
	s_and_saveexec_b64 s[34:35], vcc
	s_cbranch_execz .LBB2_9802
; %bb.9797:                             ;   in Loop: Header=BB2_9597 Depth=3
	v_and_b32_e32 v3, 0x7c, v2
	v_and_b32_e32 v4, 3, v2
	v_cmp_ne_u32_e32 vcc, s85, v3
                                        ; implicit-def: $vgpr3
	s_and_saveexec_b64 s[36:37], vcc
	s_xor_b64 s[36:37], exec, s[36:37]
	s_cbranch_execz .LBB2_9799
; %bb.9798:                             ;   in Loop: Header=BB2_9597 Depth=3
	v_and_b32_e32 v14, 0xff, v2
	v_bfe_u32 v16, v14, 2, 5
	v_ffbh_u32_e32 v14, v4
	v_min_u32_e32 v18, 32, v14
	v_mov_b32_e32 v3, v29
	v_subrev_u32_e32 v14, 29, v18
	v_lshlrev_b64 v[14:15], v14, v[2:3]
	v_sub_u32_e32 v3, 30, v18
	v_cmp_eq_u32_e32 vcc, 0, v16
	v_and_b32_e32 v14, 3, v14
	v_cndmask_b32_e32 v3, v16, v3, vcc
	v_and_b32_sdwa v2, sext(v2), s86 dst_sel:DWORD dst_unused:UNUSED_PAD src0_sel:WORD_0 src1_sel:DWORD
	v_cndmask_b32_e32 v4, v4, v14, vcc
	v_lshl_add_u32 v2, v3, 23, v2
	v_lshl_or_b32 v2, v4, 21, v2
	v_add_u32_e32 v3, 0x38000000, v2
                                        ; implicit-def: $vgpr4
                                        ; implicit-def: $vgpr2
.LBB2_9799:                             ;   in Loop: Header=BB2_9597 Depth=3
	s_andn2_saveexec_b64 s[36:37], s[36:37]
; %bb.9800:                             ;   in Loop: Header=BB2_9597 Depth=3
	v_cmp_lt_i16_e32 vcc, -1, v2
	v_cndmask_b32_e32 v2, v7, v0, vcc
	v_cmp_eq_u32_e32 vcc, 0, v4
	v_cndmask_b32_e32 v3, v35, v2, vcc
; %bb.9801:                             ;   in Loop: Header=BB2_9597 Depth=3
	s_or_b64 exec, exec, s[36:37]
.LBB2_9802:                             ;   in Loop: Header=BB2_9597 Depth=3
	s_or_b64 exec, exec, s[34:35]
.LBB2_9803:                             ;   in Loop: Header=BB2_9597 Depth=3
	s_or_b64 exec, exec, s[28:29]
	v_mul_f32_e32 v2, v5, v3
	v_and_b32_e32 v3, 0x7f800000, v2
	v_mov_b32_e32 v4, v29
	v_cmp_ne_u64_e32 vcc, s[76:77], v[3:4]
	v_and_b32_e32 v28, 0x7fffff, v2
                                        ; implicit-def: $vgpr54
	s_and_saveexec_b64 s[28:29], vcc
	s_xor_b64 s[34:35], exec, s[28:29]
	s_cbranch_execz .LBB2_9821
; %bb.9804:                             ;   in Loop: Header=BB2_9597 Depth=3
	v_and_b32_e32 v3, 0x7fffffff, v2
	v_mov_b32_e32 v4, v29
	v_cmp_gt_u64_e32 vcc, s[78:79], v[3:4]
	v_and_b32_sdwa v14, v2, s96 dst_sel:DWORD dst_unused:UNUSED_PAD src0_sel:BYTE_3 src1_sel:DWORD
                                        ; implicit-def: $vgpr54
	s_and_saveexec_b64 s[28:29], vcc
	s_xor_b64 s[36:37], exec, s[28:29]
	s_cbranch_execz .LBB2_9818
; %bb.9805:                             ;   in Loop: Header=BB2_9597 Depth=3
	v_cmp_ne_u32_e32 vcc, 0, v2
	v_mov_b32_e32 v54, 0
	s_and_saveexec_b64 s[38:39], vcc
	s_cbranch_execz .LBB2_9817
; %bb.9806:                             ;   in Loop: Header=BB2_9597 Depth=3
	v_bfe_u32 v15, v2, 23, 8
	v_cmp_gt_u32_e64 s[28:29], s46, v15
	v_sub_u32_e32 v2, 0x71, v15
	v_cmp_eq_u32_e32 vcc, 0, v15
	v_cndmask_b32_e64 v2, 0, v2, s[28:29]
	v_mov_b32_e32 v4, 0x70
	v_cndmask_b32_e32 v16, v2, v4, vcc
	v_add_u32_e32 v4, 21, v16
	v_or_b32_e32 v3, 0x800000, v28
	v_lshlrev_b64 v[30:31], v4, -1
	v_cndmask_b32_e32 v2, v3, v28, vcc
	v_mov_b32_e32 v3, v29
	v_add_u32_e32 v4, 20, v16
	v_bfi_b32 v30, v30, 0, v2
	v_lshlrev_b64 v[32:33], v4, 1
	v_lshrrev_b64 v[2:3], v16, v[2:3]
	v_bfi_b32 v31, v31, 0, 0
	v_cmp_eq_u64_e64 s[28:29], v[30:31], v[32:33]
	v_mov_b32_e32 v4, v3
	v_mov_b32_e32 v3, v2
	s_and_saveexec_b64 s[48:49], s[28:29]
; %bb.9807:                             ;   in Loop: Header=BB2_9597 Depth=3
	v_bfe_u32 v3, v2, 21, 1
	v_add_co_u32_e64 v3, s[28:29], v2, v3
	v_add_co_u32_e64 v3, s[28:29], -1, v3
; %bb.9808:                             ;   in Loop: Header=BB2_9597 Depth=3
	s_or_b64 exec, exec, s[48:49]
	v_add_u32_e32 v4, 0xffffff81, v15
	v_cndmask_b32_e32 v4, v4, v1, vcc
	v_lshrrev_b32_e32 v15, 23, v2
	v_add3_u32 v16, v16, v4, v15
	v_add_u32_e32 v15, 14, v16
	v_and_b32_e32 v3, 0x1fffff, v3
	v_add_u32_e32 v28, v3, v2
	v_cmp_ne_u32_e32 vcc, 0, v15
                                        ; implicit-def: $vgpr2_vgpr3
                                        ; implicit-def: $vgpr4
	s_and_saveexec_b64 s[28:29], vcc
	s_xor_b64 s[28:29], exec, s[28:29]
; %bb.9809:                             ;   in Loop: Header=BB2_9597 Depth=3
	v_cmp_lt_u64_e32 vcc, s[88:89], v[28:29]
	v_add_u32_e32 v2, 15, v16
	v_cndmask_b32_e32 v4, v15, v2, vcc
	v_cndmask_b32_e64 v2, 0, 1, vcc
	v_lshrrev_b64 v[2:3], v2, v[28:29]
; %bb.9810:                             ;   in Loop: Header=BB2_9597 Depth=3
	s_andn2_saveexec_b64 s[28:29], s[28:29]
; %bb.9811:                             ;   in Loop: Header=BB2_9597 Depth=3
	v_mov_b32_e32 v2, v28
	v_mov_b32_e32 v3, v29
	v_bfe_u32 v4, v28, 23, 1
; %bb.9812:                             ;   in Loop: Header=BB2_9597 Depth=3
	s_or_b64 exec, exec, s[28:29]
	v_lshrrev_b64 v[2:3], 21, v[2:3]
	v_cmp_gt_i32_e32 vcc, 32, v4
	v_cndmask_b32_e32 v3, 0, v3, vcc
	v_cndmask_b32_e32 v2, 3, v2, vcc
	v_cmp_ne_u64_e32 vcc, 0, v[2:3]
	v_cmp_ne_u32_e64 s[28:29], 0, v4
	s_or_b64 s[28:29], s[28:29], vcc
                                        ; implicit-def: $vgpr54
	s_and_saveexec_b64 vcc, s[28:29]
	s_xor_b64 s[28:29], exec, vcc
; %bb.9813:                             ;   in Loop: Header=BB2_9597 Depth=3
	v_min_i32_e32 v3, 31, v4
	v_lshl_or_b32 v3, v3, 2, v14
	v_and_or_b32 v54, v2, 3, v3
                                        ; implicit-def: $vgpr14
; %bb.9814:                             ;   in Loop: Header=BB2_9597 Depth=3
	s_andn2_saveexec_b64 s[28:29], s[28:29]
; %bb.9815:                             ;   in Loop: Header=BB2_9597 Depth=3
	v_mov_b32_e32 v54, v14
; %bb.9816:                             ;   in Loop: Header=BB2_9597 Depth=3
	s_or_b64 exec, exec, s[28:29]
.LBB2_9817:                             ;   in Loop: Header=BB2_9597 Depth=3
	s_or_b64 exec, exec, s[38:39]
                                        ; implicit-def: $vgpr14
.LBB2_9818:                             ;   in Loop: Header=BB2_9597 Depth=3
	s_andn2_saveexec_b64 s[28:29], s[36:37]
; %bb.9819:                             ;   in Loop: Header=BB2_9597 Depth=3
	v_or_b32_e32 v54, 0x7b, v14
; %bb.9820:                             ;   in Loop: Header=BB2_9597 Depth=3
	s_or_b64 exec, exec, s[28:29]
                                        ; implicit-def: $vgpr2
.LBB2_9821:                             ;   in Loop: Header=BB2_9597 Depth=3
	s_andn2_saveexec_b64 s[28:29], s[34:35]
	s_cbranch_execz .LBB2_9827
; %bb.9822:                             ;   in Loop: Header=BB2_9597 Depth=3
	v_cmp_ne_u64_e32 vcc, 0, v[28:29]
                                        ; implicit-def: $vgpr54
	s_and_saveexec_b64 s[34:35], vcc
	s_xor_b64 vcc, exec, s[34:35]
; %bb.9823:                             ;   in Loop: Header=BB2_9597 Depth=3
	v_or_b32_sdwa v54, v2, s47 dst_sel:DWORD dst_unused:UNUSED_PAD src0_sel:BYTE_3 src1_sel:DWORD
                                        ; implicit-def: $vgpr2
; %bb.9824:                             ;   in Loop: Header=BB2_9597 Depth=3
	s_andn2_saveexec_b64 s[34:35], vcc
; %bb.9825:                             ;   in Loop: Header=BB2_9597 Depth=3
	v_cmp_lt_i32_e32 vcc, -1, v2
	v_cndmask_b32_e32 v54, -4, v22, vcc
; %bb.9826:                             ;   in Loop: Header=BB2_9597 Depth=3
	s_or_b64 exec, exec, s[34:35]
.LBB2_9827:                             ;   in Loop: Header=BB2_9597 Depth=3
	s_or_b64 exec, exec, s[28:29]
	flat_load_sbyte v2, v[8:9] offset:448 glc slc
	v_mov_b32_e32 v3, 0
	s_waitcnt vmcnt(0) lgkmcnt(0)
	v_cmp_ne_u16_e32 vcc, 0, v2
	s_and_saveexec_b64 s[28:29], vcc
	s_cbranch_execz .LBB2_9835
; %bb.9828:                             ;   in Loop: Header=BB2_9597 Depth=3
	v_cmp_ne_u16_e32 vcc, s97, v2
	v_bfrev_b32_e32 v3, 1
	s_and_saveexec_b64 s[34:35], vcc
	s_cbranch_execz .LBB2_9834
; %bb.9829:                             ;   in Loop: Header=BB2_9597 Depth=3
	v_and_b32_e32 v3, 0x7c, v2
	v_and_b32_e32 v4, 3, v2
	v_cmp_ne_u32_e32 vcc, s85, v3
                                        ; implicit-def: $vgpr3
	s_and_saveexec_b64 s[36:37], vcc
	s_xor_b64 s[36:37], exec, s[36:37]
	s_cbranch_execz .LBB2_9831
; %bb.9830:                             ;   in Loop: Header=BB2_9597 Depth=3
	v_and_b32_e32 v14, 0xff, v2
	v_bfe_u32 v16, v14, 2, 5
	v_ffbh_u32_e32 v14, v4
	v_min_u32_e32 v18, 32, v14
	v_mov_b32_e32 v3, v29
	v_subrev_u32_e32 v14, 29, v18
	v_lshlrev_b64 v[14:15], v14, v[2:3]
	v_sub_u32_e32 v3, 30, v18
	v_cmp_eq_u32_e32 vcc, 0, v16
	v_and_b32_e32 v14, 3, v14
	v_cndmask_b32_e32 v3, v16, v3, vcc
	v_and_b32_sdwa v2, sext(v2), s86 dst_sel:DWORD dst_unused:UNUSED_PAD src0_sel:WORD_0 src1_sel:DWORD
	v_cndmask_b32_e32 v4, v4, v14, vcc
	v_lshl_add_u32 v2, v3, 23, v2
	v_lshl_or_b32 v2, v4, 21, v2
	v_add_u32_e32 v3, 0x38000000, v2
                                        ; implicit-def: $vgpr4
                                        ; implicit-def: $vgpr2
.LBB2_9831:                             ;   in Loop: Header=BB2_9597 Depth=3
	s_andn2_saveexec_b64 s[36:37], s[36:37]
; %bb.9832:                             ;   in Loop: Header=BB2_9597 Depth=3
	v_cmp_lt_i16_e32 vcc, -1, v2
	v_cndmask_b32_e32 v2, v7, v0, vcc
	v_cmp_eq_u32_e32 vcc, 0, v4
	v_cndmask_b32_e32 v3, v35, v2, vcc
; %bb.9833:                             ;   in Loop: Header=BB2_9597 Depth=3
	s_or_b64 exec, exec, s[36:37]
.LBB2_9834:                             ;   in Loop: Header=BB2_9597 Depth=3
	s_or_b64 exec, exec, s[34:35]
.LBB2_9835:                             ;   in Loop: Header=BB2_9597 Depth=3
	s_or_b64 exec, exec, s[28:29]
	v_mul_f32_e32 v2, v5, v3
	v_and_b32_e32 v3, 0x7f800000, v2
	v_mov_b32_e32 v4, v29
	v_cmp_ne_u64_e32 vcc, s[76:77], v[3:4]
	v_and_b32_e32 v28, 0x7fffff, v2
                                        ; implicit-def: $vgpr53
	s_and_saveexec_b64 s[28:29], vcc
	s_xor_b64 s[34:35], exec, s[28:29]
	s_cbranch_execz .LBB2_9853
; %bb.9836:                             ;   in Loop: Header=BB2_9597 Depth=3
	v_and_b32_e32 v3, 0x7fffffff, v2
	v_mov_b32_e32 v4, v29
	v_cmp_gt_u64_e32 vcc, s[78:79], v[3:4]
	v_and_b32_sdwa v5, v2, s96 dst_sel:DWORD dst_unused:UNUSED_PAD src0_sel:BYTE_3 src1_sel:DWORD
                                        ; implicit-def: $vgpr53
	s_and_saveexec_b64 s[28:29], vcc
	s_xor_b64 s[36:37], exec, s[28:29]
	s_cbranch_execz .LBB2_9850
; %bb.9837:                             ;   in Loop: Header=BB2_9597 Depth=3
	v_cmp_ne_u32_e32 vcc, 0, v2
	v_mov_b32_e32 v53, 0
	s_and_saveexec_b64 s[38:39], vcc
	s_cbranch_execz .LBB2_9849
; %bb.9838:                             ;   in Loop: Header=BB2_9597 Depth=3
	v_bfe_u32 v14, v2, 23, 8
	v_cmp_gt_u32_e64 s[28:29], s46, v14
	v_sub_u32_e32 v2, 0x71, v14
	v_cmp_eq_u32_e32 vcc, 0, v14
	v_cndmask_b32_e64 v2, 0, v2, s[28:29]
	v_mov_b32_e32 v4, 0x70
	v_cndmask_b32_e32 v15, v2, v4, vcc
	v_add_u32_e32 v4, 21, v15
	v_or_b32_e32 v3, 0x800000, v28
	v_lshlrev_b64 v[30:31], v4, -1
	v_cndmask_b32_e32 v2, v3, v28, vcc
	v_mov_b32_e32 v3, v29
	v_add_u32_e32 v4, 20, v15
	v_bfi_b32 v30, v30, 0, v2
	v_lshlrev_b64 v[32:33], v4, 1
	v_lshrrev_b64 v[2:3], v15, v[2:3]
	v_bfi_b32 v31, v31, 0, 0
	v_cmp_eq_u64_e64 s[28:29], v[30:31], v[32:33]
	v_mov_b32_e32 v4, v3
	v_mov_b32_e32 v3, v2
	s_and_saveexec_b64 s[48:49], s[28:29]
; %bb.9839:                             ;   in Loop: Header=BB2_9597 Depth=3
	v_bfe_u32 v3, v2, 21, 1
	v_add_co_u32_e64 v3, s[28:29], v2, v3
	v_add_co_u32_e64 v3, s[28:29], -1, v3
; %bb.9840:                             ;   in Loop: Header=BB2_9597 Depth=3
	s_or_b64 exec, exec, s[48:49]
	v_add_u32_e32 v4, 0xffffff81, v14
	v_cndmask_b32_e32 v4, v4, v1, vcc
	v_lshrrev_b32_e32 v14, 23, v2
	v_add3_u32 v15, v15, v4, v14
	v_add_u32_e32 v14, 14, v15
	v_and_b32_e32 v3, 0x1fffff, v3
	v_add_u32_e32 v28, v3, v2
	v_cmp_ne_u32_e32 vcc, 0, v14
                                        ; implicit-def: $vgpr2_vgpr3
                                        ; implicit-def: $vgpr4
	s_and_saveexec_b64 s[28:29], vcc
	s_xor_b64 s[28:29], exec, s[28:29]
; %bb.9841:                             ;   in Loop: Header=BB2_9597 Depth=3
	v_cmp_lt_u64_e32 vcc, s[88:89], v[28:29]
	v_add_u32_e32 v2, 15, v15
	v_cndmask_b32_e32 v4, v14, v2, vcc
	v_cndmask_b32_e64 v2, 0, 1, vcc
	v_lshrrev_b64 v[2:3], v2, v[28:29]
; %bb.9842:                             ;   in Loop: Header=BB2_9597 Depth=3
	s_andn2_saveexec_b64 s[28:29], s[28:29]
; %bb.9843:                             ;   in Loop: Header=BB2_9597 Depth=3
	v_mov_b32_e32 v2, v28
	v_mov_b32_e32 v3, v29
	v_bfe_u32 v4, v28, 23, 1
; %bb.9844:                             ;   in Loop: Header=BB2_9597 Depth=3
	s_or_b64 exec, exec, s[28:29]
	v_lshrrev_b64 v[2:3], 21, v[2:3]
	v_cmp_gt_i32_e32 vcc, 32, v4
	v_cndmask_b32_e32 v3, 0, v3, vcc
	v_cndmask_b32_e32 v2, 3, v2, vcc
	v_cmp_ne_u64_e32 vcc, 0, v[2:3]
	v_cmp_ne_u32_e64 s[28:29], 0, v4
	s_or_b64 s[28:29], s[28:29], vcc
                                        ; implicit-def: $vgpr53
	s_and_saveexec_b64 vcc, s[28:29]
	s_xor_b64 s[28:29], exec, vcc
; %bb.9845:                             ;   in Loop: Header=BB2_9597 Depth=3
	v_min_i32_e32 v3, 31, v4
	v_lshl_or_b32 v3, v3, 2, v5
	v_and_or_b32 v53, v2, 3, v3
                                        ; implicit-def: $vgpr5
; %bb.9846:                             ;   in Loop: Header=BB2_9597 Depth=3
	s_andn2_saveexec_b64 s[28:29], s[28:29]
; %bb.9847:                             ;   in Loop: Header=BB2_9597 Depth=3
	v_mov_b32_e32 v53, v5
; %bb.9848:                             ;   in Loop: Header=BB2_9597 Depth=3
	s_or_b64 exec, exec, s[28:29]
.LBB2_9849:                             ;   in Loop: Header=BB2_9597 Depth=3
	s_or_b64 exec, exec, s[38:39]
                                        ; implicit-def: $vgpr5
.LBB2_9850:                             ;   in Loop: Header=BB2_9597 Depth=3
	s_andn2_saveexec_b64 s[28:29], s[36:37]
; %bb.9851:                             ;   in Loop: Header=BB2_9597 Depth=3
	v_or_b32_e32 v53, 0x7b, v5
; %bb.9852:                             ;   in Loop: Header=BB2_9597 Depth=3
	s_or_b64 exec, exec, s[28:29]
                                        ; implicit-def: $vgpr2
.LBB2_9853:                             ;   in Loop: Header=BB2_9597 Depth=3
	s_andn2_saveexec_b64 s[28:29], s[34:35]
	s_cbranch_execz .LBB2_9859
; %bb.9854:                             ;   in Loop: Header=BB2_9597 Depth=3
	v_cmp_ne_u64_e32 vcc, 0, v[28:29]
                                        ; implicit-def: $vgpr53
	s_and_saveexec_b64 s[34:35], vcc
	s_xor_b64 vcc, exec, s[34:35]
; %bb.9855:                             ;   in Loop: Header=BB2_9597 Depth=3
	v_or_b32_sdwa v53, v2, s47 dst_sel:DWORD dst_unused:UNUSED_PAD src0_sel:BYTE_3 src1_sel:DWORD
                                        ; implicit-def: $vgpr2
; %bb.9856:                             ;   in Loop: Header=BB2_9597 Depth=3
	s_andn2_saveexec_b64 s[34:35], vcc
; %bb.9857:                             ;   in Loop: Header=BB2_9597 Depth=3
	v_cmp_lt_i32_e32 vcc, -1, v2
	v_cndmask_b32_e32 v53, -4, v22, vcc
; %bb.9858:                             ;   in Loop: Header=BB2_9597 Depth=3
	s_or_b64 exec, exec, s[34:35]
.LBB2_9859:                             ;   in Loop: Header=BB2_9597 Depth=3
	s_or_b64 exec, exec, s[28:29]
	flat_load_sbyte v2, v[10:11] glc slc
	flat_load_sbyte v4, v[10:11] offset:64 glc slc
	flat_load_sbyte v32, v[10:11] offset:128 glc slc
	;; [unrolled: 1-line block ×7, first 2 shown]
	v_and_b32_e32 v28, 0xff, v17
	v_cmp_ne_u16_e32 vcc, 0, v28
	v_mov_b32_e32 v3, 0
	v_mov_b32_e32 v5, 0
	s_and_saveexec_b64 s[28:29], vcc
	s_cbranch_execz .LBB2_9867
; %bb.9860:                             ;   in Loop: Header=BB2_9597 Depth=3
	v_cmp_ne_u16_e32 vcc, s96, v28
	v_bfrev_b32_e32 v5, 1
	s_and_saveexec_b64 s[34:35], vcc
	s_cbranch_execz .LBB2_9866
; %bb.9861:                             ;   in Loop: Header=BB2_9597 Depth=3
	v_and_b32_e32 v5, 0x7c, v17
	v_and_b32_e32 v15, 3, v17
	v_cmp_ne_u32_e32 vcc, s85, v5
                                        ; implicit-def: $vgpr5
	s_and_saveexec_b64 s[36:37], vcc
	s_xor_b64 s[36:37], exec, s[36:37]
	s_cbranch_execz .LBB2_9863
; %bb.9862:                             ;   in Loop: Header=BB2_9597 Depth=3
	v_bfe_u32 v5, v28, 2, 5
	v_ffbh_u32_e32 v28, v15
	v_min_u32_e32 v28, 32, v28
	v_mov_b32_e32 v18, v29
	v_subrev_u32_e32 v33, 29, v28
	v_lshlrev_b64 v[38:39], v33, v[17:18]
	v_sub_u32_e32 v18, 30, v28
	v_cmp_eq_u32_e32 vcc, 0, v5
	v_lshlrev_b32_e32 v17, 24, v17
	v_and_b32_e32 v28, 3, v38
	v_cndmask_b32_e32 v5, v5, v18, vcc
	v_and_b32_e32 v17, 0x80000000, v17
	v_cndmask_b32_e32 v15, v15, v28, vcc
	v_lshl_add_u32 v5, v5, 23, v17
	v_lshl_or_b32 v5, v15, 21, v5
	v_add_u32_e32 v5, 0x38000000, v5
                                        ; implicit-def: $vgpr15
                                        ; implicit-def: $vgpr17
.LBB2_9863:                             ;   in Loop: Header=BB2_9597 Depth=3
	s_andn2_saveexec_b64 s[36:37], s[36:37]
; %bb.9864:                             ;   in Loop: Header=BB2_9597 Depth=3
	v_cmp_gt_i16_sdwa vcc, sext(v17), v48 src0_sel:BYTE_0 src1_sel:DWORD
	v_cndmask_b32_e32 v5, v7, v0, vcc
	v_cmp_eq_u32_e32 vcc, 0, v15
	v_cndmask_b32_e32 v5, v35, v5, vcc
; %bb.9865:                             ;   in Loop: Header=BB2_9597 Depth=3
	s_or_b64 exec, exec, s[36:37]
.LBB2_9866:                             ;   in Loop: Header=BB2_9597 Depth=3
	s_or_b64 exec, exec, s[34:35]
.LBB2_9867:                             ;   in Loop: Header=BB2_9597 Depth=3
	s_or_b64 exec, exec, s[28:29]
	s_waitcnt vmcnt(0) lgkmcnt(0)
	v_cmp_ne_u16_e32 vcc, 0, v2
	s_and_saveexec_b64 s[28:29], vcc
	s_cbranch_execz .LBB2_9875
; %bb.9868:                             ;   in Loop: Header=BB2_9597 Depth=3
	v_cmp_ne_u16_e32 vcc, s97, v2
	v_bfrev_b32_e32 v3, 1
	s_and_saveexec_b64 s[34:35], vcc
	s_cbranch_execz .LBB2_9874
; %bb.9869:                             ;   in Loop: Header=BB2_9597 Depth=3
	v_and_b32_e32 v3, 0x7c, v2
	v_and_b32_e32 v15, 3, v2
	v_cmp_ne_u32_e32 vcc, s85, v3
                                        ; implicit-def: $vgpr3
	s_and_saveexec_b64 s[36:37], vcc
	s_xor_b64 s[36:37], exec, s[36:37]
	s_cbranch_execz .LBB2_9871
; %bb.9870:                             ;   in Loop: Header=BB2_9597 Depth=3
	v_and_b32_e32 v17, 0xff, v2
	v_bfe_u32 v28, v17, 2, 5
	v_ffbh_u32_e32 v17, v15
	v_min_u32_e32 v33, 32, v17
	v_mov_b32_e32 v3, v29
	v_subrev_u32_e32 v17, 29, v33
	v_lshlrev_b64 v[17:18], v17, v[2:3]
	v_sub_u32_e32 v3, 30, v33
	v_cmp_eq_u32_e32 vcc, 0, v28
	v_and_b32_e32 v17, 3, v17
	v_cndmask_b32_e32 v3, v28, v3, vcc
	v_and_b32_sdwa v2, sext(v2), s86 dst_sel:DWORD dst_unused:UNUSED_PAD src0_sel:WORD_0 src1_sel:DWORD
	v_cndmask_b32_e32 v15, v15, v17, vcc
	v_lshl_add_u32 v2, v3, 23, v2
	v_lshl_or_b32 v2, v15, 21, v2
	v_add_u32_e32 v3, 0x38000000, v2
                                        ; implicit-def: $vgpr15
                                        ; implicit-def: $vgpr2
.LBB2_9871:                             ;   in Loop: Header=BB2_9597 Depth=3
	s_andn2_saveexec_b64 s[36:37], s[36:37]
; %bb.9872:                             ;   in Loop: Header=BB2_9597 Depth=3
	v_cmp_lt_i16_e32 vcc, -1, v2
	v_cndmask_b32_e32 v2, v7, v0, vcc
	v_cmp_eq_u32_e32 vcc, 0, v15
	v_cndmask_b32_e32 v3, v35, v2, vcc
; %bb.9873:                             ;   in Loop: Header=BB2_9597 Depth=3
	s_or_b64 exec, exec, s[36:37]
.LBB2_9874:                             ;   in Loop: Header=BB2_9597 Depth=3
	s_or_b64 exec, exec, s[34:35]
.LBB2_9875:                             ;   in Loop: Header=BB2_9597 Depth=3
	s_or_b64 exec, exec, s[28:29]
	v_add_f32_e32 v2, v5, v3
	v_and_b32_e32 v17, 0x7f800000, v2
	v_mov_b32_e32 v18, v29
	v_cmp_ne_u64_e32 vcc, s[76:77], v[17:18]
	v_and_b32_e32 v28, 0x7fffff, v2
                                        ; implicit-def: $vgpr18
	s_and_saveexec_b64 s[28:29], vcc
	s_xor_b64 s[34:35], exec, s[28:29]
	s_cbranch_execz .LBB2_9893
; %bb.9876:                             ;   in Loop: Header=BB2_9597 Depth=3
	v_and_b32_e32 v17, 0x7fffffff, v2
	v_mov_b32_e32 v18, v29
	v_cmp_gt_u64_e32 vcc, s[78:79], v[17:18]
	v_and_b32_sdwa v5, v2, s96 dst_sel:DWORD dst_unused:UNUSED_PAD src0_sel:BYTE_3 src1_sel:DWORD
                                        ; implicit-def: $vgpr18
	s_and_saveexec_b64 s[28:29], vcc
	s_xor_b64 s[36:37], exec, s[28:29]
	s_cbranch_execz .LBB2_9890
; %bb.9877:                             ;   in Loop: Header=BB2_9597 Depth=3
	v_cmp_ne_u32_e32 vcc, 0, v2
	v_mov_b32_e32 v18, 0
	s_and_saveexec_b64 s[38:39], vcc
	s_cbranch_execz .LBB2_9889
; %bb.9878:                             ;   in Loop: Header=BB2_9597 Depth=3
	v_bfe_u32 v15, v2, 23, 8
	v_cmp_gt_u32_e64 s[28:29], s46, v15
	v_sub_u32_e32 v2, 0x71, v15
	v_cmp_eq_u32_e32 vcc, 0, v15
	v_cndmask_b32_e64 v2, 0, v2, s[28:29]
	v_mov_b32_e32 v17, 0x70
	v_cndmask_b32_e32 v33, v2, v17, vcc
	v_add_u32_e32 v17, 21, v33
	v_or_b32_e32 v3, 0x800000, v28
	v_lshlrev_b64 v[17:18], v17, -1
	v_cndmask_b32_e32 v2, v3, v28, vcc
	v_mov_b32_e32 v3, v29
	v_add_u32_e32 v28, 20, v33
	v_bfi_b32 v17, v17, 0, v2
	v_lshlrev_b64 v[38:39], v28, 1
	v_lshrrev_b64 v[2:3], v33, v[2:3]
	v_bfi_b32 v18, v18, 0, 0
	v_cmp_eq_u64_e64 s[28:29], v[17:18], v[38:39]
	v_mov_b32_e32 v18, v3
	v_mov_b32_e32 v17, v2
	s_and_saveexec_b64 s[48:49], s[28:29]
; %bb.9879:                             ;   in Loop: Header=BB2_9597 Depth=3
	v_bfe_u32 v3, v2, 21, 1
	v_add_co_u32_e64 v3, s[28:29], v2, v3
	v_add_co_u32_e64 v17, s[28:29], -1, v3
; %bb.9880:                             ;   in Loop: Header=BB2_9597 Depth=3
	s_or_b64 exec, exec, s[48:49]
	v_add_u32_e32 v3, 0xffffff81, v15
	v_cndmask_b32_e32 v3, v3, v1, vcc
	v_lshrrev_b32_e32 v15, 23, v2
	v_add3_u32 v33, v33, v3, v15
	v_add_u32_e32 v18, 14, v33
	v_and_b32_e32 v3, 0x1fffff, v17
	v_add_u32_e32 v28, v3, v2
	v_cmp_ne_u32_e32 vcc, 0, v18
                                        ; implicit-def: $vgpr2_vgpr3
                                        ; implicit-def: $vgpr15
	s_and_saveexec_b64 s[28:29], vcc
	s_xor_b64 s[28:29], exec, s[28:29]
; %bb.9881:                             ;   in Loop: Header=BB2_9597 Depth=3
	v_cmp_lt_u64_e32 vcc, s[88:89], v[28:29]
	v_add_u32_e32 v2, 15, v33
	v_cndmask_b32_e32 v15, v18, v2, vcc
	v_cndmask_b32_e64 v2, 0, 1, vcc
	v_lshrrev_b64 v[2:3], v2, v[28:29]
; %bb.9882:                             ;   in Loop: Header=BB2_9597 Depth=3
	s_andn2_saveexec_b64 s[28:29], s[28:29]
; %bb.9883:                             ;   in Loop: Header=BB2_9597 Depth=3
	v_mov_b32_e32 v2, v28
	v_mov_b32_e32 v3, v29
	v_bfe_u32 v15, v28, 23, 1
; %bb.9884:                             ;   in Loop: Header=BB2_9597 Depth=3
	s_or_b64 exec, exec, s[28:29]
	v_lshrrev_b64 v[2:3], 21, v[2:3]
	v_cmp_gt_i32_e32 vcc, 32, v15
	v_cndmask_b32_e32 v3, 0, v3, vcc
	v_cndmask_b32_e32 v2, 3, v2, vcc
	v_cmp_ne_u64_e32 vcc, 0, v[2:3]
	v_cmp_ne_u32_e64 s[28:29], 0, v15
	s_or_b64 s[28:29], s[28:29], vcc
                                        ; implicit-def: $vgpr18
	s_and_saveexec_b64 vcc, s[28:29]
	s_xor_b64 s[28:29], exec, vcc
; %bb.9885:                             ;   in Loop: Header=BB2_9597 Depth=3
	v_min_i32_e32 v3, 31, v15
	v_lshl_or_b32 v3, v3, 2, v5
	v_and_or_b32 v18, v2, 3, v3
                                        ; implicit-def: $vgpr5
; %bb.9886:                             ;   in Loop: Header=BB2_9597 Depth=3
	s_andn2_saveexec_b64 s[28:29], s[28:29]
; %bb.9887:                             ;   in Loop: Header=BB2_9597 Depth=3
	v_mov_b32_e32 v18, v5
; %bb.9888:                             ;   in Loop: Header=BB2_9597 Depth=3
	s_or_b64 exec, exec, s[28:29]
.LBB2_9889:                             ;   in Loop: Header=BB2_9597 Depth=3
	s_or_b64 exec, exec, s[38:39]
                                        ; implicit-def: $vgpr5
.LBB2_9890:                             ;   in Loop: Header=BB2_9597 Depth=3
	s_andn2_saveexec_b64 s[28:29], s[36:37]
; %bb.9891:                             ;   in Loop: Header=BB2_9597 Depth=3
	v_or_b32_e32 v18, 0x7b, v5
; %bb.9892:                             ;   in Loop: Header=BB2_9597 Depth=3
	s_or_b64 exec, exec, s[28:29]
                                        ; implicit-def: $vgpr2
.LBB2_9893:                             ;   in Loop: Header=BB2_9597 Depth=3
	s_andn2_saveexec_b64 s[28:29], s[34:35]
	s_cbranch_execz .LBB2_9899
; %bb.9894:                             ;   in Loop: Header=BB2_9597 Depth=3
	v_cmp_ne_u64_e32 vcc, 0, v[28:29]
                                        ; implicit-def: $vgpr18
	s_and_saveexec_b64 s[34:35], vcc
	s_xor_b64 vcc, exec, s[34:35]
; %bb.9895:                             ;   in Loop: Header=BB2_9597 Depth=3
	v_or_b32_sdwa v18, v2, s47 dst_sel:DWORD dst_unused:UNUSED_PAD src0_sel:BYTE_3 src1_sel:DWORD
                                        ; implicit-def: $vgpr2
; %bb.9896:                             ;   in Loop: Header=BB2_9597 Depth=3
	s_andn2_saveexec_b64 s[34:35], vcc
; %bb.9897:                             ;   in Loop: Header=BB2_9597 Depth=3
	v_cmp_lt_i32_e32 vcc, -1, v2
	v_cndmask_b32_e32 v18, -4, v22, vcc
; %bb.9898:                             ;   in Loop: Header=BB2_9597 Depth=3
	s_or_b64 exec, exec, s[34:35]
.LBB2_9899:                             ;   in Loop: Header=BB2_9597 Depth=3
	s_or_b64 exec, exec, s[28:29]
	v_and_b32_e32 v15, 0xff, v45
	v_cmp_ne_u16_e32 vcc, 0, v15
	v_mov_b32_e32 v2, 0
	v_mov_b32_e32 v3, 0
	s_and_saveexec_b64 s[28:29], vcc
	s_cbranch_execz .LBB2_9907
; %bb.9900:                             ;   in Loop: Header=BB2_9597 Depth=3
	v_cmp_ne_u16_e32 vcc, s96, v15
	v_bfrev_b32_e32 v3, 1
	s_and_saveexec_b64 s[34:35], vcc
	s_cbranch_execz .LBB2_9906
; %bb.9901:                             ;   in Loop: Header=BB2_9597 Depth=3
	v_and_b32_e32 v3, 0x7c, v45
	v_and_b32_e32 v5, 3, v45
	v_cmp_ne_u32_e32 vcc, s85, v3
                                        ; implicit-def: $vgpr3
	s_and_saveexec_b64 s[36:37], vcc
	s_xor_b64 s[36:37], exec, s[36:37]
	s_cbranch_execz .LBB2_9903
; %bb.9902:                             ;   in Loop: Header=BB2_9597 Depth=3
	v_bfe_u32 v3, v15, 2, 5
	v_ffbh_u32_e32 v15, v5
	v_min_u32_e32 v15, 32, v15
	v_mov_b32_e32 v46, v29
	v_subrev_u32_e32 v17, 29, v15
	v_lshlrev_b64 v[38:39], v17, v[45:46]
	v_sub_u32_e32 v15, 30, v15
	v_cmp_eq_u32_e32 vcc, 0, v3
	v_cndmask_b32_e32 v3, v3, v15, vcc
	v_lshlrev_b32_e32 v15, 24, v45
	v_and_b32_e32 v17, 3, v38
	v_and_b32_e32 v15, 0x80000000, v15
	v_cndmask_b32_e32 v5, v5, v17, vcc
	v_lshl_add_u32 v3, v3, 23, v15
	v_lshl_or_b32 v3, v5, 21, v3
	v_add_u32_e32 v3, 0x38000000, v3
                                        ; implicit-def: $vgpr5
                                        ; implicit-def: $vgpr45
.LBB2_9903:                             ;   in Loop: Header=BB2_9597 Depth=3
	s_andn2_saveexec_b64 s[36:37], s[36:37]
; %bb.9904:                             ;   in Loop: Header=BB2_9597 Depth=3
	v_cmp_gt_i16_sdwa vcc, sext(v45), v48 src0_sel:BYTE_0 src1_sel:DWORD
	v_cndmask_b32_e32 v3, v7, v0, vcc
	v_cmp_eq_u32_e32 vcc, 0, v5
	v_cndmask_b32_e32 v3, v35, v3, vcc
; %bb.9905:                             ;   in Loop: Header=BB2_9597 Depth=3
	s_or_b64 exec, exec, s[36:37]
.LBB2_9906:                             ;   in Loop: Header=BB2_9597 Depth=3
	s_or_b64 exec, exec, s[34:35]
.LBB2_9907:                             ;   in Loop: Header=BB2_9597 Depth=3
	s_or_b64 exec, exec, s[28:29]
	v_cmp_ne_u16_e32 vcc, 0, v4
	s_and_saveexec_b64 s[28:29], vcc
	s_cbranch_execz .LBB2_9915
; %bb.9908:                             ;   in Loop: Header=BB2_9597 Depth=3
	v_cmp_ne_u16_e32 vcc, s97, v4
	v_bfrev_b32_e32 v2, 1
	s_and_saveexec_b64 s[34:35], vcc
	s_cbranch_execz .LBB2_9914
; %bb.9909:                             ;   in Loop: Header=BB2_9597 Depth=3
	v_and_b32_e32 v2, 0x7c, v4
	v_and_b32_e32 v15, 3, v4
	v_cmp_ne_u32_e32 vcc, s85, v2
                                        ; implicit-def: $vgpr2
	s_and_saveexec_b64 s[36:37], vcc
	s_xor_b64 s[36:37], exec, s[36:37]
	s_cbranch_execz .LBB2_9911
; %bb.9910:                             ;   in Loop: Header=BB2_9597 Depth=3
	v_ffbh_u32_e32 v17, v15
	v_min_u32_e32 v17, 32, v17
	v_and_b32_e32 v2, 0xff, v4
	v_mov_b32_e32 v5, v29
	v_subrev_u32_e32 v28, 29, v17
	v_bfe_u32 v2, v2, 2, 5
	v_lshlrev_b64 v[38:39], v28, v[4:5]
	v_sub_u32_e32 v5, 30, v17
	v_cmp_eq_u32_e32 vcc, 0, v2
	v_and_b32_e32 v17, 3, v38
	v_cndmask_b32_e32 v2, v2, v5, vcc
	v_and_b32_sdwa v4, sext(v4), s86 dst_sel:DWORD dst_unused:UNUSED_PAD src0_sel:WORD_0 src1_sel:DWORD
	v_cndmask_b32_e32 v5, v15, v17, vcc
	v_lshl_add_u32 v2, v2, 23, v4
	v_lshl_or_b32 v2, v5, 21, v2
	v_add_u32_e32 v2, 0x38000000, v2
                                        ; implicit-def: $vgpr15
                                        ; implicit-def: $vgpr4
.LBB2_9911:                             ;   in Loop: Header=BB2_9597 Depth=3
	s_andn2_saveexec_b64 s[36:37], s[36:37]
; %bb.9912:                             ;   in Loop: Header=BB2_9597 Depth=3
	v_cmp_lt_i16_e32 vcc, -1, v4
	v_cndmask_b32_e32 v2, v7, v0, vcc
	v_cmp_eq_u32_e32 vcc, 0, v15
	v_cndmask_b32_e32 v2, v35, v2, vcc
; %bb.9913:                             ;   in Loop: Header=BB2_9597 Depth=3
	s_or_b64 exec, exec, s[36:37]
.LBB2_9914:                             ;   in Loop: Header=BB2_9597 Depth=3
	s_or_b64 exec, exec, s[34:35]
.LBB2_9915:                             ;   in Loop: Header=BB2_9597 Depth=3
	s_or_b64 exec, exec, s[28:29]
	v_add_f32_e32 v2, v3, v2
	v_and_b32_e32 v3, 0x7f800000, v2
	v_mov_b32_e32 v4, v29
	v_cmp_ne_u64_e32 vcc, s[76:77], v[3:4]
	v_and_b32_e32 v28, 0x7fffff, v2
                                        ; implicit-def: $vgpr5
	s_and_saveexec_b64 s[28:29], vcc
	s_xor_b64 s[34:35], exec, s[28:29]
	s_cbranch_execz .LBB2_9933
; %bb.9916:                             ;   in Loop: Header=BB2_9597 Depth=3
	v_and_b32_e32 v3, 0x7fffffff, v2
	v_mov_b32_e32 v4, v29
	v_cmp_gt_u64_e32 vcc, s[78:79], v[3:4]
	v_and_b32_sdwa v15, v2, s96 dst_sel:DWORD dst_unused:UNUSED_PAD src0_sel:BYTE_3 src1_sel:DWORD
                                        ; implicit-def: $vgpr5
	s_and_saveexec_b64 s[28:29], vcc
	s_xor_b64 s[36:37], exec, s[28:29]
	s_cbranch_execz .LBB2_9930
; %bb.9917:                             ;   in Loop: Header=BB2_9597 Depth=3
	v_cmp_ne_u32_e32 vcc, 0, v2
	v_mov_b32_e32 v5, 0
	s_and_saveexec_b64 s[38:39], vcc
	s_cbranch_execz .LBB2_9929
; %bb.9918:                             ;   in Loop: Header=BB2_9597 Depth=3
	v_bfe_u32 v5, v2, 23, 8
	v_cmp_gt_u32_e64 s[28:29], s46, v5
	v_sub_u32_e32 v2, 0x71, v5
	v_cmp_eq_u32_e32 vcc, 0, v5
	v_cndmask_b32_e64 v2, 0, v2, s[28:29]
	v_mov_b32_e32 v4, 0x70
	v_cndmask_b32_e32 v17, v2, v4, vcc
	v_add_u32_e32 v4, 21, v17
	v_or_b32_e32 v3, 0x800000, v28
	v_lshlrev_b64 v[38:39], v4, -1
	v_cndmask_b32_e32 v2, v3, v28, vcc
	v_mov_b32_e32 v3, v29
	v_add_u32_e32 v4, 20, v17
	v_bfi_b32 v38, v38, 0, v2
	v_lshlrev_b64 v[45:46], v4, 1
	v_lshrrev_b64 v[2:3], v17, v[2:3]
	v_bfi_b32 v39, v39, 0, 0
	v_cmp_eq_u64_e64 s[28:29], v[38:39], v[45:46]
	v_mov_b32_e32 v4, v3
	v_mov_b32_e32 v3, v2
	s_and_saveexec_b64 s[48:49], s[28:29]
; %bb.9919:                             ;   in Loop: Header=BB2_9597 Depth=3
	v_bfe_u32 v3, v2, 21, 1
	v_add_co_u32_e64 v3, s[28:29], v2, v3
	v_add_co_u32_e64 v3, s[28:29], -1, v3
; %bb.9920:                             ;   in Loop: Header=BB2_9597 Depth=3
	s_or_b64 exec, exec, s[48:49]
	v_add_u32_e32 v4, 0xffffff81, v5
	v_cndmask_b32_e32 v4, v4, v1, vcc
	v_lshrrev_b32_e32 v5, 23, v2
	v_add3_u32 v17, v17, v4, v5
	v_add_u32_e32 v5, 14, v17
	v_and_b32_e32 v3, 0x1fffff, v3
	v_add_u32_e32 v28, v3, v2
	v_cmp_ne_u32_e32 vcc, 0, v5
                                        ; implicit-def: $vgpr2_vgpr3
                                        ; implicit-def: $vgpr4
	s_and_saveexec_b64 s[28:29], vcc
	s_xor_b64 s[28:29], exec, s[28:29]
; %bb.9921:                             ;   in Loop: Header=BB2_9597 Depth=3
	v_cmp_lt_u64_e32 vcc, s[88:89], v[28:29]
	v_add_u32_e32 v2, 15, v17
	v_cndmask_b32_e32 v4, v5, v2, vcc
	v_cndmask_b32_e64 v2, 0, 1, vcc
	v_lshrrev_b64 v[2:3], v2, v[28:29]
; %bb.9922:                             ;   in Loop: Header=BB2_9597 Depth=3
	s_andn2_saveexec_b64 s[28:29], s[28:29]
; %bb.9923:                             ;   in Loop: Header=BB2_9597 Depth=3
	v_mov_b32_e32 v2, v28
	v_mov_b32_e32 v3, v29
	v_bfe_u32 v4, v28, 23, 1
; %bb.9924:                             ;   in Loop: Header=BB2_9597 Depth=3
	s_or_b64 exec, exec, s[28:29]
	v_lshrrev_b64 v[2:3], 21, v[2:3]
	v_cmp_gt_i32_e32 vcc, 32, v4
	v_cndmask_b32_e32 v3, 0, v3, vcc
	v_cndmask_b32_e32 v2, 3, v2, vcc
	v_cmp_ne_u64_e32 vcc, 0, v[2:3]
	v_cmp_ne_u32_e64 s[28:29], 0, v4
	s_or_b64 s[28:29], s[28:29], vcc
                                        ; implicit-def: $vgpr5
	s_and_saveexec_b64 vcc, s[28:29]
	s_xor_b64 s[28:29], exec, vcc
; %bb.9925:                             ;   in Loop: Header=BB2_9597 Depth=3
	v_min_i32_e32 v3, 31, v4
	v_lshl_or_b32 v3, v3, 2, v15
	v_and_or_b32 v5, v2, 3, v3
                                        ; implicit-def: $vgpr15
; %bb.9926:                             ;   in Loop: Header=BB2_9597 Depth=3
	s_andn2_saveexec_b64 s[28:29], s[28:29]
; %bb.9927:                             ;   in Loop: Header=BB2_9597 Depth=3
	v_mov_b32_e32 v5, v15
; %bb.9928:                             ;   in Loop: Header=BB2_9597 Depth=3
	s_or_b64 exec, exec, s[28:29]
.LBB2_9929:                             ;   in Loop: Header=BB2_9597 Depth=3
	s_or_b64 exec, exec, s[38:39]
                                        ; implicit-def: $vgpr15
.LBB2_9930:                             ;   in Loop: Header=BB2_9597 Depth=3
	s_andn2_saveexec_b64 s[28:29], s[36:37]
; %bb.9931:                             ;   in Loop: Header=BB2_9597 Depth=3
	v_or_b32_e32 v5, 0x7b, v15
; %bb.9932:                             ;   in Loop: Header=BB2_9597 Depth=3
	s_or_b64 exec, exec, s[28:29]
                                        ; implicit-def: $vgpr2
.LBB2_9933:                             ;   in Loop: Header=BB2_9597 Depth=3
	s_andn2_saveexec_b64 s[28:29], s[34:35]
	s_cbranch_execz .LBB2_9939
; %bb.9934:                             ;   in Loop: Header=BB2_9597 Depth=3
	v_cmp_ne_u64_e32 vcc, 0, v[28:29]
                                        ; implicit-def: $vgpr5
	s_and_saveexec_b64 s[34:35], vcc
	s_xor_b64 vcc, exec, s[34:35]
; %bb.9935:                             ;   in Loop: Header=BB2_9597 Depth=3
	v_or_b32_sdwa v5, v2, s47 dst_sel:DWORD dst_unused:UNUSED_PAD src0_sel:BYTE_3 src1_sel:DWORD
                                        ; implicit-def: $vgpr2
; %bb.9936:                             ;   in Loop: Header=BB2_9597 Depth=3
	s_andn2_saveexec_b64 s[34:35], vcc
; %bb.9937:                             ;   in Loop: Header=BB2_9597 Depth=3
	v_cmp_lt_i32_e32 vcc, -1, v2
	v_cndmask_b32_e32 v5, -4, v22, vcc
; %bb.9938:                             ;   in Loop: Header=BB2_9597 Depth=3
	s_or_b64 exec, exec, s[34:35]
.LBB2_9939:                             ;   in Loop: Header=BB2_9597 Depth=3
	s_or_b64 exec, exec, s[28:29]
	v_and_b32_e32 v15, 0xff, v44
	v_cmp_ne_u16_e32 vcc, 0, v15
	v_mov_b32_e32 v2, 0
	v_mov_b32_e32 v3, 0
	s_and_saveexec_b64 s[28:29], vcc
	s_cbranch_execz .LBB2_9947
; %bb.9940:                             ;   in Loop: Header=BB2_9597 Depth=3
	v_cmp_ne_u16_e32 vcc, s96, v15
	v_bfrev_b32_e32 v3, 1
	s_and_saveexec_b64 s[34:35], vcc
	s_cbranch_execz .LBB2_9946
; %bb.9941:                             ;   in Loop: Header=BB2_9597 Depth=3
	v_and_b32_e32 v3, 0x7c, v44
	v_and_b32_e32 v4, 3, v44
	v_cmp_ne_u32_e32 vcc, s85, v3
                                        ; implicit-def: $vgpr3
	s_and_saveexec_b64 s[36:37], vcc
	s_xor_b64 s[36:37], exec, s[36:37]
	s_cbranch_execz .LBB2_9943
; %bb.9942:                             ;   in Loop: Header=BB2_9597 Depth=3
	v_bfe_u32 v3, v15, 2, 5
	v_ffbh_u32_e32 v15, v4
	v_min_u32_e32 v15, 32, v15
	v_mov_b32_e32 v45, v29
	v_subrev_u32_e32 v17, 29, v15
	v_lshlrev_b64 v[38:39], v17, v[44:45]
	v_sub_u32_e32 v15, 30, v15
	v_cmp_eq_u32_e32 vcc, 0, v3
	v_cndmask_b32_e32 v3, v3, v15, vcc
	v_lshlrev_b32_e32 v15, 24, v44
	v_and_b32_e32 v17, 3, v38
	v_and_b32_e32 v15, 0x80000000, v15
	v_cndmask_b32_e32 v4, v4, v17, vcc
	v_lshl_add_u32 v3, v3, 23, v15
	v_lshl_or_b32 v3, v4, 21, v3
	v_add_u32_e32 v3, 0x38000000, v3
                                        ; implicit-def: $vgpr4
                                        ; implicit-def: $vgpr44
.LBB2_9943:                             ;   in Loop: Header=BB2_9597 Depth=3
	s_andn2_saveexec_b64 s[36:37], s[36:37]
; %bb.9944:                             ;   in Loop: Header=BB2_9597 Depth=3
	v_cmp_gt_i16_sdwa vcc, sext(v44), v48 src0_sel:BYTE_0 src1_sel:DWORD
	v_cndmask_b32_e32 v3, v7, v0, vcc
	v_cmp_eq_u32_e32 vcc, 0, v4
	v_cndmask_b32_e32 v3, v35, v3, vcc
; %bb.9945:                             ;   in Loop: Header=BB2_9597 Depth=3
	s_or_b64 exec, exec, s[36:37]
.LBB2_9946:                             ;   in Loop: Header=BB2_9597 Depth=3
	s_or_b64 exec, exec, s[34:35]
.LBB2_9947:                             ;   in Loop: Header=BB2_9597 Depth=3
	s_or_b64 exec, exec, s[28:29]
	v_cmp_ne_u16_e32 vcc, 0, v32
	s_and_saveexec_b64 s[28:29], vcc
	s_cbranch_execz .LBB2_9955
; %bb.9948:                             ;   in Loop: Header=BB2_9597 Depth=3
	v_cmp_ne_u16_e32 vcc, s97, v32
	v_bfrev_b32_e32 v2, 1
	s_and_saveexec_b64 s[34:35], vcc
	s_cbranch_execz .LBB2_9954
; %bb.9949:                             ;   in Loop: Header=BB2_9597 Depth=3
	v_and_b32_e32 v2, 0x7c, v32
	v_and_b32_e32 v4, 3, v32
	v_cmp_ne_u32_e32 vcc, s85, v2
                                        ; implicit-def: $vgpr2
	s_and_saveexec_b64 s[36:37], vcc
	s_xor_b64 s[36:37], exec, s[36:37]
	s_cbranch_execz .LBB2_9951
; %bb.9950:                             ;   in Loop: Header=BB2_9597 Depth=3
	v_ffbh_u32_e32 v15, v4
	v_min_u32_e32 v15, 32, v15
	v_and_b32_e32 v2, 0xff, v32
	v_mov_b32_e32 v33, v29
	v_subrev_u32_e32 v17, 29, v15
	v_bfe_u32 v2, v2, 2, 5
	v_lshlrev_b64 v[38:39], v17, v[32:33]
	v_sub_u32_e32 v15, 30, v15
	v_cmp_eq_u32_e32 vcc, 0, v2
	v_and_b32_e32 v17, 3, v38
	v_cndmask_b32_e32 v2, v2, v15, vcc
	v_and_b32_sdwa v15, sext(v32), s86 dst_sel:DWORD dst_unused:UNUSED_PAD src0_sel:WORD_0 src1_sel:DWORD
	v_cndmask_b32_e32 v4, v4, v17, vcc
	v_lshl_add_u32 v2, v2, 23, v15
	v_lshl_or_b32 v2, v4, 21, v2
	v_add_u32_e32 v2, 0x38000000, v2
                                        ; implicit-def: $vgpr4
                                        ; implicit-def: $vgpr32
.LBB2_9951:                             ;   in Loop: Header=BB2_9597 Depth=3
	s_andn2_saveexec_b64 s[36:37], s[36:37]
; %bb.9952:                             ;   in Loop: Header=BB2_9597 Depth=3
	v_cmp_lt_i16_e32 vcc, -1, v32
	v_cndmask_b32_e32 v2, v7, v0, vcc
	v_cmp_eq_u32_e32 vcc, 0, v4
	v_cndmask_b32_e32 v2, v35, v2, vcc
; %bb.9953:                             ;   in Loop: Header=BB2_9597 Depth=3
	s_or_b64 exec, exec, s[36:37]
.LBB2_9954:                             ;   in Loop: Header=BB2_9597 Depth=3
	s_or_b64 exec, exec, s[34:35]
.LBB2_9955:                             ;   in Loop: Header=BB2_9597 Depth=3
	s_or_b64 exec, exec, s[28:29]
	v_add_f32_e32 v2, v3, v2
	v_and_b32_e32 v3, 0x7f800000, v2
	v_mov_b32_e32 v4, v29
	v_cmp_ne_u64_e32 vcc, s[76:77], v[3:4]
	v_and_b32_e32 v28, 0x7fffff, v2
                                        ; implicit-def: $vgpr33
	s_and_saveexec_b64 s[28:29], vcc
	s_xor_b64 s[34:35], exec, s[28:29]
	s_cbranch_execz .LBB2_9973
; %bb.9956:                             ;   in Loop: Header=BB2_9597 Depth=3
	v_and_b32_e32 v3, 0x7fffffff, v2
	v_mov_b32_e32 v4, v29
	v_cmp_gt_u64_e32 vcc, s[78:79], v[3:4]
	v_and_b32_sdwa v15, v2, s96 dst_sel:DWORD dst_unused:UNUSED_PAD src0_sel:BYTE_3 src1_sel:DWORD
                                        ; implicit-def: $vgpr33
	s_and_saveexec_b64 s[28:29], vcc
	s_xor_b64 s[36:37], exec, s[28:29]
	s_cbranch_execz .LBB2_9970
; %bb.9957:                             ;   in Loop: Header=BB2_9597 Depth=3
	v_cmp_ne_u32_e32 vcc, 0, v2
	v_mov_b32_e32 v33, 0
	s_and_saveexec_b64 s[38:39], vcc
	s_cbranch_execz .LBB2_9969
; %bb.9958:                             ;   in Loop: Header=BB2_9597 Depth=3
	v_bfe_u32 v17, v2, 23, 8
	v_cmp_gt_u32_e64 s[28:29], s46, v17
	v_sub_u32_e32 v2, 0x71, v17
	v_cmp_eq_u32_e32 vcc, 0, v17
	v_cndmask_b32_e64 v2, 0, v2, s[28:29]
	v_mov_b32_e32 v4, 0x70
	v_cndmask_b32_e32 v32, v2, v4, vcc
	v_add_u32_e32 v4, 21, v32
	v_or_b32_e32 v3, 0x800000, v28
	v_lshlrev_b64 v[38:39], v4, -1
	v_cndmask_b32_e32 v2, v3, v28, vcc
	v_mov_b32_e32 v3, v29
	v_add_u32_e32 v4, 20, v32
	v_bfi_b32 v38, v38, 0, v2
	v_lshlrev_b64 v[44:45], v4, 1
	v_lshrrev_b64 v[2:3], v32, v[2:3]
	v_bfi_b32 v39, v39, 0, 0
	v_cmp_eq_u64_e64 s[28:29], v[38:39], v[44:45]
	v_mov_b32_e32 v4, v3
	v_mov_b32_e32 v3, v2
	s_and_saveexec_b64 s[48:49], s[28:29]
; %bb.9959:                             ;   in Loop: Header=BB2_9597 Depth=3
	v_bfe_u32 v3, v2, 21, 1
	v_add_co_u32_e64 v3, s[28:29], v2, v3
	v_add_co_u32_e64 v3, s[28:29], -1, v3
; %bb.9960:                             ;   in Loop: Header=BB2_9597 Depth=3
	s_or_b64 exec, exec, s[48:49]
	v_add_u32_e32 v4, 0xffffff81, v17
	v_cndmask_b32_e32 v4, v4, v1, vcc
	v_lshrrev_b32_e32 v17, 23, v2
	v_add3_u32 v32, v32, v4, v17
	v_add_u32_e32 v17, 14, v32
	v_and_b32_e32 v3, 0x1fffff, v3
	v_add_u32_e32 v28, v3, v2
	v_cmp_ne_u32_e32 vcc, 0, v17
                                        ; implicit-def: $vgpr2_vgpr3
                                        ; implicit-def: $vgpr4
	s_and_saveexec_b64 s[28:29], vcc
	s_xor_b64 s[28:29], exec, s[28:29]
; %bb.9961:                             ;   in Loop: Header=BB2_9597 Depth=3
	v_cmp_lt_u64_e32 vcc, s[88:89], v[28:29]
	v_add_u32_e32 v2, 15, v32
	v_cndmask_b32_e32 v4, v17, v2, vcc
	v_cndmask_b32_e64 v2, 0, 1, vcc
	v_lshrrev_b64 v[2:3], v2, v[28:29]
; %bb.9962:                             ;   in Loop: Header=BB2_9597 Depth=3
	s_andn2_saveexec_b64 s[28:29], s[28:29]
; %bb.9963:                             ;   in Loop: Header=BB2_9597 Depth=3
	v_mov_b32_e32 v2, v28
	v_mov_b32_e32 v3, v29
	v_bfe_u32 v4, v28, 23, 1
; %bb.9964:                             ;   in Loop: Header=BB2_9597 Depth=3
	s_or_b64 exec, exec, s[28:29]
	v_lshrrev_b64 v[2:3], 21, v[2:3]
	v_cmp_gt_i32_e32 vcc, 32, v4
	v_cndmask_b32_e32 v3, 0, v3, vcc
	v_cndmask_b32_e32 v2, 3, v2, vcc
	v_cmp_ne_u64_e32 vcc, 0, v[2:3]
	v_cmp_ne_u32_e64 s[28:29], 0, v4
	s_or_b64 s[28:29], s[28:29], vcc
                                        ; implicit-def: $vgpr33
	s_and_saveexec_b64 vcc, s[28:29]
	s_xor_b64 s[28:29], exec, vcc
; %bb.9965:                             ;   in Loop: Header=BB2_9597 Depth=3
	v_min_i32_e32 v3, 31, v4
	v_lshl_or_b32 v3, v3, 2, v15
	v_and_or_b32 v33, v2, 3, v3
                                        ; implicit-def: $vgpr15
; %bb.9966:                             ;   in Loop: Header=BB2_9597 Depth=3
	s_andn2_saveexec_b64 s[28:29], s[28:29]
; %bb.9967:                             ;   in Loop: Header=BB2_9597 Depth=3
	v_mov_b32_e32 v33, v15
; %bb.9968:                             ;   in Loop: Header=BB2_9597 Depth=3
	s_or_b64 exec, exec, s[28:29]
.LBB2_9969:                             ;   in Loop: Header=BB2_9597 Depth=3
	s_or_b64 exec, exec, s[38:39]
                                        ; implicit-def: $vgpr15
.LBB2_9970:                             ;   in Loop: Header=BB2_9597 Depth=3
	s_andn2_saveexec_b64 s[28:29], s[36:37]
; %bb.9971:                             ;   in Loop: Header=BB2_9597 Depth=3
	v_or_b32_e32 v33, 0x7b, v15
; %bb.9972:                             ;   in Loop: Header=BB2_9597 Depth=3
	s_or_b64 exec, exec, s[28:29]
                                        ; implicit-def: $vgpr2
.LBB2_9973:                             ;   in Loop: Header=BB2_9597 Depth=3
	s_andn2_saveexec_b64 s[28:29], s[34:35]
	s_cbranch_execz .LBB2_9979
; %bb.9974:                             ;   in Loop: Header=BB2_9597 Depth=3
	v_cmp_ne_u64_e32 vcc, 0, v[28:29]
                                        ; implicit-def: $vgpr33
	s_and_saveexec_b64 s[34:35], vcc
	s_xor_b64 vcc, exec, s[34:35]
; %bb.9975:                             ;   in Loop: Header=BB2_9597 Depth=3
	v_or_b32_sdwa v33, v2, s47 dst_sel:DWORD dst_unused:UNUSED_PAD src0_sel:BYTE_3 src1_sel:DWORD
                                        ; implicit-def: $vgpr2
; %bb.9976:                             ;   in Loop: Header=BB2_9597 Depth=3
	s_andn2_saveexec_b64 s[34:35], vcc
; %bb.9977:                             ;   in Loop: Header=BB2_9597 Depth=3
	v_cmp_lt_i32_e32 vcc, -1, v2
	v_cndmask_b32_e32 v33, -4, v22, vcc
; %bb.9978:                             ;   in Loop: Header=BB2_9597 Depth=3
	s_or_b64 exec, exec, s[34:35]
.LBB2_9979:                             ;   in Loop: Header=BB2_9597 Depth=3
	s_or_b64 exec, exec, s[28:29]
	v_and_b32_e32 v15, 0xff, v43
	v_cmp_ne_u16_e32 vcc, 0, v15
	v_mov_b32_e32 v2, 0
	v_mov_b32_e32 v3, 0
	s_and_saveexec_b64 s[28:29], vcc
	s_cbranch_execz .LBB2_9987
; %bb.9980:                             ;   in Loop: Header=BB2_9597 Depth=3
	v_cmp_ne_u16_e32 vcc, s96, v15
	v_bfrev_b32_e32 v3, 1
	s_and_saveexec_b64 s[34:35], vcc
	s_cbranch_execz .LBB2_9986
; %bb.9981:                             ;   in Loop: Header=BB2_9597 Depth=3
	v_and_b32_e32 v3, 0x7c, v43
	v_and_b32_e32 v4, 3, v43
	v_cmp_ne_u32_e32 vcc, s85, v3
                                        ; implicit-def: $vgpr3
	s_and_saveexec_b64 s[36:37], vcc
	s_xor_b64 s[36:37], exec, s[36:37]
	s_cbranch_execz .LBB2_9983
; %bb.9982:                             ;   in Loop: Header=BB2_9597 Depth=3
	v_bfe_u32 v3, v15, 2, 5
	v_ffbh_u32_e32 v15, v4
	v_min_u32_e32 v15, 32, v15
	v_mov_b32_e32 v44, v29
	v_subrev_u32_e32 v17, 29, v15
	v_lshlrev_b64 v[38:39], v17, v[43:44]
	v_sub_u32_e32 v15, 30, v15
	v_cmp_eq_u32_e32 vcc, 0, v3
	v_cndmask_b32_e32 v3, v3, v15, vcc
	v_lshlrev_b32_e32 v15, 24, v43
	v_and_b32_e32 v17, 3, v38
	v_and_b32_e32 v15, 0x80000000, v15
	v_cndmask_b32_e32 v4, v4, v17, vcc
	v_lshl_add_u32 v3, v3, 23, v15
	v_lshl_or_b32 v3, v4, 21, v3
	v_add_u32_e32 v3, 0x38000000, v3
                                        ; implicit-def: $vgpr4
                                        ; implicit-def: $vgpr43
.LBB2_9983:                             ;   in Loop: Header=BB2_9597 Depth=3
	s_andn2_saveexec_b64 s[36:37], s[36:37]
; %bb.9984:                             ;   in Loop: Header=BB2_9597 Depth=3
	v_cmp_gt_i16_sdwa vcc, sext(v43), v48 src0_sel:BYTE_0 src1_sel:DWORD
	v_cndmask_b32_e32 v3, v7, v0, vcc
	v_cmp_eq_u32_e32 vcc, 0, v4
	v_cndmask_b32_e32 v3, v35, v3, vcc
; %bb.9985:                             ;   in Loop: Header=BB2_9597 Depth=3
	s_or_b64 exec, exec, s[36:37]
.LBB2_9986:                             ;   in Loop: Header=BB2_9597 Depth=3
	s_or_b64 exec, exec, s[34:35]
.LBB2_9987:                             ;   in Loop: Header=BB2_9597 Depth=3
	s_or_b64 exec, exec, s[28:29]
	v_cmp_ne_u16_e32 vcc, 0, v31
	s_and_saveexec_b64 s[28:29], vcc
	s_cbranch_execz .LBB2_9995
; %bb.9988:                             ;   in Loop: Header=BB2_9597 Depth=3
	v_cmp_ne_u16_e32 vcc, s97, v31
	v_bfrev_b32_e32 v2, 1
	s_and_saveexec_b64 s[34:35], vcc
	s_cbranch_execz .LBB2_9994
; %bb.9989:                             ;   in Loop: Header=BB2_9597 Depth=3
	v_and_b32_e32 v2, 0x7c, v31
	v_and_b32_e32 v4, 3, v31
	v_cmp_ne_u32_e32 vcc, s85, v2
                                        ; implicit-def: $vgpr2
	s_and_saveexec_b64 s[36:37], vcc
	s_xor_b64 s[36:37], exec, s[36:37]
	s_cbranch_execz .LBB2_9991
; %bb.9990:                             ;   in Loop: Header=BB2_9597 Depth=3
	v_ffbh_u32_e32 v15, v4
	v_min_u32_e32 v15, 32, v15
	v_and_b32_e32 v2, 0xff, v31
	v_mov_b32_e32 v32, v29
	v_subrev_u32_e32 v17, 29, v15
	v_bfe_u32 v2, v2, 2, 5
	v_lshlrev_b64 v[38:39], v17, v[31:32]
	v_sub_u32_e32 v15, 30, v15
	v_cmp_eq_u32_e32 vcc, 0, v2
	v_and_b32_e32 v17, 3, v38
	v_cndmask_b32_e32 v2, v2, v15, vcc
	v_and_b32_sdwa v15, sext(v31), s86 dst_sel:DWORD dst_unused:UNUSED_PAD src0_sel:WORD_0 src1_sel:DWORD
	v_cndmask_b32_e32 v4, v4, v17, vcc
	v_lshl_add_u32 v2, v2, 23, v15
	v_lshl_or_b32 v2, v4, 21, v2
	v_add_u32_e32 v2, 0x38000000, v2
                                        ; implicit-def: $vgpr4
                                        ; implicit-def: $vgpr31
.LBB2_9991:                             ;   in Loop: Header=BB2_9597 Depth=3
	s_andn2_saveexec_b64 s[36:37], s[36:37]
; %bb.9992:                             ;   in Loop: Header=BB2_9597 Depth=3
	v_cmp_lt_i16_e32 vcc, -1, v31
	v_cndmask_b32_e32 v2, v7, v0, vcc
	v_cmp_eq_u32_e32 vcc, 0, v4
	v_cndmask_b32_e32 v2, v35, v2, vcc
; %bb.9993:                             ;   in Loop: Header=BB2_9597 Depth=3
	s_or_b64 exec, exec, s[36:37]
.LBB2_9994:                             ;   in Loop: Header=BB2_9597 Depth=3
	s_or_b64 exec, exec, s[34:35]
.LBB2_9995:                             ;   in Loop: Header=BB2_9597 Depth=3
	s_or_b64 exec, exec, s[28:29]
	v_add_f32_e32 v2, v3, v2
	v_and_b32_e32 v3, 0x7f800000, v2
	v_mov_b32_e32 v4, v29
	v_cmp_ne_u64_e32 vcc, s[76:77], v[3:4]
	v_and_b32_e32 v28, 0x7fffff, v2
                                        ; implicit-def: $vgpr32
	s_and_saveexec_b64 s[28:29], vcc
	s_xor_b64 s[34:35], exec, s[28:29]
	s_cbranch_execz .LBB2_10013
; %bb.9996:                             ;   in Loop: Header=BB2_9597 Depth=3
	v_and_b32_e32 v3, 0x7fffffff, v2
	v_mov_b32_e32 v4, v29
	v_cmp_gt_u64_e32 vcc, s[78:79], v[3:4]
	v_and_b32_sdwa v15, v2, s96 dst_sel:DWORD dst_unused:UNUSED_PAD src0_sel:BYTE_3 src1_sel:DWORD
                                        ; implicit-def: $vgpr32
	s_and_saveexec_b64 s[28:29], vcc
	s_xor_b64 s[36:37], exec, s[28:29]
	s_cbranch_execz .LBB2_10010
; %bb.9997:                             ;   in Loop: Header=BB2_9597 Depth=3
	v_cmp_ne_u32_e32 vcc, 0, v2
	v_mov_b32_e32 v32, 0
	s_and_saveexec_b64 s[38:39], vcc
	s_cbranch_execz .LBB2_10009
; %bb.9998:                             ;   in Loop: Header=BB2_9597 Depth=3
	v_bfe_u32 v17, v2, 23, 8
	v_cmp_gt_u32_e64 s[28:29], s46, v17
	v_sub_u32_e32 v2, 0x71, v17
	v_cmp_eq_u32_e32 vcc, 0, v17
	v_cndmask_b32_e64 v2, 0, v2, s[28:29]
	v_mov_b32_e32 v4, 0x70
	v_cndmask_b32_e32 v31, v2, v4, vcc
	v_add_u32_e32 v4, 21, v31
	v_or_b32_e32 v3, 0x800000, v28
	v_lshlrev_b64 v[38:39], v4, -1
	v_cndmask_b32_e32 v2, v3, v28, vcc
	v_mov_b32_e32 v3, v29
	v_add_u32_e32 v4, 20, v31
	v_bfi_b32 v38, v38, 0, v2
	v_lshlrev_b64 v[43:44], v4, 1
	v_lshrrev_b64 v[2:3], v31, v[2:3]
	v_bfi_b32 v39, v39, 0, 0
	v_cmp_eq_u64_e64 s[28:29], v[38:39], v[43:44]
	v_mov_b32_e32 v4, v3
	v_mov_b32_e32 v3, v2
	s_and_saveexec_b64 s[48:49], s[28:29]
; %bb.9999:                             ;   in Loop: Header=BB2_9597 Depth=3
	v_bfe_u32 v3, v2, 21, 1
	v_add_co_u32_e64 v3, s[28:29], v2, v3
	v_add_co_u32_e64 v3, s[28:29], -1, v3
; %bb.10000:                            ;   in Loop: Header=BB2_9597 Depth=3
	s_or_b64 exec, exec, s[48:49]
	v_add_u32_e32 v4, 0xffffff81, v17
	v_cndmask_b32_e32 v4, v4, v1, vcc
	v_lshrrev_b32_e32 v17, 23, v2
	v_add3_u32 v31, v31, v4, v17
	v_add_u32_e32 v17, 14, v31
	v_and_b32_e32 v3, 0x1fffff, v3
	v_add_u32_e32 v28, v3, v2
	v_cmp_ne_u32_e32 vcc, 0, v17
                                        ; implicit-def: $vgpr2_vgpr3
                                        ; implicit-def: $vgpr4
	s_and_saveexec_b64 s[28:29], vcc
	s_xor_b64 s[28:29], exec, s[28:29]
; %bb.10001:                            ;   in Loop: Header=BB2_9597 Depth=3
	v_cmp_lt_u64_e32 vcc, s[88:89], v[28:29]
	v_add_u32_e32 v2, 15, v31
	v_cndmask_b32_e32 v4, v17, v2, vcc
	v_cndmask_b32_e64 v2, 0, 1, vcc
	v_lshrrev_b64 v[2:3], v2, v[28:29]
; %bb.10002:                            ;   in Loop: Header=BB2_9597 Depth=3
	s_andn2_saveexec_b64 s[28:29], s[28:29]
; %bb.10003:                            ;   in Loop: Header=BB2_9597 Depth=3
	v_mov_b32_e32 v2, v28
	v_mov_b32_e32 v3, v29
	v_bfe_u32 v4, v28, 23, 1
; %bb.10004:                            ;   in Loop: Header=BB2_9597 Depth=3
	s_or_b64 exec, exec, s[28:29]
	v_lshrrev_b64 v[2:3], 21, v[2:3]
	v_cmp_gt_i32_e32 vcc, 32, v4
	v_cndmask_b32_e32 v3, 0, v3, vcc
	v_cndmask_b32_e32 v2, 3, v2, vcc
	v_cmp_ne_u64_e32 vcc, 0, v[2:3]
	v_cmp_ne_u32_e64 s[28:29], 0, v4
	s_or_b64 s[28:29], s[28:29], vcc
                                        ; implicit-def: $vgpr32
	s_and_saveexec_b64 vcc, s[28:29]
	s_xor_b64 s[28:29], exec, vcc
; %bb.10005:                            ;   in Loop: Header=BB2_9597 Depth=3
	v_min_i32_e32 v3, 31, v4
	v_lshl_or_b32 v3, v3, 2, v15
	v_and_or_b32 v32, v2, 3, v3
                                        ; implicit-def: $vgpr15
; %bb.10006:                            ;   in Loop: Header=BB2_9597 Depth=3
	s_andn2_saveexec_b64 s[28:29], s[28:29]
; %bb.10007:                            ;   in Loop: Header=BB2_9597 Depth=3
	v_mov_b32_e32 v32, v15
; %bb.10008:                            ;   in Loop: Header=BB2_9597 Depth=3
	s_or_b64 exec, exec, s[28:29]
.LBB2_10009:                            ;   in Loop: Header=BB2_9597 Depth=3
	s_or_b64 exec, exec, s[38:39]
                                        ; implicit-def: $vgpr15
.LBB2_10010:                            ;   in Loop: Header=BB2_9597 Depth=3
	s_andn2_saveexec_b64 s[28:29], s[36:37]
; %bb.10011:                            ;   in Loop: Header=BB2_9597 Depth=3
	v_or_b32_e32 v32, 0x7b, v15
; %bb.10012:                            ;   in Loop: Header=BB2_9597 Depth=3
	s_or_b64 exec, exec, s[28:29]
                                        ; implicit-def: $vgpr2
.LBB2_10013:                            ;   in Loop: Header=BB2_9597 Depth=3
	s_andn2_saveexec_b64 s[28:29], s[34:35]
	s_cbranch_execz .LBB2_10019
; %bb.10014:                            ;   in Loop: Header=BB2_9597 Depth=3
	v_cmp_ne_u64_e32 vcc, 0, v[28:29]
                                        ; implicit-def: $vgpr32
	s_and_saveexec_b64 s[34:35], vcc
	s_xor_b64 vcc, exec, s[34:35]
; %bb.10015:                            ;   in Loop: Header=BB2_9597 Depth=3
	v_or_b32_sdwa v32, v2, s47 dst_sel:DWORD dst_unused:UNUSED_PAD src0_sel:BYTE_3 src1_sel:DWORD
                                        ; implicit-def: $vgpr2
; %bb.10016:                            ;   in Loop: Header=BB2_9597 Depth=3
	s_andn2_saveexec_b64 s[34:35], vcc
; %bb.10017:                            ;   in Loop: Header=BB2_9597 Depth=3
	v_cmp_lt_i32_e32 vcc, -1, v2
	v_cndmask_b32_e32 v32, -4, v22, vcc
; %bb.10018:                            ;   in Loop: Header=BB2_9597 Depth=3
	s_or_b64 exec, exec, s[34:35]
.LBB2_10019:                            ;   in Loop: Header=BB2_9597 Depth=3
	s_or_b64 exec, exec, s[28:29]
	v_and_b32_e32 v15, 0xff, v42
	v_cmp_ne_u16_e32 vcc, 0, v15
	v_mov_b32_e32 v2, 0
	v_mov_b32_e32 v3, 0
	s_and_saveexec_b64 s[28:29], vcc
	s_cbranch_execz .LBB2_10027
; %bb.10020:                            ;   in Loop: Header=BB2_9597 Depth=3
	v_cmp_ne_u16_e32 vcc, s96, v15
	v_bfrev_b32_e32 v3, 1
	s_and_saveexec_b64 s[34:35], vcc
	s_cbranch_execz .LBB2_10026
; %bb.10021:                            ;   in Loop: Header=BB2_9597 Depth=3
	v_and_b32_e32 v3, 0x7c, v42
	v_and_b32_e32 v4, 3, v42
	v_cmp_ne_u32_e32 vcc, s85, v3
                                        ; implicit-def: $vgpr3
	s_and_saveexec_b64 s[36:37], vcc
	s_xor_b64 s[36:37], exec, s[36:37]
	s_cbranch_execz .LBB2_10023
; %bb.10022:                            ;   in Loop: Header=BB2_9597 Depth=3
	v_bfe_u32 v3, v15, 2, 5
	v_ffbh_u32_e32 v15, v4
	v_min_u32_e32 v15, 32, v15
	v_mov_b32_e32 v43, v29
	v_subrev_u32_e32 v17, 29, v15
	v_lshlrev_b64 v[38:39], v17, v[42:43]
	v_sub_u32_e32 v15, 30, v15
	v_cmp_eq_u32_e32 vcc, 0, v3
	v_cndmask_b32_e32 v3, v3, v15, vcc
	v_lshlrev_b32_e32 v15, 24, v42
	v_and_b32_e32 v17, 3, v38
	v_and_b32_e32 v15, 0x80000000, v15
	v_cndmask_b32_e32 v4, v4, v17, vcc
	v_lshl_add_u32 v3, v3, 23, v15
	v_lshl_or_b32 v3, v4, 21, v3
	v_add_u32_e32 v3, 0x38000000, v3
                                        ; implicit-def: $vgpr4
                                        ; implicit-def: $vgpr42
.LBB2_10023:                            ;   in Loop: Header=BB2_9597 Depth=3
	s_andn2_saveexec_b64 s[36:37], s[36:37]
; %bb.10024:                            ;   in Loop: Header=BB2_9597 Depth=3
	v_cmp_gt_i16_sdwa vcc, sext(v42), v48 src0_sel:BYTE_0 src1_sel:DWORD
	v_cndmask_b32_e32 v3, v7, v0, vcc
	v_cmp_eq_u32_e32 vcc, 0, v4
	v_cndmask_b32_e32 v3, v35, v3, vcc
; %bb.10025:                            ;   in Loop: Header=BB2_9597 Depth=3
	s_or_b64 exec, exec, s[36:37]
.LBB2_10026:                            ;   in Loop: Header=BB2_9597 Depth=3
	s_or_b64 exec, exec, s[34:35]
.LBB2_10027:                            ;   in Loop: Header=BB2_9597 Depth=3
	s_or_b64 exec, exec, s[28:29]
	v_cmp_ne_u16_e32 vcc, 0, v14
	s_and_saveexec_b64 s[28:29], vcc
	s_cbranch_execz .LBB2_10035
; %bb.10028:                            ;   in Loop: Header=BB2_9597 Depth=3
	v_cmp_ne_u16_e32 vcc, s97, v14
	v_bfrev_b32_e32 v2, 1
	s_and_saveexec_b64 s[34:35], vcc
	s_cbranch_execz .LBB2_10034
; %bb.10029:                            ;   in Loop: Header=BB2_9597 Depth=3
	v_and_b32_e32 v2, 0x7c, v14
	v_and_b32_e32 v4, 3, v14
	v_cmp_ne_u32_e32 vcc, s85, v2
                                        ; implicit-def: $vgpr2
	s_and_saveexec_b64 s[36:37], vcc
	s_xor_b64 s[36:37], exec, s[36:37]
	s_cbranch_execz .LBB2_10031
; %bb.10030:                            ;   in Loop: Header=BB2_9597 Depth=3
	v_ffbh_u32_e32 v17, v4
	v_min_u32_e32 v17, 32, v17
	v_and_b32_e32 v2, 0xff, v14
	v_mov_b32_e32 v15, v29
	v_subrev_u32_e32 v28, 29, v17
	v_bfe_u32 v2, v2, 2, 5
	v_lshlrev_b64 v[38:39], v28, v[14:15]
	v_sub_u32_e32 v15, 30, v17
	v_cmp_eq_u32_e32 vcc, 0, v2
	v_and_b32_e32 v17, 3, v38
	v_cndmask_b32_e32 v2, v2, v15, vcc
	v_and_b32_sdwa v14, sext(v14), s86 dst_sel:DWORD dst_unused:UNUSED_PAD src0_sel:WORD_0 src1_sel:DWORD
	v_cndmask_b32_e32 v4, v4, v17, vcc
	v_lshl_add_u32 v2, v2, 23, v14
	v_lshl_or_b32 v2, v4, 21, v2
	v_add_u32_e32 v2, 0x38000000, v2
                                        ; implicit-def: $vgpr4
                                        ; implicit-def: $vgpr14
.LBB2_10031:                            ;   in Loop: Header=BB2_9597 Depth=3
	s_andn2_saveexec_b64 s[36:37], s[36:37]
; %bb.10032:                            ;   in Loop: Header=BB2_9597 Depth=3
	v_cmp_lt_i16_e32 vcc, -1, v14
	v_cndmask_b32_e32 v2, v7, v0, vcc
	v_cmp_eq_u32_e32 vcc, 0, v4
	v_cndmask_b32_e32 v2, v35, v2, vcc
; %bb.10033:                            ;   in Loop: Header=BB2_9597 Depth=3
	s_or_b64 exec, exec, s[36:37]
.LBB2_10034:                            ;   in Loop: Header=BB2_9597 Depth=3
	s_or_b64 exec, exec, s[34:35]
.LBB2_10035:                            ;   in Loop: Header=BB2_9597 Depth=3
	s_or_b64 exec, exec, s[28:29]
	v_add_f32_e32 v2, v3, v2
	v_and_b32_e32 v3, 0x7f800000, v2
	v_mov_b32_e32 v4, v29
	v_cmp_ne_u64_e32 vcc, s[76:77], v[3:4]
	v_and_b32_e32 v28, 0x7fffff, v2
                                        ; implicit-def: $vgpr14
	s_and_saveexec_b64 s[28:29], vcc
	s_xor_b64 s[34:35], exec, s[28:29]
	s_cbranch_execz .LBB2_10053
; %bb.10036:                            ;   in Loop: Header=BB2_9597 Depth=3
	v_and_b32_e32 v3, 0x7fffffff, v2
	v_mov_b32_e32 v4, v29
	v_cmp_gt_u64_e32 vcc, s[78:79], v[3:4]
	v_and_b32_sdwa v15, v2, s96 dst_sel:DWORD dst_unused:UNUSED_PAD src0_sel:BYTE_3 src1_sel:DWORD
                                        ; implicit-def: $vgpr14
	s_and_saveexec_b64 s[28:29], vcc
	s_xor_b64 s[36:37], exec, s[28:29]
	s_cbranch_execz .LBB2_10050
; %bb.10037:                            ;   in Loop: Header=BB2_9597 Depth=3
	v_cmp_ne_u32_e32 vcc, 0, v2
	v_mov_b32_e32 v14, 0
	s_and_saveexec_b64 s[38:39], vcc
	s_cbranch_execz .LBB2_10049
; %bb.10038:                            ;   in Loop: Header=BB2_9597 Depth=3
	v_bfe_u32 v14, v2, 23, 8
	v_cmp_gt_u32_e64 s[28:29], s46, v14
	v_sub_u32_e32 v2, 0x71, v14
	v_cmp_eq_u32_e32 vcc, 0, v14
	v_cndmask_b32_e64 v2, 0, v2, s[28:29]
	v_mov_b32_e32 v4, 0x70
	v_cndmask_b32_e32 v17, v2, v4, vcc
	v_add_u32_e32 v4, 21, v17
	v_or_b32_e32 v3, 0x800000, v28
	v_lshlrev_b64 v[38:39], v4, -1
	v_cndmask_b32_e32 v2, v3, v28, vcc
	v_mov_b32_e32 v3, v29
	v_add_u32_e32 v4, 20, v17
	v_bfi_b32 v38, v38, 0, v2
	v_lshlrev_b64 v[42:43], v4, 1
	v_lshrrev_b64 v[2:3], v17, v[2:3]
	v_bfi_b32 v39, v39, 0, 0
	v_cmp_eq_u64_e64 s[28:29], v[38:39], v[42:43]
	v_mov_b32_e32 v4, v3
	v_mov_b32_e32 v3, v2
	s_and_saveexec_b64 s[48:49], s[28:29]
; %bb.10039:                            ;   in Loop: Header=BB2_9597 Depth=3
	v_bfe_u32 v3, v2, 21, 1
	v_add_co_u32_e64 v3, s[28:29], v2, v3
	v_add_co_u32_e64 v3, s[28:29], -1, v3
; %bb.10040:                            ;   in Loop: Header=BB2_9597 Depth=3
	s_or_b64 exec, exec, s[48:49]
	v_add_u32_e32 v4, 0xffffff81, v14
	v_cndmask_b32_e32 v4, v4, v1, vcc
	v_lshrrev_b32_e32 v14, 23, v2
	v_add3_u32 v17, v17, v4, v14
	v_add_u32_e32 v14, 14, v17
	v_and_b32_e32 v3, 0x1fffff, v3
	v_add_u32_e32 v28, v3, v2
	v_cmp_ne_u32_e32 vcc, 0, v14
                                        ; implicit-def: $vgpr2_vgpr3
                                        ; implicit-def: $vgpr4
	s_and_saveexec_b64 s[28:29], vcc
	s_xor_b64 s[28:29], exec, s[28:29]
; %bb.10041:                            ;   in Loop: Header=BB2_9597 Depth=3
	v_cmp_lt_u64_e32 vcc, s[88:89], v[28:29]
	v_add_u32_e32 v2, 15, v17
	v_cndmask_b32_e32 v4, v14, v2, vcc
	v_cndmask_b32_e64 v2, 0, 1, vcc
	v_lshrrev_b64 v[2:3], v2, v[28:29]
; %bb.10042:                            ;   in Loop: Header=BB2_9597 Depth=3
	s_andn2_saveexec_b64 s[28:29], s[28:29]
; %bb.10043:                            ;   in Loop: Header=BB2_9597 Depth=3
	v_mov_b32_e32 v2, v28
	v_mov_b32_e32 v3, v29
	v_bfe_u32 v4, v28, 23, 1
; %bb.10044:                            ;   in Loop: Header=BB2_9597 Depth=3
	s_or_b64 exec, exec, s[28:29]
	v_lshrrev_b64 v[2:3], 21, v[2:3]
	v_cmp_gt_i32_e32 vcc, 32, v4
	v_cndmask_b32_e32 v3, 0, v3, vcc
	v_cndmask_b32_e32 v2, 3, v2, vcc
	v_cmp_ne_u64_e32 vcc, 0, v[2:3]
	v_cmp_ne_u32_e64 s[28:29], 0, v4
	s_or_b64 s[28:29], s[28:29], vcc
                                        ; implicit-def: $vgpr14
	s_and_saveexec_b64 vcc, s[28:29]
	s_xor_b64 s[28:29], exec, vcc
; %bb.10045:                            ;   in Loop: Header=BB2_9597 Depth=3
	v_min_i32_e32 v3, 31, v4
	v_lshl_or_b32 v3, v3, 2, v15
	v_and_or_b32 v14, v2, 3, v3
                                        ; implicit-def: $vgpr15
; %bb.10046:                            ;   in Loop: Header=BB2_9597 Depth=3
	s_andn2_saveexec_b64 s[28:29], s[28:29]
; %bb.10047:                            ;   in Loop: Header=BB2_9597 Depth=3
	v_mov_b32_e32 v14, v15
; %bb.10048:                            ;   in Loop: Header=BB2_9597 Depth=3
	s_or_b64 exec, exec, s[28:29]
.LBB2_10049:                            ;   in Loop: Header=BB2_9597 Depth=3
	s_or_b64 exec, exec, s[38:39]
                                        ; implicit-def: $vgpr15
.LBB2_10050:                            ;   in Loop: Header=BB2_9597 Depth=3
	s_andn2_saveexec_b64 s[28:29], s[36:37]
; %bb.10051:                            ;   in Loop: Header=BB2_9597 Depth=3
	v_or_b32_e32 v14, 0x7b, v15
; %bb.10052:                            ;   in Loop: Header=BB2_9597 Depth=3
	s_or_b64 exec, exec, s[28:29]
                                        ; implicit-def: $vgpr2
.LBB2_10053:                            ;   in Loop: Header=BB2_9597 Depth=3
	s_andn2_saveexec_b64 s[28:29], s[34:35]
	s_cbranch_execz .LBB2_10059
; %bb.10054:                            ;   in Loop: Header=BB2_9597 Depth=3
	v_cmp_ne_u64_e32 vcc, 0, v[28:29]
                                        ; implicit-def: $vgpr14
	s_and_saveexec_b64 s[34:35], vcc
	s_xor_b64 vcc, exec, s[34:35]
; %bb.10055:                            ;   in Loop: Header=BB2_9597 Depth=3
	v_or_b32_sdwa v14, v2, s47 dst_sel:DWORD dst_unused:UNUSED_PAD src0_sel:BYTE_3 src1_sel:DWORD
                                        ; implicit-def: $vgpr2
; %bb.10056:                            ;   in Loop: Header=BB2_9597 Depth=3
	s_andn2_saveexec_b64 s[34:35], vcc
; %bb.10057:                            ;   in Loop: Header=BB2_9597 Depth=3
	v_cmp_lt_i32_e32 vcc, -1, v2
	v_cndmask_b32_e32 v14, -4, v22, vcc
; %bb.10058:                            ;   in Loop: Header=BB2_9597 Depth=3
	s_or_b64 exec, exec, s[34:35]
.LBB2_10059:                            ;   in Loop: Header=BB2_9597 Depth=3
	s_or_b64 exec, exec, s[28:29]
	v_and_b32_e32 v15, 0xff, v41
	v_cmp_ne_u16_e32 vcc, 0, v15
	v_mov_b32_e32 v2, 0
	v_mov_b32_e32 v3, 0
	s_and_saveexec_b64 s[28:29], vcc
	s_cbranch_execz .LBB2_10067
; %bb.10060:                            ;   in Loop: Header=BB2_9597 Depth=3
	v_cmp_ne_u16_e32 vcc, s96, v15
	v_bfrev_b32_e32 v3, 1
	s_and_saveexec_b64 s[34:35], vcc
	s_cbranch_execz .LBB2_10066
; %bb.10061:                            ;   in Loop: Header=BB2_9597 Depth=3
	v_and_b32_e32 v3, 0x7c, v41
	v_and_b32_e32 v4, 3, v41
	v_cmp_ne_u32_e32 vcc, s85, v3
                                        ; implicit-def: $vgpr3
	s_and_saveexec_b64 s[36:37], vcc
	s_xor_b64 s[36:37], exec, s[36:37]
	s_cbranch_execz .LBB2_10063
; %bb.10062:                            ;   in Loop: Header=BB2_9597 Depth=3
	v_bfe_u32 v3, v15, 2, 5
	v_ffbh_u32_e32 v15, v4
	v_min_u32_e32 v15, 32, v15
	v_mov_b32_e32 v42, v29
	v_subrev_u32_e32 v17, 29, v15
	v_lshlrev_b64 v[38:39], v17, v[41:42]
	v_sub_u32_e32 v15, 30, v15
	v_cmp_eq_u32_e32 vcc, 0, v3
	v_cndmask_b32_e32 v3, v3, v15, vcc
	v_lshlrev_b32_e32 v15, 24, v41
	v_and_b32_e32 v17, 3, v38
	v_and_b32_e32 v15, 0x80000000, v15
	v_cndmask_b32_e32 v4, v4, v17, vcc
	v_lshl_add_u32 v3, v3, 23, v15
	v_lshl_or_b32 v3, v4, 21, v3
	v_add_u32_e32 v3, 0x38000000, v3
                                        ; implicit-def: $vgpr4
                                        ; implicit-def: $vgpr41
.LBB2_10063:                            ;   in Loop: Header=BB2_9597 Depth=3
	s_andn2_saveexec_b64 s[36:37], s[36:37]
; %bb.10064:                            ;   in Loop: Header=BB2_9597 Depth=3
	v_cmp_gt_i16_sdwa vcc, sext(v41), v48 src0_sel:BYTE_0 src1_sel:DWORD
	v_cndmask_b32_e32 v3, v7, v0, vcc
	v_cmp_eq_u32_e32 vcc, 0, v4
	v_cndmask_b32_e32 v3, v35, v3, vcc
; %bb.10065:                            ;   in Loop: Header=BB2_9597 Depth=3
	s_or_b64 exec, exec, s[36:37]
.LBB2_10066:                            ;   in Loop: Header=BB2_9597 Depth=3
	s_or_b64 exec, exec, s[34:35]
.LBB2_10067:                            ;   in Loop: Header=BB2_9597 Depth=3
	s_or_b64 exec, exec, s[28:29]
	v_cmp_ne_u16_e32 vcc, 0, v30
	s_and_saveexec_b64 s[28:29], vcc
	s_cbranch_execz .LBB2_10075
; %bb.10068:                            ;   in Loop: Header=BB2_9597 Depth=3
	v_cmp_ne_u16_e32 vcc, s97, v30
	v_bfrev_b32_e32 v2, 1
	s_and_saveexec_b64 s[34:35], vcc
	s_cbranch_execz .LBB2_10074
; %bb.10069:                            ;   in Loop: Header=BB2_9597 Depth=3
	v_and_b32_e32 v2, 0x7c, v30
	v_and_b32_e32 v4, 3, v30
	v_cmp_ne_u32_e32 vcc, s85, v2
                                        ; implicit-def: $vgpr2
	s_and_saveexec_b64 s[36:37], vcc
	s_xor_b64 s[36:37], exec, s[36:37]
	s_cbranch_execz .LBB2_10071
; %bb.10070:                            ;   in Loop: Header=BB2_9597 Depth=3
	v_ffbh_u32_e32 v15, v4
	v_min_u32_e32 v15, 32, v15
	v_and_b32_e32 v2, 0xff, v30
	v_mov_b32_e32 v31, v29
	v_subrev_u32_e32 v17, 29, v15
	v_bfe_u32 v2, v2, 2, 5
	v_lshlrev_b64 v[38:39], v17, v[30:31]
	v_sub_u32_e32 v15, 30, v15
	v_cmp_eq_u32_e32 vcc, 0, v2
	v_and_b32_e32 v17, 3, v38
	v_cndmask_b32_e32 v2, v2, v15, vcc
	v_and_b32_sdwa v15, sext(v30), s86 dst_sel:DWORD dst_unused:UNUSED_PAD src0_sel:WORD_0 src1_sel:DWORD
	v_cndmask_b32_e32 v4, v4, v17, vcc
	v_lshl_add_u32 v2, v2, 23, v15
	v_lshl_or_b32 v2, v4, 21, v2
	v_add_u32_e32 v2, 0x38000000, v2
                                        ; implicit-def: $vgpr4
                                        ; implicit-def: $vgpr30
.LBB2_10071:                            ;   in Loop: Header=BB2_9597 Depth=3
	s_andn2_saveexec_b64 s[36:37], s[36:37]
; %bb.10072:                            ;   in Loop: Header=BB2_9597 Depth=3
	v_cmp_lt_i16_e32 vcc, -1, v30
	v_cndmask_b32_e32 v2, v7, v0, vcc
	v_cmp_eq_u32_e32 vcc, 0, v4
	v_cndmask_b32_e32 v2, v35, v2, vcc
; %bb.10073:                            ;   in Loop: Header=BB2_9597 Depth=3
	s_or_b64 exec, exec, s[36:37]
.LBB2_10074:                            ;   in Loop: Header=BB2_9597 Depth=3
	s_or_b64 exec, exec, s[34:35]
.LBB2_10075:                            ;   in Loop: Header=BB2_9597 Depth=3
	s_or_b64 exec, exec, s[28:29]
	v_add_f32_e32 v2, v3, v2
	v_and_b32_e32 v3, 0x7f800000, v2
	v_mov_b32_e32 v4, v29
	v_cmp_ne_u64_e32 vcc, s[76:77], v[3:4]
	v_and_b32_e32 v28, 0x7fffff, v2
                                        ; implicit-def: $vgpr15
	s_and_saveexec_b64 s[28:29], vcc
	s_xor_b64 s[34:35], exec, s[28:29]
	s_cbranch_execz .LBB2_10093
; %bb.10076:                            ;   in Loop: Header=BB2_9597 Depth=3
	v_and_b32_e32 v3, 0x7fffffff, v2
	v_mov_b32_e32 v4, v29
	v_cmp_gt_u64_e32 vcc, s[78:79], v[3:4]
	v_and_b32_sdwa v17, v2, s96 dst_sel:DWORD dst_unused:UNUSED_PAD src0_sel:BYTE_3 src1_sel:DWORD
                                        ; implicit-def: $vgpr15
	s_and_saveexec_b64 s[28:29], vcc
	s_xor_b64 s[36:37], exec, s[28:29]
	s_cbranch_execz .LBB2_10090
; %bb.10077:                            ;   in Loop: Header=BB2_9597 Depth=3
	v_cmp_ne_u32_e32 vcc, 0, v2
	v_mov_b32_e32 v15, 0
	s_and_saveexec_b64 s[38:39], vcc
	s_cbranch_execz .LBB2_10089
; %bb.10078:                            ;   in Loop: Header=BB2_9597 Depth=3
	v_bfe_u32 v15, v2, 23, 8
	v_cmp_gt_u32_e64 s[28:29], s46, v15
	v_sub_u32_e32 v2, 0x71, v15
	v_cmp_eq_u32_e32 vcc, 0, v15
	v_cndmask_b32_e64 v2, 0, v2, s[28:29]
	v_mov_b32_e32 v4, 0x70
	v_cndmask_b32_e32 v30, v2, v4, vcc
	v_add_u32_e32 v4, 21, v30
	v_or_b32_e32 v3, 0x800000, v28
	v_lshlrev_b64 v[38:39], v4, -1
	v_cndmask_b32_e32 v2, v3, v28, vcc
	v_mov_b32_e32 v3, v29
	v_add_u32_e32 v4, 20, v30
	v_bfi_b32 v38, v38, 0, v2
	v_lshlrev_b64 v[41:42], v4, 1
	v_lshrrev_b64 v[2:3], v30, v[2:3]
	v_bfi_b32 v39, v39, 0, 0
	v_cmp_eq_u64_e64 s[28:29], v[38:39], v[41:42]
	v_mov_b32_e32 v4, v3
	v_mov_b32_e32 v3, v2
	s_and_saveexec_b64 s[48:49], s[28:29]
; %bb.10079:                            ;   in Loop: Header=BB2_9597 Depth=3
	v_bfe_u32 v3, v2, 21, 1
	v_add_co_u32_e64 v3, s[28:29], v2, v3
	v_add_co_u32_e64 v3, s[28:29], -1, v3
; %bb.10080:                            ;   in Loop: Header=BB2_9597 Depth=3
	s_or_b64 exec, exec, s[48:49]
	v_add_u32_e32 v4, 0xffffff81, v15
	v_cndmask_b32_e32 v4, v4, v1, vcc
	v_lshrrev_b32_e32 v15, 23, v2
	v_add3_u32 v30, v30, v4, v15
	v_add_u32_e32 v15, 14, v30
	v_and_b32_e32 v3, 0x1fffff, v3
	v_add_u32_e32 v28, v3, v2
	v_cmp_ne_u32_e32 vcc, 0, v15
                                        ; implicit-def: $vgpr2_vgpr3
                                        ; implicit-def: $vgpr4
	s_and_saveexec_b64 s[28:29], vcc
	s_xor_b64 s[28:29], exec, s[28:29]
; %bb.10081:                            ;   in Loop: Header=BB2_9597 Depth=3
	v_cmp_lt_u64_e32 vcc, s[88:89], v[28:29]
	v_add_u32_e32 v2, 15, v30
	v_cndmask_b32_e32 v4, v15, v2, vcc
	v_cndmask_b32_e64 v2, 0, 1, vcc
	v_lshrrev_b64 v[2:3], v2, v[28:29]
; %bb.10082:                            ;   in Loop: Header=BB2_9597 Depth=3
	s_andn2_saveexec_b64 s[28:29], s[28:29]
; %bb.10083:                            ;   in Loop: Header=BB2_9597 Depth=3
	v_mov_b32_e32 v2, v28
	v_mov_b32_e32 v3, v29
	v_bfe_u32 v4, v28, 23, 1
; %bb.10084:                            ;   in Loop: Header=BB2_9597 Depth=3
	s_or_b64 exec, exec, s[28:29]
	v_lshrrev_b64 v[2:3], 21, v[2:3]
	v_cmp_gt_i32_e32 vcc, 32, v4
	v_cndmask_b32_e32 v3, 0, v3, vcc
	v_cndmask_b32_e32 v2, 3, v2, vcc
	v_cmp_ne_u64_e32 vcc, 0, v[2:3]
	v_cmp_ne_u32_e64 s[28:29], 0, v4
	s_or_b64 s[28:29], s[28:29], vcc
                                        ; implicit-def: $vgpr15
	s_and_saveexec_b64 vcc, s[28:29]
	s_xor_b64 s[28:29], exec, vcc
; %bb.10085:                            ;   in Loop: Header=BB2_9597 Depth=3
	v_min_i32_e32 v3, 31, v4
	v_lshl_or_b32 v3, v3, 2, v17
	v_and_or_b32 v15, v2, 3, v3
                                        ; implicit-def: $vgpr17
; %bb.10086:                            ;   in Loop: Header=BB2_9597 Depth=3
	s_andn2_saveexec_b64 s[28:29], s[28:29]
; %bb.10087:                            ;   in Loop: Header=BB2_9597 Depth=3
	v_mov_b32_e32 v15, v17
; %bb.10088:                            ;   in Loop: Header=BB2_9597 Depth=3
	s_or_b64 exec, exec, s[28:29]
.LBB2_10089:                            ;   in Loop: Header=BB2_9597 Depth=3
	s_or_b64 exec, exec, s[38:39]
                                        ; implicit-def: $vgpr17
.LBB2_10090:                            ;   in Loop: Header=BB2_9597 Depth=3
	s_andn2_saveexec_b64 s[28:29], s[36:37]
; %bb.10091:                            ;   in Loop: Header=BB2_9597 Depth=3
	v_or_b32_e32 v15, 0x7b, v17
; %bb.10092:                            ;   in Loop: Header=BB2_9597 Depth=3
	s_or_b64 exec, exec, s[28:29]
                                        ; implicit-def: $vgpr2
.LBB2_10093:                            ;   in Loop: Header=BB2_9597 Depth=3
	s_andn2_saveexec_b64 s[28:29], s[34:35]
	s_cbranch_execz .LBB2_10099
; %bb.10094:                            ;   in Loop: Header=BB2_9597 Depth=3
	v_cmp_ne_u64_e32 vcc, 0, v[28:29]
                                        ; implicit-def: $vgpr15
	s_and_saveexec_b64 s[34:35], vcc
	s_xor_b64 vcc, exec, s[34:35]
; %bb.10095:                            ;   in Loop: Header=BB2_9597 Depth=3
	v_or_b32_sdwa v15, v2, s47 dst_sel:DWORD dst_unused:UNUSED_PAD src0_sel:BYTE_3 src1_sel:DWORD
                                        ; implicit-def: $vgpr2
; %bb.10096:                            ;   in Loop: Header=BB2_9597 Depth=3
	s_andn2_saveexec_b64 s[34:35], vcc
; %bb.10097:                            ;   in Loop: Header=BB2_9597 Depth=3
	v_cmp_lt_i32_e32 vcc, -1, v2
	v_cndmask_b32_e32 v15, -4, v22, vcc
; %bb.10098:                            ;   in Loop: Header=BB2_9597 Depth=3
	s_or_b64 exec, exec, s[34:35]
.LBB2_10099:                            ;   in Loop: Header=BB2_9597 Depth=3
	s_or_b64 exec, exec, s[28:29]
	v_and_b32_e32 v17, 0xff, v54
	v_cmp_ne_u16_e32 vcc, 0, v17
	v_mov_b32_e32 v2, 0
	v_mov_b32_e32 v3, 0
	s_and_saveexec_b64 s[28:29], vcc
	s_cbranch_execz .LBB2_10107
; %bb.10100:                            ;   in Loop: Header=BB2_9597 Depth=3
	v_cmp_ne_u16_e32 vcc, s96, v17
	v_bfrev_b32_e32 v3, 1
	s_and_saveexec_b64 s[34:35], vcc
	s_cbranch_execz .LBB2_10106
; %bb.10101:                            ;   in Loop: Header=BB2_9597 Depth=3
	v_and_b32_e32 v3, 0x7c, v54
	v_and_b32_e32 v4, 3, v54
	v_cmp_ne_u32_e32 vcc, s85, v3
                                        ; implicit-def: $vgpr3
	s_and_saveexec_b64 s[36:37], vcc
	s_xor_b64 s[36:37], exec, s[36:37]
	s_cbranch_execz .LBB2_10103
; %bb.10102:                            ;   in Loop: Header=BB2_9597 Depth=3
	v_bfe_u32 v3, v17, 2, 5
	v_ffbh_u32_e32 v17, v4
	v_min_u32_e32 v17, 32, v17
	v_mov_b32_e32 v55, v29
	v_subrev_u32_e32 v28, 29, v17
	v_lshlrev_b64 v[30:31], v28, v[54:55]
	v_sub_u32_e32 v17, 30, v17
	v_cmp_eq_u32_e32 vcc, 0, v3
	v_cndmask_b32_e32 v3, v3, v17, vcc
	v_lshlrev_b32_e32 v17, 24, v54
	v_and_b32_e32 v28, 3, v30
	v_and_b32_e32 v17, 0x80000000, v17
	v_cndmask_b32_e32 v4, v4, v28, vcc
	v_lshl_add_u32 v3, v3, 23, v17
	v_lshl_or_b32 v3, v4, 21, v3
	v_add_u32_e32 v3, 0x38000000, v3
                                        ; implicit-def: $vgpr4
                                        ; implicit-def: $vgpr54
.LBB2_10103:                            ;   in Loop: Header=BB2_9597 Depth=3
	s_andn2_saveexec_b64 s[36:37], s[36:37]
; %bb.10104:                            ;   in Loop: Header=BB2_9597 Depth=3
	v_cmp_gt_i16_sdwa vcc, sext(v54), v48 src0_sel:BYTE_0 src1_sel:DWORD
	v_cndmask_b32_e32 v3, v7, v0, vcc
	v_cmp_eq_u32_e32 vcc, 0, v4
	v_cndmask_b32_e32 v3, v35, v3, vcc
; %bb.10105:                            ;   in Loop: Header=BB2_9597 Depth=3
	s_or_b64 exec, exec, s[36:37]
.LBB2_10106:                            ;   in Loop: Header=BB2_9597 Depth=3
	s_or_b64 exec, exec, s[34:35]
.LBB2_10107:                            ;   in Loop: Header=BB2_9597 Depth=3
	s_or_b64 exec, exec, s[28:29]
	v_cmp_ne_u16_e32 vcc, 0, v16
	s_and_saveexec_b64 s[28:29], vcc
	s_cbranch_execz .LBB2_10115
; %bb.10108:                            ;   in Loop: Header=BB2_9597 Depth=3
	v_cmp_ne_u16_e32 vcc, s97, v16
	v_bfrev_b32_e32 v2, 1
	s_and_saveexec_b64 s[34:35], vcc
	s_cbranch_execz .LBB2_10114
; %bb.10109:                            ;   in Loop: Header=BB2_9597 Depth=3
	v_and_b32_e32 v2, 0x7c, v16
	v_and_b32_e32 v4, 3, v16
	v_cmp_ne_u32_e32 vcc, s85, v2
                                        ; implicit-def: $vgpr2
	s_and_saveexec_b64 s[36:37], vcc
	s_xor_b64 s[36:37], exec, s[36:37]
	s_cbranch_execz .LBB2_10111
; %bb.10110:                            ;   in Loop: Header=BB2_9597 Depth=3
	v_ffbh_u32_e32 v28, v4
	v_min_u32_e32 v28, 32, v28
	v_and_b32_e32 v2, 0xff, v16
	v_mov_b32_e32 v17, v29
	v_subrev_u32_e32 v30, 29, v28
	v_bfe_u32 v2, v2, 2, 5
	v_lshlrev_b64 v[30:31], v30, v[16:17]
	v_sub_u32_e32 v17, 30, v28
	v_cmp_eq_u32_e32 vcc, 0, v2
	v_and_b32_e32 v28, 3, v30
	v_cndmask_b32_e32 v2, v2, v17, vcc
	v_and_b32_sdwa v16, sext(v16), s86 dst_sel:DWORD dst_unused:UNUSED_PAD src0_sel:WORD_0 src1_sel:DWORD
	v_cndmask_b32_e32 v4, v4, v28, vcc
	v_lshl_add_u32 v2, v2, 23, v16
	v_lshl_or_b32 v2, v4, 21, v2
	v_add_u32_e32 v2, 0x38000000, v2
                                        ; implicit-def: $vgpr4
                                        ; implicit-def: $vgpr16
.LBB2_10111:                            ;   in Loop: Header=BB2_9597 Depth=3
	s_andn2_saveexec_b64 s[36:37], s[36:37]
; %bb.10112:                            ;   in Loop: Header=BB2_9597 Depth=3
	v_cmp_lt_i16_e32 vcc, -1, v16
	v_cndmask_b32_e32 v2, v7, v0, vcc
	v_cmp_eq_u32_e32 vcc, 0, v4
	v_cndmask_b32_e32 v2, v35, v2, vcc
; %bb.10113:                            ;   in Loop: Header=BB2_9597 Depth=3
	s_or_b64 exec, exec, s[36:37]
.LBB2_10114:                            ;   in Loop: Header=BB2_9597 Depth=3
	s_or_b64 exec, exec, s[34:35]
.LBB2_10115:                            ;   in Loop: Header=BB2_9597 Depth=3
	s_or_b64 exec, exec, s[28:29]
	v_add_f32_e32 v2, v3, v2
	v_and_b32_e32 v3, 0x7f800000, v2
	v_mov_b32_e32 v4, v29
	v_cmp_ne_u64_e32 vcc, s[76:77], v[3:4]
	v_and_b32_e32 v28, 0x7fffff, v2
                                        ; implicit-def: $vgpr16
	s_and_saveexec_b64 s[28:29], vcc
	s_xor_b64 s[34:35], exec, s[28:29]
	s_cbranch_execz .LBB2_10133
; %bb.10116:                            ;   in Loop: Header=BB2_9597 Depth=3
	v_and_b32_e32 v3, 0x7fffffff, v2
	v_mov_b32_e32 v4, v29
	v_cmp_gt_u64_e32 vcc, s[78:79], v[3:4]
	v_and_b32_sdwa v17, v2, s96 dst_sel:DWORD dst_unused:UNUSED_PAD src0_sel:BYTE_3 src1_sel:DWORD
                                        ; implicit-def: $vgpr16
	s_and_saveexec_b64 s[28:29], vcc
	s_xor_b64 s[36:37], exec, s[28:29]
	s_cbranch_execz .LBB2_10130
; %bb.10117:                            ;   in Loop: Header=BB2_9597 Depth=3
	v_cmp_ne_u32_e32 vcc, 0, v2
	v_mov_b32_e32 v16, 0
	s_and_saveexec_b64 s[38:39], vcc
	s_cbranch_execz .LBB2_10129
; %bb.10118:                            ;   in Loop: Header=BB2_9597 Depth=3
	v_bfe_u32 v16, v2, 23, 8
	v_cmp_gt_u32_e64 s[28:29], s46, v16
	v_sub_u32_e32 v2, 0x71, v16
	v_cmp_eq_u32_e32 vcc, 0, v16
	v_cndmask_b32_e64 v2, 0, v2, s[28:29]
	v_mov_b32_e32 v4, 0x70
	v_cndmask_b32_e32 v30, v2, v4, vcc
	v_add_u32_e32 v4, 21, v30
	v_or_b32_e32 v3, 0x800000, v28
	v_lshlrev_b64 v[38:39], v4, -1
	v_cndmask_b32_e32 v2, v3, v28, vcc
	v_mov_b32_e32 v3, v29
	v_add_u32_e32 v4, 20, v30
	v_bfi_b32 v38, v38, 0, v2
	v_lshlrev_b64 v[54:55], v4, 1
	v_lshrrev_b64 v[2:3], v30, v[2:3]
	v_bfi_b32 v39, v39, 0, 0
	v_cmp_eq_u64_e64 s[28:29], v[38:39], v[54:55]
	v_mov_b32_e32 v4, v3
	v_mov_b32_e32 v3, v2
	s_and_saveexec_b64 s[48:49], s[28:29]
; %bb.10119:                            ;   in Loop: Header=BB2_9597 Depth=3
	v_bfe_u32 v3, v2, 21, 1
	v_add_co_u32_e64 v3, s[28:29], v2, v3
	v_add_co_u32_e64 v3, s[28:29], -1, v3
; %bb.10120:                            ;   in Loop: Header=BB2_9597 Depth=3
	s_or_b64 exec, exec, s[48:49]
	v_add_u32_e32 v4, 0xffffff81, v16
	v_cndmask_b32_e32 v4, v4, v1, vcc
	v_lshrrev_b32_e32 v16, 23, v2
	v_add3_u32 v30, v30, v4, v16
	v_add_u32_e32 v16, 14, v30
	v_and_b32_e32 v3, 0x1fffff, v3
	v_add_u32_e32 v28, v3, v2
	v_cmp_ne_u32_e32 vcc, 0, v16
                                        ; implicit-def: $vgpr2_vgpr3
                                        ; implicit-def: $vgpr4
	s_and_saveexec_b64 s[28:29], vcc
	s_xor_b64 s[28:29], exec, s[28:29]
; %bb.10121:                            ;   in Loop: Header=BB2_9597 Depth=3
	v_cmp_lt_u64_e32 vcc, s[88:89], v[28:29]
	v_add_u32_e32 v2, 15, v30
	v_cndmask_b32_e32 v4, v16, v2, vcc
	v_cndmask_b32_e64 v2, 0, 1, vcc
	v_lshrrev_b64 v[2:3], v2, v[28:29]
; %bb.10122:                            ;   in Loop: Header=BB2_9597 Depth=3
	s_andn2_saveexec_b64 s[28:29], s[28:29]
; %bb.10123:                            ;   in Loop: Header=BB2_9597 Depth=3
	v_mov_b32_e32 v2, v28
	v_mov_b32_e32 v3, v29
	v_bfe_u32 v4, v28, 23, 1
; %bb.10124:                            ;   in Loop: Header=BB2_9597 Depth=3
	s_or_b64 exec, exec, s[28:29]
	v_lshrrev_b64 v[2:3], 21, v[2:3]
	v_cmp_gt_i32_e32 vcc, 32, v4
	v_cndmask_b32_e32 v3, 0, v3, vcc
	v_cndmask_b32_e32 v2, 3, v2, vcc
	v_cmp_ne_u64_e32 vcc, 0, v[2:3]
	v_cmp_ne_u32_e64 s[28:29], 0, v4
	s_or_b64 s[28:29], s[28:29], vcc
                                        ; implicit-def: $vgpr16
	s_and_saveexec_b64 vcc, s[28:29]
	s_xor_b64 s[28:29], exec, vcc
; %bb.10125:                            ;   in Loop: Header=BB2_9597 Depth=3
	v_min_i32_e32 v3, 31, v4
	v_lshl_or_b32 v3, v3, 2, v17
	v_and_or_b32 v16, v2, 3, v3
                                        ; implicit-def: $vgpr17
; %bb.10126:                            ;   in Loop: Header=BB2_9597 Depth=3
	s_andn2_saveexec_b64 s[28:29], s[28:29]
; %bb.10127:                            ;   in Loop: Header=BB2_9597 Depth=3
	v_mov_b32_e32 v16, v17
; %bb.10128:                            ;   in Loop: Header=BB2_9597 Depth=3
	s_or_b64 exec, exec, s[28:29]
.LBB2_10129:                            ;   in Loop: Header=BB2_9597 Depth=3
	s_or_b64 exec, exec, s[38:39]
                                        ; implicit-def: $vgpr17
.LBB2_10130:                            ;   in Loop: Header=BB2_9597 Depth=3
	s_andn2_saveexec_b64 s[28:29], s[36:37]
; %bb.10131:                            ;   in Loop: Header=BB2_9597 Depth=3
	v_or_b32_e32 v16, 0x7b, v17
; %bb.10132:                            ;   in Loop: Header=BB2_9597 Depth=3
	s_or_b64 exec, exec, s[28:29]
                                        ; implicit-def: $vgpr2
.LBB2_10133:                            ;   in Loop: Header=BB2_9597 Depth=3
	s_andn2_saveexec_b64 s[28:29], s[34:35]
	s_cbranch_execz .LBB2_10139
; %bb.10134:                            ;   in Loop: Header=BB2_9597 Depth=3
	v_cmp_ne_u64_e32 vcc, 0, v[28:29]
                                        ; implicit-def: $vgpr16
	s_and_saveexec_b64 s[34:35], vcc
	s_xor_b64 vcc, exec, s[34:35]
; %bb.10135:                            ;   in Loop: Header=BB2_9597 Depth=3
	v_or_b32_sdwa v16, v2, s47 dst_sel:DWORD dst_unused:UNUSED_PAD src0_sel:BYTE_3 src1_sel:DWORD
                                        ; implicit-def: $vgpr2
; %bb.10136:                            ;   in Loop: Header=BB2_9597 Depth=3
	s_andn2_saveexec_b64 s[34:35], vcc
; %bb.10137:                            ;   in Loop: Header=BB2_9597 Depth=3
	v_cmp_lt_i32_e32 vcc, -1, v2
	v_cndmask_b32_e32 v16, -4, v22, vcc
; %bb.10138:                            ;   in Loop: Header=BB2_9597 Depth=3
	s_or_b64 exec, exec, s[34:35]
.LBB2_10139:                            ;   in Loop: Header=BB2_9597 Depth=3
	s_or_b64 exec, exec, s[28:29]
	v_and_b32_e32 v17, 0xff, v53
	v_cmp_ne_u16_e32 vcc, 0, v17
	v_mov_b32_e32 v2, 0
	v_mov_b32_e32 v3, 0
	s_and_saveexec_b64 s[28:29], vcc
	s_cbranch_execz .LBB2_10147
; %bb.10140:                            ;   in Loop: Header=BB2_9597 Depth=3
	v_cmp_ne_u16_e32 vcc, s96, v17
	v_bfrev_b32_e32 v3, 1
	s_and_saveexec_b64 s[34:35], vcc
	s_cbranch_execz .LBB2_10146
; %bb.10141:                            ;   in Loop: Header=BB2_9597 Depth=3
	v_and_b32_e32 v3, 0x7c, v53
	v_and_b32_e32 v4, 3, v53
	v_cmp_ne_u32_e32 vcc, s85, v3
                                        ; implicit-def: $vgpr3
	s_and_saveexec_b64 s[36:37], vcc
	s_xor_b64 s[36:37], exec, s[36:37]
	s_cbranch_execz .LBB2_10143
; %bb.10142:                            ;   in Loop: Header=BB2_9597 Depth=3
	v_bfe_u32 v3, v17, 2, 5
	v_ffbh_u32_e32 v17, v4
	v_min_u32_e32 v17, 32, v17
	v_mov_b32_e32 v54, v29
	v_subrev_u32_e32 v28, 29, v17
	v_lshlrev_b64 v[30:31], v28, v[53:54]
	v_sub_u32_e32 v17, 30, v17
	v_cmp_eq_u32_e32 vcc, 0, v3
	v_cndmask_b32_e32 v3, v3, v17, vcc
	v_lshlrev_b32_e32 v17, 24, v53
	v_and_b32_e32 v28, 3, v30
	v_and_b32_e32 v17, 0x80000000, v17
	v_cndmask_b32_e32 v4, v4, v28, vcc
	v_lshl_add_u32 v3, v3, 23, v17
	v_lshl_or_b32 v3, v4, 21, v3
	v_add_u32_e32 v3, 0x38000000, v3
                                        ; implicit-def: $vgpr4
                                        ; implicit-def: $vgpr53
.LBB2_10143:                            ;   in Loop: Header=BB2_9597 Depth=3
	s_andn2_saveexec_b64 s[36:37], s[36:37]
; %bb.10144:                            ;   in Loop: Header=BB2_9597 Depth=3
	v_cmp_gt_i16_sdwa vcc, sext(v53), v48 src0_sel:BYTE_0 src1_sel:DWORD
	v_cndmask_b32_e32 v3, v7, v0, vcc
	v_cmp_eq_u32_e32 vcc, 0, v4
	v_cndmask_b32_e32 v3, v35, v3, vcc
; %bb.10145:                            ;   in Loop: Header=BB2_9597 Depth=3
	s_or_b64 exec, exec, s[36:37]
.LBB2_10146:                            ;   in Loop: Header=BB2_9597 Depth=3
	s_or_b64 exec, exec, s[34:35]
.LBB2_10147:                            ;   in Loop: Header=BB2_9597 Depth=3
	s_or_b64 exec, exec, s[28:29]
	v_cmp_ne_u16_e32 vcc, 0, v40
	s_and_saveexec_b64 s[28:29], vcc
	s_cbranch_execz .LBB2_10155
; %bb.10148:                            ;   in Loop: Header=BB2_9597 Depth=3
	v_cmp_ne_u16_e32 vcc, s97, v40
	v_bfrev_b32_e32 v2, 1
	s_and_saveexec_b64 s[34:35], vcc
	s_cbranch_execz .LBB2_10154
; %bb.10149:                            ;   in Loop: Header=BB2_9597 Depth=3
	v_and_b32_e32 v2, 0x7c, v40
	v_and_b32_e32 v4, 3, v40
	v_cmp_ne_u32_e32 vcc, s85, v2
                                        ; implicit-def: $vgpr2
	s_and_saveexec_b64 s[36:37], vcc
	s_xor_b64 s[36:37], exec, s[36:37]
	s_cbranch_execz .LBB2_10151
; %bb.10150:                            ;   in Loop: Header=BB2_9597 Depth=3
	v_ffbh_u32_e32 v17, v4
	v_min_u32_e32 v17, 32, v17
	v_and_b32_e32 v2, 0xff, v40
	v_mov_b32_e32 v41, v29
	v_subrev_u32_e32 v28, 29, v17
	v_bfe_u32 v2, v2, 2, 5
	v_lshlrev_b64 v[30:31], v28, v[40:41]
	v_sub_u32_e32 v17, 30, v17
	v_cmp_eq_u32_e32 vcc, 0, v2
	v_and_b32_e32 v28, 3, v30
	v_cndmask_b32_e32 v2, v2, v17, vcc
	v_and_b32_sdwa v17, sext(v40), s86 dst_sel:DWORD dst_unused:UNUSED_PAD src0_sel:WORD_0 src1_sel:DWORD
	v_cndmask_b32_e32 v4, v4, v28, vcc
	v_lshl_add_u32 v2, v2, 23, v17
	v_lshl_or_b32 v2, v4, 21, v2
	v_add_u32_e32 v2, 0x38000000, v2
                                        ; implicit-def: $vgpr4
                                        ; implicit-def: $vgpr40
.LBB2_10151:                            ;   in Loop: Header=BB2_9597 Depth=3
	s_andn2_saveexec_b64 s[36:37], s[36:37]
; %bb.10152:                            ;   in Loop: Header=BB2_9597 Depth=3
	v_cmp_lt_i16_e32 vcc, -1, v40
	v_cndmask_b32_e32 v2, v7, v0, vcc
	v_cmp_eq_u32_e32 vcc, 0, v4
	v_cndmask_b32_e32 v2, v35, v2, vcc
; %bb.10153:                            ;   in Loop: Header=BB2_9597 Depth=3
	s_or_b64 exec, exec, s[36:37]
.LBB2_10154:                            ;   in Loop: Header=BB2_9597 Depth=3
	s_or_b64 exec, exec, s[34:35]
.LBB2_10155:                            ;   in Loop: Header=BB2_9597 Depth=3
	s_or_b64 exec, exec, s[28:29]
	v_add_f32_e32 v2, v3, v2
	v_and_b32_e32 v3, 0x7f800000, v2
	v_mov_b32_e32 v4, v29
	v_cmp_ne_u64_e32 vcc, s[76:77], v[3:4]
	v_and_b32_e32 v28, 0x7fffff, v2
                                        ; implicit-def: $vgpr3
	s_and_saveexec_b64 s[28:29], vcc
	s_xor_b64 s[34:35], exec, s[28:29]
	s_cbranch_execz .LBB2_10173
; %bb.10156:                            ;   in Loop: Header=BB2_9597 Depth=3
	v_and_b32_e32 v3, 0x7fffffff, v2
	v_mov_b32_e32 v4, v29
	v_cmp_gt_u64_e32 vcc, s[78:79], v[3:4]
	v_and_b32_sdwa v17, v2, s96 dst_sel:DWORD dst_unused:UNUSED_PAD src0_sel:BYTE_3 src1_sel:DWORD
                                        ; implicit-def: $vgpr3
	s_and_saveexec_b64 s[28:29], vcc
	s_xor_b64 s[36:37], exec, s[28:29]
	s_cbranch_execz .LBB2_10170
; %bb.10157:                            ;   in Loop: Header=BB2_9597 Depth=3
	v_cmp_ne_u32_e32 vcc, 0, v2
	v_mov_b32_e32 v3, 0
	s_and_saveexec_b64 s[38:39], vcc
	s_cbranch_execz .LBB2_10169
; %bb.10158:                            ;   in Loop: Header=BB2_9597 Depth=3
	v_bfe_u32 v30, v2, 23, 8
	v_cmp_gt_u32_e64 s[28:29], s46, v30
	v_sub_u32_e32 v2, 0x71, v30
	v_cmp_eq_u32_e32 vcc, 0, v30
	v_cndmask_b32_e64 v2, 0, v2, s[28:29]
	v_mov_b32_e32 v4, 0x70
	v_cndmask_b32_e32 v31, v2, v4, vcc
	v_add_u32_e32 v4, 21, v31
	v_or_b32_e32 v3, 0x800000, v28
	v_lshlrev_b64 v[38:39], v4, -1
	v_cndmask_b32_e32 v2, v3, v28, vcc
	v_mov_b32_e32 v3, v29
	v_add_u32_e32 v4, 20, v31
	v_bfi_b32 v38, v38, 0, v2
	v_lshlrev_b64 v[53:54], v4, 1
	v_lshrrev_b64 v[2:3], v31, v[2:3]
	v_bfi_b32 v39, v39, 0, 0
	v_cmp_eq_u64_e64 s[28:29], v[38:39], v[53:54]
	v_mov_b32_e32 v4, v3
	v_mov_b32_e32 v3, v2
	s_and_saveexec_b64 s[48:49], s[28:29]
; %bb.10159:                            ;   in Loop: Header=BB2_9597 Depth=3
	v_bfe_u32 v3, v2, 21, 1
	v_add_co_u32_e64 v3, s[28:29], v2, v3
	v_add_co_u32_e64 v3, s[28:29], -1, v3
; %bb.10160:                            ;   in Loop: Header=BB2_9597 Depth=3
	s_or_b64 exec, exec, s[48:49]
	v_add_u32_e32 v4, 0xffffff81, v30
	v_cndmask_b32_e32 v4, v4, v1, vcc
	v_lshrrev_b32_e32 v28, 23, v2
	v_add3_u32 v31, v31, v4, v28
	v_add_u32_e32 v30, 14, v31
	v_and_b32_e32 v3, 0x1fffff, v3
	v_add_u32_e32 v28, v3, v2
	v_cmp_ne_u32_e32 vcc, 0, v30
                                        ; implicit-def: $vgpr2_vgpr3
                                        ; implicit-def: $vgpr4
	s_and_saveexec_b64 s[28:29], vcc
	s_xor_b64 s[28:29], exec, s[28:29]
; %bb.10161:                            ;   in Loop: Header=BB2_9597 Depth=3
	v_cmp_lt_u64_e32 vcc, s[88:89], v[28:29]
	v_add_u32_e32 v2, 15, v31
	v_cndmask_b32_e32 v4, v30, v2, vcc
	v_cndmask_b32_e64 v2, 0, 1, vcc
	v_lshrrev_b64 v[2:3], v2, v[28:29]
; %bb.10162:                            ;   in Loop: Header=BB2_9597 Depth=3
	s_andn2_saveexec_b64 s[28:29], s[28:29]
; %bb.10163:                            ;   in Loop: Header=BB2_9597 Depth=3
	v_mov_b32_e32 v2, v28
	v_mov_b32_e32 v3, v29
	v_bfe_u32 v4, v28, 23, 1
; %bb.10164:                            ;   in Loop: Header=BB2_9597 Depth=3
	s_or_b64 exec, exec, s[28:29]
	v_lshrrev_b64 v[2:3], 21, v[2:3]
	v_cmp_gt_i32_e32 vcc, 32, v4
	v_cndmask_b32_e32 v3, 0, v3, vcc
	v_cndmask_b32_e32 v2, 3, v2, vcc
	v_cmp_ne_u64_e32 vcc, 0, v[2:3]
	v_cmp_ne_u32_e64 s[28:29], 0, v4
	s_or_b64 s[28:29], s[28:29], vcc
                                        ; implicit-def: $vgpr3
	s_and_saveexec_b64 vcc, s[28:29]
	s_xor_b64 s[28:29], exec, vcc
; %bb.10165:                            ;   in Loop: Header=BB2_9597 Depth=3
	v_min_i32_e32 v3, 31, v4
	v_lshl_or_b32 v3, v3, 2, v17
	v_and_or_b32 v3, v2, 3, v3
                                        ; implicit-def: $vgpr17
; %bb.10166:                            ;   in Loop: Header=BB2_9597 Depth=3
	s_andn2_saveexec_b64 s[28:29], s[28:29]
; %bb.10167:                            ;   in Loop: Header=BB2_9597 Depth=3
	v_mov_b32_e32 v3, v17
; %bb.10168:                            ;   in Loop: Header=BB2_9597 Depth=3
	s_or_b64 exec, exec, s[28:29]
.LBB2_10169:                            ;   in Loop: Header=BB2_9597 Depth=3
	s_or_b64 exec, exec, s[38:39]
                                        ; implicit-def: $vgpr17
.LBB2_10170:                            ;   in Loop: Header=BB2_9597 Depth=3
	s_andn2_saveexec_b64 s[28:29], s[36:37]
; %bb.10171:                            ;   in Loop: Header=BB2_9597 Depth=3
	v_or_b32_e32 v3, 0x7b, v17
; %bb.10172:                            ;   in Loop: Header=BB2_9597 Depth=3
	s_or_b64 exec, exec, s[28:29]
                                        ; implicit-def: $vgpr2
.LBB2_10173:                            ;   in Loop: Header=BB2_9597 Depth=3
	s_andn2_saveexec_b64 s[28:29], s[34:35]
	s_cbranch_execz .LBB2_9596
; %bb.10174:                            ;   in Loop: Header=BB2_9597 Depth=3
	v_cmp_ne_u64_e32 vcc, 0, v[28:29]
                                        ; implicit-def: $vgpr3
	s_and_saveexec_b64 s[34:35], vcc
	s_xor_b64 vcc, exec, s[34:35]
; %bb.10175:                            ;   in Loop: Header=BB2_9597 Depth=3
	v_or_b32_sdwa v3, v2, s47 dst_sel:DWORD dst_unused:UNUSED_PAD src0_sel:BYTE_3 src1_sel:DWORD
                                        ; implicit-def: $vgpr2
; %bb.10176:                            ;   in Loop: Header=BB2_9597 Depth=3
	s_andn2_saveexec_b64 s[34:35], vcc
	s_cbranch_execz .LBB2_9595
; %bb.10177:                            ;   in Loop: Header=BB2_9597 Depth=3
	v_cmp_lt_i32_e32 vcc, -1, v2
	v_cndmask_b32_e32 v3, -4, v22, vcc
	s_branch .LBB2_9595
.LBB2_10178:                            ;   in Loop: Header=BB2_4813 Depth=2
	s_or_b64 exec, exec, s[30:31]
.LBB2_10179:                            ;   in Loop: Header=BB2_4813 Depth=2
	s_or_b64 exec, exec, s[42:43]
	v_lshlrev_b32_e32 v2, 9, v58
	v_cmp_ne_u32_e32 vcc, v37, v2
	s_and_b64 exec, exec, vcc
	s_cbranch_execz .LBB2_10261
; %bb.10180:                            ;   in Loop: Header=BB2_4813 Depth=2
	v_lshlrev_b32_e32 v3, 6, v57
	v_sub_u32_e32 v3, v56, v3
	v_lshlrev_b32_e32 v4, 6, v23
	v_sub_u32_e32 v3, v3, v4
	v_add_u32_e32 v2, v2, v3
	v_sub_u32_e32 v16, v37, v2
	v_cmp_lt_i32_e32 vcc, 0, v16
	s_and_b64 exec, exec, vcc
	s_cbranch_execz .LBB2_10261
; %bb.10181:                            ;   in Loop: Header=BB2_4813 Depth=2
	v_add_u32_e32 v14, v2, v47
	s_trap 2
	ds_read_b128 v[2:5], v0
	v_ashrrev_i32_e32 v15, 31, v14
	s_mov_b64 s[42:43], 0
	s_waitcnt lgkmcnt(0)
	v_add_co_u32_e32 v8, vcc, v2, v14
	v_addc_co_u32_e32 v9, vcc, v3, v15, vcc
	ds_read_b64 v[2:3], v0
	v_add_co_u32_e32 v10, vcc, v4, v14
	v_addc_co_u32_e32 v11, vcc, v5, v15, vcc
	s_waitcnt lgkmcnt(0)
	v_add_co_u32_e32 v14, vcc, v2, v14
	v_addc_co_u32_e32 v15, vcc, v3, v15, vcc
	s_branch .LBB2_10184
.LBB2_10182:                            ;   in Loop: Header=BB2_10184 Depth=3
	s_or_b64 exec, exec, s[30:31]
.LBB2_10183:                            ;   in Loop: Header=BB2_10184 Depth=3
	s_or_b64 exec, exec, s[28:29]
	buffer_load_dword v2, off, s[0:3], s33 offset:64 ; 4-byte Folded Reload
	s_waitcnt vmcnt(0)
	v_add_co_u32_e32 v8, vcc, v8, v2
	v_addc_co_u32_e32 v9, vcc, 0, v9, vcc
	v_add_co_u32_e32 v10, vcc, v10, v2
	v_addc_co_u32_e32 v11, vcc, 0, v11, vcc
	v_sub_u32_e32 v16, v16, v2
	v_cmp_gt_i32_e32 vcc, 1, v16
	flat_store_byte v[14:15], v3 glc slc
	s_or_b64 s[42:43], vcc, s[42:43]
	v_add_co_u32_e32 v14, vcc, v14, v2
	v_addc_co_u32_e32 v15, vcc, 0, v15, vcc
	s_andn2_b64 exec, exec, s[42:43]
	s_cbranch_execz .LBB2_10261
.LBB2_10184:                            ;   Parent Loop BB2_47 Depth=1
                                        ;     Parent Loop BB2_4813 Depth=2
                                        ; =>    This Inner Loop Header: Depth=3
	s_trap 2
	ds_read_b64 v[2:3], v0
	v_mov_b32_e32 v4, 0
	s_waitcnt lgkmcnt(0)
	v_cmp_eq_u32_sdwa vcc, v2, v29 src0_sel:BYTE_0 src1_sel:DWORD
	v_readfirstlane_b32 s28, v2
	v_readfirstlane_b32 s29, v3
	v_mov_b32_e32 v3, 0
	s_and_b64 vcc, exec, vcc
	s_cbranch_vccnz .LBB2_10190
; %bb.10185:                            ;   in Loop: Header=BB2_10184 Depth=3
	s_bfe_i32 s30, s28, 0x80000
	s_and_b32 vcc_lo, 0xffff, s30
	s_cmpk_eq_u32 vcc_lo, 0xff80
	v_bfrev_b32_e32 v4, 1
	s_cbranch_scc1 .LBB2_10190
; %bb.10186:                            ;   in Loop: Header=BB2_10184 Depth=3
	s_and_b32 s31, s28, 3
	s_and_b32 vcc_lo, s28, 0x7c
	s_cmpk_lg_i32 vcc_lo, 0x7c
	s_mov_b64 vcc, -1
                                        ; implicit-def: $sgpr34
	s_cbranch_scc0 .LBB2_10188
; %bb.10187:                            ;   in Loop: Header=BB2_10184 Depth=3
	s_flbit_i32_b32 vcc_hi, s31
	s_min_u32 vcc_hi, vcc_hi, 32
	s_sub_i32 s34, vcc_hi, 29
	s_bfe_u32 vcc_lo, s28, 0x50002
	s_lshl_b64 s[28:29], s[28:29], s34
	s_sub_i32 s29, 30, vcc_hi
	s_and_b32 s28, s28, 3
	s_cmp_eq_u32 vcc_lo, 0
	s_cselect_b32 s29, s29, vcc_lo
	s_sext_i32_i16 vcc_lo, s30
	s_cselect_b32 s28, s28, s31
	s_and_b32 vcc_lo, vcc_lo, 0x80000000
	s_lshl_b32 s29, s29, 23
	s_add_i32 s29, s29, vcc_lo
	s_lshl_b32 s28, s28, 21
	s_or_b32 s28, s29, s28
	s_add_i32 s34, s28, 0x38000000
	s_mov_b64 vcc, 0
.LBB2_10188:                            ;   in Loop: Header=BB2_10184 Depth=3
	s_andn2_b64 vcc, exec, vcc
	v_mov_b32_e32 v4, s34
	s_cbranch_vccnz .LBB2_10190
; %bb.10189:                            ;   in Loop: Header=BB2_10184 Depth=3
	s_cmp_eq_u32 s31, 0
	s_sext_i32_i16 s28, s30
	s_cselect_b64 vcc, -1, 0
	s_cmp_gt_i32 s28, -1
	s_cselect_b64 s[28:29], -1, 0
	v_cndmask_b32_e64 v2, v7, v0, s[28:29]
	v_cndmask_b32_e32 v4, v35, v2, vcc
.LBB2_10190:                            ;   in Loop: Header=BB2_10184 Depth=3
	flat_load_sbyte v2, v[8:9] glc slc
	s_waitcnt vmcnt(0) lgkmcnt(0)
	v_cmp_ne_u16_e32 vcc, 0, v2
	s_and_saveexec_b64 s[28:29], vcc
	s_cbranch_execz .LBB2_10198
; %bb.10191:                            ;   in Loop: Header=BB2_10184 Depth=3
	v_cmp_ne_u16_e32 vcc, s97, v2
	v_bfrev_b32_e32 v3, 1
	s_and_saveexec_b64 s[30:31], vcc
	s_cbranch_execz .LBB2_10197
; %bb.10192:                            ;   in Loop: Header=BB2_10184 Depth=3
	v_and_b32_e32 v3, 0x7c, v2
	v_and_b32_e32 v5, 3, v2
	v_cmp_ne_u32_e32 vcc, s85, v3
                                        ; implicit-def: $vgpr3
	s_and_saveexec_b64 s[34:35], vcc
	s_xor_b64 s[34:35], exec, s[34:35]
	s_cbranch_execz .LBB2_10194
; %bb.10193:                            ;   in Loop: Header=BB2_10184 Depth=3
	v_and_b32_e32 v17, 0xff, v2
	v_bfe_u32 v23, v17, 2, 5
	v_ffbh_u32_e32 v17, v5
	v_min_u32_e32 v28, 32, v17
	v_mov_b32_e32 v3, v29
	v_subrev_u32_e32 v17, 29, v28
	v_lshlrev_b64 v[17:18], v17, v[2:3]
	v_sub_u32_e32 v3, 30, v28
	v_cmp_eq_u32_e32 vcc, 0, v23
	v_and_b32_e32 v17, 3, v17
	v_cndmask_b32_e32 v3, v23, v3, vcc
	v_and_b32_sdwa v2, sext(v2), s86 dst_sel:DWORD dst_unused:UNUSED_PAD src0_sel:WORD_0 src1_sel:DWORD
	v_cndmask_b32_e32 v5, v5, v17, vcc
	v_lshl_add_u32 v2, v3, 23, v2
	v_lshl_or_b32 v2, v5, 21, v2
	v_add_u32_e32 v3, 0x38000000, v2
                                        ; implicit-def: $vgpr5
                                        ; implicit-def: $vgpr2
.LBB2_10194:                            ;   in Loop: Header=BB2_10184 Depth=3
	s_andn2_saveexec_b64 s[34:35], s[34:35]
; %bb.10195:                            ;   in Loop: Header=BB2_10184 Depth=3
	v_cmp_lt_i16_e32 vcc, -1, v2
	v_cndmask_b32_e32 v2, v7, v0, vcc
	v_cmp_eq_u32_e32 vcc, 0, v5
	v_cndmask_b32_e32 v3, v35, v2, vcc
; %bb.10196:                            ;   in Loop: Header=BB2_10184 Depth=3
	s_or_b64 exec, exec, s[34:35]
.LBB2_10197:                            ;   in Loop: Header=BB2_10184 Depth=3
	s_or_b64 exec, exec, s[30:31]
.LBB2_10198:                            ;   in Loop: Header=BB2_10184 Depth=3
	s_or_b64 exec, exec, s[28:29]
	v_mul_f32_e32 v2, v4, v3
	v_and_b32_e32 v3, 0x7f800000, v2
	v_mov_b32_e32 v4, v29
	v_cmp_ne_u64_e32 vcc, s[76:77], v[3:4]
	v_and_b32_e32 v28, 0x7fffff, v2
                                        ; implicit-def: $vgpr4
	s_and_saveexec_b64 s[28:29], vcc
	s_xor_b64 s[30:31], exec, s[28:29]
	s_cbranch_execz .LBB2_10216
; %bb.10199:                            ;   in Loop: Header=BB2_10184 Depth=3
	v_and_b32_e32 v3, 0x7fffffff, v2
	v_mov_b32_e32 v4, v29
	v_cmp_gt_u64_e32 vcc, s[78:79], v[3:4]
	v_and_b32_sdwa v5, v2, s96 dst_sel:DWORD dst_unused:UNUSED_PAD src0_sel:BYTE_3 src1_sel:DWORD
                                        ; implicit-def: $vgpr4
	s_and_saveexec_b64 s[28:29], vcc
	s_xor_b64 s[34:35], exec, s[28:29]
	s_cbranch_execz .LBB2_10213
; %bb.10200:                            ;   in Loop: Header=BB2_10184 Depth=3
	v_cmp_ne_u32_e32 vcc, 0, v2
	v_mov_b32_e32 v4, 0
	s_and_saveexec_b64 s[36:37], vcc
	s_cbranch_execz .LBB2_10212
; %bb.10201:                            ;   in Loop: Header=BB2_10184 Depth=3
	v_bfe_u32 v17, v2, 23, 8
	v_cmp_gt_u32_e64 s[28:29], s46, v17
	v_sub_u32_e32 v2, 0x71, v17
	v_cmp_eq_u32_e32 vcc, 0, v17
	v_cndmask_b32_e64 v2, 0, v2, s[28:29]
	v_mov_b32_e32 v4, 0x70
	v_cndmask_b32_e32 v18, v2, v4, vcc
	v_add_u32_e32 v4, 21, v18
	v_or_b32_e32 v3, 0x800000, v28
	v_lshlrev_b64 v[30:31], v4, -1
	v_cndmask_b32_e32 v2, v3, v28, vcc
	v_mov_b32_e32 v3, v29
	v_add_u32_e32 v4, 20, v18
	v_bfi_b32 v30, v30, 0, v2
	v_lshlrev_b64 v[32:33], v4, 1
	v_lshrrev_b64 v[2:3], v18, v[2:3]
	v_bfi_b32 v31, v31, 0, 0
	v_cmp_eq_u64_e64 s[28:29], v[30:31], v[32:33]
	v_mov_b32_e32 v4, v3
	v_mov_b32_e32 v3, v2
	s_and_saveexec_b64 s[38:39], s[28:29]
; %bb.10202:                            ;   in Loop: Header=BB2_10184 Depth=3
	v_bfe_u32 v3, v2, 21, 1
	v_add_co_u32_e64 v3, s[28:29], v2, v3
	v_add_co_u32_e64 v3, s[28:29], -1, v3
; %bb.10203:                            ;   in Loop: Header=BB2_10184 Depth=3
	s_or_b64 exec, exec, s[38:39]
	v_add_u32_e32 v4, 0xffffff81, v17
	v_cndmask_b32_e32 v4, v4, v1, vcc
	v_lshrrev_b32_e32 v17, 23, v2
	v_add3_u32 v18, v18, v4, v17
	v_add_u32_e32 v4, 14, v18
	v_and_b32_e32 v3, 0x1fffff, v3
	v_add_u32_e32 v28, v3, v2
	v_cmp_ne_u32_e32 vcc, 0, v4
                                        ; implicit-def: $vgpr2_vgpr3
                                        ; implicit-def: $vgpr17
	s_and_saveexec_b64 s[28:29], vcc
	s_xor_b64 s[28:29], exec, s[28:29]
; %bb.10204:                            ;   in Loop: Header=BB2_10184 Depth=3
	v_cmp_lt_u64_e32 vcc, s[88:89], v[28:29]
	v_add_u32_e32 v2, 15, v18
	v_cndmask_b32_e32 v17, v4, v2, vcc
	v_cndmask_b32_e64 v2, 0, 1, vcc
	v_lshrrev_b64 v[2:3], v2, v[28:29]
; %bb.10205:                            ;   in Loop: Header=BB2_10184 Depth=3
	s_andn2_saveexec_b64 s[28:29], s[28:29]
; %bb.10206:                            ;   in Loop: Header=BB2_10184 Depth=3
	v_mov_b32_e32 v2, v28
	v_mov_b32_e32 v3, v29
	v_bfe_u32 v17, v28, 23, 1
; %bb.10207:                            ;   in Loop: Header=BB2_10184 Depth=3
	s_or_b64 exec, exec, s[28:29]
	v_lshrrev_b64 v[2:3], 21, v[2:3]
	v_cmp_gt_i32_e32 vcc, 32, v17
	v_cndmask_b32_e32 v3, 0, v3, vcc
	v_cndmask_b32_e32 v2, 3, v2, vcc
	v_cmp_ne_u64_e32 vcc, 0, v[2:3]
	v_cmp_ne_u32_e64 s[28:29], 0, v17
	s_or_b64 s[28:29], s[28:29], vcc
                                        ; implicit-def: $vgpr4
	s_and_saveexec_b64 vcc, s[28:29]
	s_xor_b64 s[28:29], exec, vcc
; %bb.10208:                            ;   in Loop: Header=BB2_10184 Depth=3
	v_min_i32_e32 v3, 31, v17
	v_lshl_or_b32 v3, v3, 2, v5
	v_and_or_b32 v4, v2, 3, v3
                                        ; implicit-def: $vgpr5
; %bb.10209:                            ;   in Loop: Header=BB2_10184 Depth=3
	s_andn2_saveexec_b64 s[28:29], s[28:29]
; %bb.10210:                            ;   in Loop: Header=BB2_10184 Depth=3
	v_mov_b32_e32 v4, v5
; %bb.10211:                            ;   in Loop: Header=BB2_10184 Depth=3
	s_or_b64 exec, exec, s[28:29]
.LBB2_10212:                            ;   in Loop: Header=BB2_10184 Depth=3
	s_or_b64 exec, exec, s[36:37]
                                        ; implicit-def: $vgpr5
.LBB2_10213:                            ;   in Loop: Header=BB2_10184 Depth=3
	s_andn2_saveexec_b64 s[28:29], s[34:35]
; %bb.10214:                            ;   in Loop: Header=BB2_10184 Depth=3
	v_or_b32_e32 v4, 0x7b, v5
; %bb.10215:                            ;   in Loop: Header=BB2_10184 Depth=3
	s_or_b64 exec, exec, s[28:29]
                                        ; implicit-def: $vgpr2
.LBB2_10216:                            ;   in Loop: Header=BB2_10184 Depth=3
	s_andn2_saveexec_b64 s[28:29], s[30:31]
	s_cbranch_execz .LBB2_10222
; %bb.10217:                            ;   in Loop: Header=BB2_10184 Depth=3
	v_cmp_ne_u64_e32 vcc, 0, v[28:29]
                                        ; implicit-def: $vgpr4
	s_and_saveexec_b64 s[30:31], vcc
	s_xor_b64 vcc, exec, s[30:31]
; %bb.10218:                            ;   in Loop: Header=BB2_10184 Depth=3
	v_or_b32_sdwa v4, v2, s47 dst_sel:DWORD dst_unused:UNUSED_PAD src0_sel:BYTE_3 src1_sel:DWORD
                                        ; implicit-def: $vgpr2
; %bb.10219:                            ;   in Loop: Header=BB2_10184 Depth=3
	s_andn2_saveexec_b64 s[30:31], vcc
; %bb.10220:                            ;   in Loop: Header=BB2_10184 Depth=3
	v_cmp_lt_i32_e32 vcc, -1, v2
	v_cndmask_b32_e32 v4, -4, v22, vcc
; %bb.10221:                            ;   in Loop: Header=BB2_10184 Depth=3
	s_or_b64 exec, exec, s[30:31]
.LBB2_10222:                            ;   in Loop: Header=BB2_10184 Depth=3
	s_or_b64 exec, exec, s[28:29]
	flat_load_sbyte v2, v[10:11] glc slc
	v_and_b32_e32 v18, 0xff, v4
	v_cmp_ne_u16_e32 vcc, 0, v18
	v_mov_b32_e32 v3, 0
	v_mov_b32_e32 v5, 0
	s_and_saveexec_b64 s[28:29], vcc
	s_cbranch_execz .LBB2_10230
; %bb.10223:                            ;   in Loop: Header=BB2_10184 Depth=3
	v_cmp_ne_u16_e32 vcc, s96, v18
	v_bfrev_b32_e32 v5, 1
	s_and_saveexec_b64 s[30:31], vcc
	s_cbranch_execz .LBB2_10229
; %bb.10224:                            ;   in Loop: Header=BB2_10184 Depth=3
	v_and_b32_e32 v5, 0x7c, v4
	v_and_b32_e32 v17, 3, v4
	v_cmp_ne_u32_e32 vcc, s85, v5
                                        ; implicit-def: $vgpr5
	s_and_saveexec_b64 s[34:35], vcc
	s_xor_b64 s[34:35], exec, s[34:35]
	s_cbranch_execz .LBB2_10226
; %bb.10225:                            ;   in Loop: Header=BB2_10184 Depth=3
	v_ffbh_u32_e32 v23, v17
	v_min_u32_e32 v23, 32, v23
	v_mov_b32_e32 v5, v29
	v_subrev_u32_e32 v28, 29, v23
	v_bfe_u32 v18, v18, 2, 5
	v_lshlrev_b64 v[30:31], v28, v[4:5]
	v_sub_u32_e32 v5, 30, v23
	v_cmp_eq_u32_e32 vcc, 0, v18
	v_lshlrev_b32_e32 v4, 24, v4
	v_and_b32_e32 v23, 3, v30
	v_cndmask_b32_e32 v5, v18, v5, vcc
	v_and_b32_e32 v4, 0x80000000, v4
	v_cndmask_b32_e32 v17, v17, v23, vcc
	v_lshl_add_u32 v4, v5, 23, v4
	v_lshl_or_b32 v4, v17, 21, v4
	v_add_u32_e32 v5, 0x38000000, v4
                                        ; implicit-def: $vgpr17
                                        ; implicit-def: $vgpr4
.LBB2_10226:                            ;   in Loop: Header=BB2_10184 Depth=3
	s_andn2_saveexec_b64 s[34:35], s[34:35]
; %bb.10227:                            ;   in Loop: Header=BB2_10184 Depth=3
	v_cmp_gt_i16_sdwa vcc, sext(v4), v48 src0_sel:BYTE_0 src1_sel:DWORD
	v_cndmask_b32_e32 v4, v7, v0, vcc
	v_cmp_eq_u32_e32 vcc, 0, v17
	v_cndmask_b32_e32 v5, v35, v4, vcc
; %bb.10228:                            ;   in Loop: Header=BB2_10184 Depth=3
	s_or_b64 exec, exec, s[34:35]
.LBB2_10229:                            ;   in Loop: Header=BB2_10184 Depth=3
	s_or_b64 exec, exec, s[30:31]
.LBB2_10230:                            ;   in Loop: Header=BB2_10184 Depth=3
	s_or_b64 exec, exec, s[28:29]
	s_waitcnt vmcnt(0) lgkmcnt(0)
	v_cmp_ne_u16_e32 vcc, 0, v2
	s_and_saveexec_b64 s[28:29], vcc
	s_cbranch_execz .LBB2_10238
; %bb.10231:                            ;   in Loop: Header=BB2_10184 Depth=3
	v_cmp_ne_u16_e32 vcc, s97, v2
	v_bfrev_b32_e32 v3, 1
	s_and_saveexec_b64 s[30:31], vcc
	s_cbranch_execz .LBB2_10237
; %bb.10232:                            ;   in Loop: Header=BB2_10184 Depth=3
	v_and_b32_e32 v3, 0x7c, v2
	v_and_b32_e32 v4, 3, v2
	v_cmp_ne_u32_e32 vcc, s85, v3
                                        ; implicit-def: $vgpr3
	s_and_saveexec_b64 s[34:35], vcc
	s_xor_b64 s[34:35], exec, s[34:35]
	s_cbranch_execz .LBB2_10234
; %bb.10233:                            ;   in Loop: Header=BB2_10184 Depth=3
	v_ffbh_u32_e32 v23, v4
	v_and_b32_e32 v3, 0xff, v2
	v_min_u32_e32 v23, 32, v23
	v_bfe_u32 v17, v3, 2, 5
	v_mov_b32_e32 v3, v29
	v_subrev_u32_e32 v28, 29, v23
	v_and_b32_sdwa v18, sext(v2), s86 dst_sel:DWORD dst_unused:UNUSED_PAD src0_sel:WORD_0 src1_sel:DWORD
	v_lshlrev_b64 v[2:3], v28, v[2:3]
	v_sub_u32_e32 v3, 30, v23
	v_cmp_eq_u32_e32 vcc, 0, v17
	v_and_b32_e32 v2, 3, v2
	v_cndmask_b32_e32 v3, v17, v3, vcc
	v_cndmask_b32_e32 v2, v4, v2, vcc
	v_lshl_add_u32 v3, v3, 23, v18
	v_lshl_or_b32 v2, v2, 21, v3
	v_add_u32_e32 v3, 0x38000000, v2
                                        ; implicit-def: $vgpr2
                                        ; implicit-def: $vgpr4
.LBB2_10234:                            ;   in Loop: Header=BB2_10184 Depth=3
	s_andn2_saveexec_b64 s[34:35], s[34:35]
; %bb.10235:                            ;   in Loop: Header=BB2_10184 Depth=3
	v_cmp_lt_i16_e32 vcc, -1, v2
	v_cndmask_b32_e32 v2, v7, v0, vcc
	v_cmp_eq_u32_e32 vcc, 0, v4
	v_cndmask_b32_e32 v3, v35, v2, vcc
; %bb.10236:                            ;   in Loop: Header=BB2_10184 Depth=3
	s_or_b64 exec, exec, s[34:35]
.LBB2_10237:                            ;   in Loop: Header=BB2_10184 Depth=3
	s_or_b64 exec, exec, s[30:31]
.LBB2_10238:                            ;   in Loop: Header=BB2_10184 Depth=3
	s_or_b64 exec, exec, s[28:29]
	v_add_f32_e32 v2, v5, v3
	v_and_b32_e32 v3, 0x7f800000, v2
	v_mov_b32_e32 v4, v29
	v_cmp_ne_u64_e32 vcc, s[76:77], v[3:4]
	v_and_b32_e32 v28, 0x7fffff, v2
                                        ; implicit-def: $vgpr3
	s_and_saveexec_b64 s[28:29], vcc
	s_xor_b64 s[30:31], exec, s[28:29]
	s_cbranch_execz .LBB2_10256
; %bb.10239:                            ;   in Loop: Header=BB2_10184 Depth=3
	v_and_b32_e32 v3, 0x7fffffff, v2
	v_mov_b32_e32 v4, v29
	v_cmp_gt_u64_e32 vcc, s[78:79], v[3:4]
	v_and_b32_sdwa v5, v2, s96 dst_sel:DWORD dst_unused:UNUSED_PAD src0_sel:BYTE_3 src1_sel:DWORD
                                        ; implicit-def: $vgpr3
	s_and_saveexec_b64 s[28:29], vcc
	s_xor_b64 s[34:35], exec, s[28:29]
	s_cbranch_execz .LBB2_10253
; %bb.10240:                            ;   in Loop: Header=BB2_10184 Depth=3
	v_cmp_ne_u32_e32 vcc, 0, v2
	v_mov_b32_e32 v3, 0
	s_and_saveexec_b64 s[36:37], vcc
	s_cbranch_execz .LBB2_10252
; %bb.10241:                            ;   in Loop: Header=BB2_10184 Depth=3
	v_bfe_u32 v17, v2, 23, 8
	v_cmp_gt_u32_e64 s[28:29], s46, v17
	v_sub_u32_e32 v2, 0x71, v17
	v_cmp_eq_u32_e32 vcc, 0, v17
	v_cndmask_b32_e64 v2, 0, v2, s[28:29]
	v_mov_b32_e32 v4, 0x70
	v_cndmask_b32_e32 v18, v2, v4, vcc
	v_add_u32_e32 v4, 21, v18
	v_or_b32_e32 v3, 0x800000, v28
	v_lshlrev_b64 v[30:31], v4, -1
	v_cndmask_b32_e32 v2, v3, v28, vcc
	v_mov_b32_e32 v3, v29
	v_add_u32_e32 v4, 20, v18
	v_bfi_b32 v30, v30, 0, v2
	v_lshlrev_b64 v[32:33], v4, 1
	v_lshrrev_b64 v[2:3], v18, v[2:3]
	v_bfi_b32 v31, v31, 0, 0
	v_cmp_eq_u64_e64 s[28:29], v[30:31], v[32:33]
	v_mov_b32_e32 v4, v3
	v_mov_b32_e32 v3, v2
	s_and_saveexec_b64 s[38:39], s[28:29]
; %bb.10242:                            ;   in Loop: Header=BB2_10184 Depth=3
	v_bfe_u32 v3, v2, 21, 1
	v_add_co_u32_e64 v3, s[28:29], v2, v3
	v_add_co_u32_e64 v3, s[28:29], -1, v3
; %bb.10243:                            ;   in Loop: Header=BB2_10184 Depth=3
	s_or_b64 exec, exec, s[38:39]
	v_add_u32_e32 v4, 0xffffff81, v17
	v_cndmask_b32_e32 v4, v4, v1, vcc
	v_lshrrev_b32_e32 v17, 23, v2
	v_add3_u32 v18, v18, v4, v17
	v_add_u32_e32 v17, 14, v18
	v_and_b32_e32 v3, 0x1fffff, v3
	v_add_u32_e32 v28, v3, v2
	v_cmp_ne_u32_e32 vcc, 0, v17
                                        ; implicit-def: $vgpr2_vgpr3
                                        ; implicit-def: $vgpr4
	s_and_saveexec_b64 s[28:29], vcc
	s_xor_b64 s[28:29], exec, s[28:29]
; %bb.10244:                            ;   in Loop: Header=BB2_10184 Depth=3
	v_cmp_lt_u64_e32 vcc, s[88:89], v[28:29]
	v_add_u32_e32 v2, 15, v18
	v_cndmask_b32_e32 v4, v17, v2, vcc
	v_cndmask_b32_e64 v2, 0, 1, vcc
	v_lshrrev_b64 v[2:3], v2, v[28:29]
; %bb.10245:                            ;   in Loop: Header=BB2_10184 Depth=3
	s_andn2_saveexec_b64 s[28:29], s[28:29]
; %bb.10246:                            ;   in Loop: Header=BB2_10184 Depth=3
	v_mov_b32_e32 v2, v28
	v_mov_b32_e32 v3, v29
	v_bfe_u32 v4, v28, 23, 1
; %bb.10247:                            ;   in Loop: Header=BB2_10184 Depth=3
	s_or_b64 exec, exec, s[28:29]
	v_lshrrev_b64 v[2:3], 21, v[2:3]
	v_cmp_gt_i32_e32 vcc, 32, v4
	v_cndmask_b32_e32 v3, 0, v3, vcc
	v_cndmask_b32_e32 v2, 3, v2, vcc
	v_cmp_ne_u64_e32 vcc, 0, v[2:3]
	v_cmp_ne_u32_e64 s[28:29], 0, v4
	s_or_b64 s[28:29], s[28:29], vcc
                                        ; implicit-def: $vgpr3
	s_and_saveexec_b64 vcc, s[28:29]
	s_xor_b64 s[28:29], exec, vcc
; %bb.10248:                            ;   in Loop: Header=BB2_10184 Depth=3
	v_min_i32_e32 v3, 31, v4
	v_lshl_or_b32 v3, v3, 2, v5
	v_and_or_b32 v3, v2, 3, v3
                                        ; implicit-def: $vgpr5
; %bb.10249:                            ;   in Loop: Header=BB2_10184 Depth=3
	s_andn2_saveexec_b64 s[28:29], s[28:29]
; %bb.10250:                            ;   in Loop: Header=BB2_10184 Depth=3
	v_mov_b32_e32 v3, v5
; %bb.10251:                            ;   in Loop: Header=BB2_10184 Depth=3
	s_or_b64 exec, exec, s[28:29]
.LBB2_10252:                            ;   in Loop: Header=BB2_10184 Depth=3
	s_or_b64 exec, exec, s[36:37]
                                        ; implicit-def: $vgpr5
.LBB2_10253:                            ;   in Loop: Header=BB2_10184 Depth=3
	s_andn2_saveexec_b64 s[28:29], s[34:35]
; %bb.10254:                            ;   in Loop: Header=BB2_10184 Depth=3
	v_or_b32_e32 v3, 0x7b, v5
; %bb.10255:                            ;   in Loop: Header=BB2_10184 Depth=3
	s_or_b64 exec, exec, s[28:29]
                                        ; implicit-def: $vgpr2
.LBB2_10256:                            ;   in Loop: Header=BB2_10184 Depth=3
	s_andn2_saveexec_b64 s[28:29], s[30:31]
	s_cbranch_execz .LBB2_10183
; %bb.10257:                            ;   in Loop: Header=BB2_10184 Depth=3
	v_cmp_ne_u64_e32 vcc, 0, v[28:29]
                                        ; implicit-def: $vgpr3
	s_and_saveexec_b64 s[30:31], vcc
	s_xor_b64 vcc, exec, s[30:31]
; %bb.10258:                            ;   in Loop: Header=BB2_10184 Depth=3
	v_or_b32_sdwa v3, v2, s47 dst_sel:DWORD dst_unused:UNUSED_PAD src0_sel:BYTE_3 src1_sel:DWORD
                                        ; implicit-def: $vgpr2
; %bb.10259:                            ;   in Loop: Header=BB2_10184 Depth=3
	s_andn2_saveexec_b64 s[30:31], vcc
	s_cbranch_execz .LBB2_10182
; %bb.10260:                            ;   in Loop: Header=BB2_10184 Depth=3
	v_cmp_lt_i32_e32 vcc, -1, v2
	v_cndmask_b32_e32 v3, -4, v22, vcc
	s_branch .LBB2_10182
.LBB2_10261:                            ;   in Loop: Header=BB2_4813 Depth=2
	s_or_b64 exec, exec, s[40:41]
	buffer_load_dword v15, off, s[0:3], s33 offset:176 ; 4-byte Folded Reload
.LBB2_10262:                            ;   in Loop: Header=BB2_4813 Depth=2
	buffer_load_dword v2, off, s[0:3], s33 offset:144 ; 4-byte Folded Reload
	s_waitcnt vmcnt(0)
	v_cmp_lt_i32_e64 s[28:29], 0, v2
	s_and_saveexec_b64 s[40:41], s[12:13]
	s_cbranch_execz .LBB2_10281
.LBB2_10263:                            ;   in Loop: Header=BB2_4813 Depth=2
	s_and_saveexec_b64 s[42:43], s[58:59]
	s_xor_b64 s[42:43], exec, s[42:43]
	s_cbranch_execz .LBB2_10278
; %bb.10264:                            ;   in Loop: Header=BB2_4813 Depth=2
	s_and_saveexec_b64 s[30:31], s[6:7]
	s_cbranch_execz .LBB2_10277
; %bb.10265:                            ;   in Loop: Header=BB2_4813 Depth=2
	s_mov_b64 s[36:37], exec
	v_mbcnt_lo_u32_b32 v2, s36, 0
	v_mbcnt_hi_u32_b32 v2, s37, v2
	v_cmp_eq_u32_e32 vcc, 0, v2
	s_waitcnt vmcnt(0) lgkmcnt(0)
	buffer_wbinvl1_vol
	s_and_saveexec_b64 s[34:35], vcc
	s_cbranch_execz .LBB2_10267
; %bb.10266:                            ;   in Loop: Header=BB2_4813 Depth=2
	s_bcnt1_i32_b64 vcc_lo, s[36:37]
	v_mov_b32_e32 v2, vcc_lo
	v_mov_b32_e32 v3, v29
	ds_add_u64 v0, v[2:3]
	s_trap 2
.LBB2_10267:                            ;   in Loop: Header=BB2_4813 Depth=2
	s_or_b64 exec, exec, s[34:35]
	s_trap 2
	ds_read_b64 v[2:3], v0
	s_waitcnt lgkmcnt(0)
	v_add_co_u32_e32 v12, vcc, v12, v36
	v_addc_co_u32_e32 v13, vcc, 0, v13, vcc
	v_cmp_lt_u64_e32 vcc, v[2:3], v[12:13]
	s_and_saveexec_b64 s[34:35], vcc
	s_cbranch_execz .LBB2_10276
; %bb.10268:                            ;   in Loop: Header=BB2_4813 Depth=2
	s_mov_b32 s54, 0
	s_mov_b64 s[36:37], 0
                                        ; implicit-def: $sgpr38_sgpr39
                                        ; implicit-def: $sgpr48_sgpr49
	s_branch .LBB2_10270
.LBB2_10269:                            ;   in Loop: Header=BB2_10270 Depth=3
	s_or_b64 exec, exec, s[52:53]
	s_and_b64 vcc, exec, vcc
	s_or_b64 s[36:37], vcc, s[36:37]
	s_andn2_b64 vcc, s[38:39], exec
	s_and_b64 s[38:39], s[48:49], exec
	s_or_b64 s[38:39], vcc, s[38:39]
	s_andn2_b64 exec, exec, s[36:37]
	s_cbranch_execz .LBB2_10274
.LBB2_10270:                            ;   Parent Loop BB2_47 Depth=1
                                        ;     Parent Loop BB2_4813 Depth=2
                                        ; =>    This Inner Loop Header: Depth=3
	s_add_i32 s54, s54, 1
	s_cmpk_lg_i32 s54, 0x2710
	s_cselect_b64 s[50:51], -1, 0
	s_and_b64 vcc, exec, s[50:51]
	s_cbranch_vccz .LBB2_10272
; %bb.10271:                            ;   in Loop: Header=BB2_10270 Depth=3
	s_mov_b64 vcc, -1
	s_or_b64 s[48:49], s[48:49], exec
	s_and_saveexec_b64 s[52:53], s[50:51]
	s_cbranch_execz .LBB2_10269
	s_branch .LBB2_10273
.LBB2_10272:                            ;   in Loop: Header=BB2_10270 Depth=3
	s_trap 2
	ds_read_b64 v[2:3], v0
	s_andn2_b64 s[50:51], s[50:51], exec
	s_mov_b32 s54, 0
	s_waitcnt lgkmcnt(0)
	flat_load_dword v2, v[2:3] glc
	s_waitcnt vmcnt(0) lgkmcnt(0)
	buffer_wbinvl1_vol
	v_cmp_eq_u32_e32 vcc, 0, v2
	s_and_b64 vcc, vcc, exec
	s_or_b64 s[50:51], s[50:51], vcc
	s_mov_b64 vcc, -1
	s_or_b64 s[48:49], s[48:49], exec
	s_and_saveexec_b64 s[52:53], s[50:51]
	s_cbranch_execz .LBB2_10269
.LBB2_10273:                            ;   in Loop: Header=BB2_10270 Depth=3
	s_sleep 1
	s_trap 2
	ds_read_b64 v[2:3], v0
	s_waitcnt lgkmcnt(0)
	s_andn2_b64 s[48:49], s[48:49], exec
	v_cmp_ge_u64_e32 vcc, v[2:3], v[12:13]
	s_orn2_b64 vcc, vcc, exec
	s_branch .LBB2_10269
.LBB2_10274:                            ;   in Loop: Header=BB2_4813 Depth=2
	s_or_b64 exec, exec, s[36:37]
	s_and_saveexec_b64 vcc, s[38:39]
	s_xor_b64 vcc, exec, vcc
	s_cbranch_execz .LBB2_10276
; %bb.10275:                            ;   in Loop: Header=BB2_4813 Depth=2
	v_mov_b32_e32 v2, 1
	ds_write_b32 v0, v2
	s_trap 2
.LBB2_10276:                            ;   in Loop: Header=BB2_4813 Depth=2
	s_or_b64 exec, exec, s[34:35]
	;;#ASMSTART
	s_wakeup
	;;#ASMEND
.LBB2_10277:                            ;   in Loop: Header=BB2_4813 Depth=2
	s_or_b64 exec, exec, s[30:31]
.LBB2_10278:                            ;   in Loop: Header=BB2_4813 Depth=2
	s_andn2_saveexec_b64 s[42:43], s[42:43]
	s_cbranch_execz .LBB2_10280
; %bb.10279:                            ;   in Loop: Header=BB2_4813 Depth=2
	s_waitcnt vmcnt(0) lgkmcnt(0)
	buffer_wbinvl1_vol
	s_barrier
.LBB2_10280:                            ;   in Loop: Header=BB2_4813 Depth=2
	s_or_b64 exec, exec, s[42:43]
.LBB2_10281:                            ;   in Loop: Header=BB2_4813 Depth=2
	s_or_b64 exec, exec, s[40:41]
	v_and_b32_e32 v2, 16, v34
	s_and_saveexec_b64 s[40:41], s[18:19]
	s_xor_b64 s[40:41], exec, s[40:41]
	s_cbranch_execz .LBB2_10285
; %bb.10282:                            ;   in Loop: Header=BB2_4813 Depth=2
	v_and_b32_e32 v3, 16, v34
	v_cmp_ne_u32_e32 vcc, 0, v3
	v_and_b32_e32 v2, 16, v34
	s_and_b64 s[42:43], vcc, s[28:29]
	s_and_saveexec_b64 s[28:29], s[42:43]
	s_cbranch_execz .LBB2_10284
; %bb.10283:                            ;   in Loop: Header=BB2_4813 Depth=2
	v_mov_b32_e32 v2, 1
	s_waitcnt vmcnt(0) lgkmcnt(0)
	buffer_wbinvl1_vol
.LBB2_10284:                            ;   in Loop: Header=BB2_4813 Depth=2
	s_or_b64 exec, exec, s[28:29]
.LBB2_10285:                            ;   in Loop: Header=BB2_4813 Depth=2
	s_andn2_saveexec_b64 s[28:29], s[40:41]
	s_cbranch_execz .LBB2_10304
; %bb.10286:                            ;   in Loop: Header=BB2_4813 Depth=2
	s_and_saveexec_b64 s[40:41], s[58:59]
	s_xor_b64 s[40:41], exec, s[40:41]
	s_cbranch_execz .LBB2_10301
; %bb.10287:                            ;   in Loop: Header=BB2_4813 Depth=2
	s_and_saveexec_b64 s[42:43], s[6:7]
	s_cbranch_execz .LBB2_10300
; %bb.10288:                            ;   in Loop: Header=BB2_4813 Depth=2
	s_mov_b64 s[34:35], exec
	v_mbcnt_lo_u32_b32 v3, s34, 0
	v_mbcnt_hi_u32_b32 v3, s35, v3
	v_cmp_eq_u32_e32 vcc, 0, v3
	;;#ASMSTART
	s_waitcnt lgkmcnt(0) vmcnt(0)
	;;#ASMEND
	s_and_saveexec_b64 s[30:31], vcc
	s_cbranch_execz .LBB2_10290
; %bb.10289:                            ;   in Loop: Header=BB2_4813 Depth=2
	s_bcnt1_i32_b64 vcc_lo, s[34:35]
	v_mov_b32_e32 v3, vcc_lo
	v_mov_b32_e32 v4, v29
	s_waitcnt lgkmcnt(0)
	ds_add_u64 v0, v[3:4]
	s_trap 2
.LBB2_10290:                            ;   in Loop: Header=BB2_4813 Depth=2
	s_or_b64 exec, exec, s[30:31]
	s_trap 2
	ds_read_b64 v[3:4], v0
	s_waitcnt lgkmcnt(0)
	v_add_co_u32_e32 v12, vcc, v12, v36
	v_addc_co_u32_e32 v13, vcc, 0, v13, vcc
	v_cmp_lt_u64_e32 vcc, v[3:4], v[12:13]
	s_and_saveexec_b64 s[30:31], vcc
	s_cbranch_execz .LBB2_10299
; %bb.10291:                            ;   in Loop: Header=BB2_4813 Depth=2
	s_mov_b32 s52, 0
	s_mov_b64 s[34:35], 0
                                        ; implicit-def: $sgpr36_sgpr37
                                        ; implicit-def: $sgpr38_sgpr39
	s_branch .LBB2_10293
.LBB2_10292:                            ;   in Loop: Header=BB2_10293 Depth=3
	s_or_b64 exec, exec, s[50:51]
	s_and_b64 vcc, exec, vcc
	s_or_b64 s[34:35], vcc, s[34:35]
	s_andn2_b64 vcc, s[36:37], exec
	s_and_b64 s[36:37], s[38:39], exec
	s_or_b64 s[36:37], vcc, s[36:37]
	s_andn2_b64 exec, exec, s[34:35]
	s_cbranch_execz .LBB2_10297
.LBB2_10293:                            ;   Parent Loop BB2_47 Depth=1
                                        ;     Parent Loop BB2_4813 Depth=2
                                        ; =>    This Inner Loop Header: Depth=3
	s_add_i32 s52, s52, 1
	s_cmpk_lg_i32 s52, 0x2710
	s_cselect_b64 s[48:49], -1, 0
	s_and_b64 vcc, exec, s[48:49]
	s_cbranch_vccz .LBB2_10295
; %bb.10294:                            ;   in Loop: Header=BB2_10293 Depth=3
	s_mov_b64 vcc, -1
	s_or_b64 s[38:39], s[38:39], exec
	s_and_saveexec_b64 s[50:51], s[48:49]
	s_cbranch_execz .LBB2_10292
	s_branch .LBB2_10296
.LBB2_10295:                            ;   in Loop: Header=BB2_10293 Depth=3
	s_trap 2
	ds_read_b64 v[3:4], v0
	s_andn2_b64 s[48:49], s[48:49], exec
	s_mov_b32 s52, 0
	s_waitcnt vmcnt(0) lgkmcnt(0)
	flat_load_dword v3, v[3:4] glc
	s_waitcnt vmcnt(0) lgkmcnt(0)
	buffer_wbinvl1_vol
	v_cmp_eq_u32_e32 vcc, 0, v3
	s_and_b64 vcc, vcc, exec
	s_or_b64 s[48:49], s[48:49], vcc
	s_mov_b64 vcc, -1
	s_or_b64 s[38:39], s[38:39], exec
	s_and_saveexec_b64 s[50:51], s[48:49]
	s_cbranch_execz .LBB2_10292
.LBB2_10296:                            ;   in Loop: Header=BB2_10293 Depth=3
	s_sleep 1
	s_trap 2
	ds_read_b64 v[3:4], v0
	s_waitcnt lgkmcnt(0)
	s_andn2_b64 s[38:39], s[38:39], exec
	v_cmp_ge_u64_e32 vcc, v[3:4], v[12:13]
	s_orn2_b64 vcc, vcc, exec
	s_branch .LBB2_10292
.LBB2_10297:                            ;   in Loop: Header=BB2_4813 Depth=2
	s_or_b64 exec, exec, s[34:35]
	s_and_saveexec_b64 vcc, s[36:37]
	s_xor_b64 vcc, exec, vcc
	s_cbranch_execz .LBB2_10299
; %bb.10298:                            ;   in Loop: Header=BB2_4813 Depth=2
	v_mov_b32_e32 v3, 1
	ds_write_b32 v0, v3
	s_trap 2
.LBB2_10299:                            ;   in Loop: Header=BB2_4813 Depth=2
	s_or_b64 exec, exec, s[30:31]
	;;#ASMSTART
	s_wakeup
	;;#ASMEND
.LBB2_10300:                            ;   in Loop: Header=BB2_4813 Depth=2
	s_or_b64 exec, exec, s[42:43]
.LBB2_10301:                            ;   in Loop: Header=BB2_4813 Depth=2
	s_andn2_saveexec_b64 s[40:41], s[40:41]
	s_cbranch_execz .LBB2_10303
; %bb.10302:                            ;   in Loop: Header=BB2_4813 Depth=2
	;;#ASMSTART
	s_waitcnt lgkmcnt(0) vmcnt(0)
	;;#ASMEND
	s_waitcnt vmcnt(0) lgkmcnt(0)
	s_barrier
.LBB2_10303:                            ;   in Loop: Header=BB2_4813 Depth=2
	s_or_b64 exec, exec, s[40:41]
.LBB2_10304:                            ;   in Loop: Header=BB2_4813 Depth=2
	s_or_b64 exec, exec, s[28:29]
	v_cmp_ne_u32_e32 vcc, 0, v2
	s_xor_b64 s[28:29], s[20:21], -1
	s_and_b64 s[40:41], vcc, s[28:29]
	s_and_saveexec_b64 s[28:29], s[40:41]
	s_cbranch_execz .LBB2_10306
; %bb.10305:                            ;   in Loop: Header=BB2_4813 Depth=2
	buffer_load_dword v2, off, s[0:3], s33 offset:108 ; 4-byte Folded Reload
	buffer_load_dword v3, off, s[0:3], s33 offset:112 ; 4-byte Folded Reload
	v_mov_b32_e32 v4, 1
	s_waitcnt vmcnt(0)
	flat_store_dword v[2:3], v4
.LBB2_10306:                            ;   in Loop: Header=BB2_4813 Depth=2
	s_or_b64 exec, exec, s[28:29]
	v_and_b32_e32 v2, 48, v34
	v_cmp_ne_u32_e32 vcc, 0, v2
	s_and_saveexec_b64 s[28:29], vcc
	s_cbranch_execnz .LBB2_10307
; %bb.10905:                            ;   in Loop: Header=BB2_4813 Depth=2
	s_getpc_b64 s[98:99]
.Lpost_getpc8:
	s_add_u32 s98, s98, (.LBB2_4812-.Lpost_getpc8)&4294967295
	s_addc_u32 s99, s99, (.LBB2_4812-.Lpost_getpc8)>>32
	s_setpc_b64 s[98:99]
.LBB2_10307:                            ;   in Loop: Header=BB2_4813 Depth=2
	v_add_co_u32_e32 v24, vcc, 2, v24
	v_addc_co_u32_e32 v25, vcc, 0, v25, vcc
	flat_store_dwordx2 v[20:21], v[24:25]
; %bb.10891:                            ;   in Loop: Header=BB2_4813 Depth=2
	s_getpc_b64 s[98:99]
.Lpost_getpc1:
	s_add_u32 s98, s98, (.LBB2_4812-.Lpost_getpc1)&4294967295
	s_addc_u32 s99, s99, (.LBB2_4812-.Lpost_getpc1)>>32
	s_setpc_b64 s[98:99]
.LBB2_10308:                            ;   in Loop: Header=BB2_47 Depth=1
	s_or_b64 exec, exec, s[90:91]
	v_cmp_gt_i32_e32 vcc, 2, v4
	s_and_saveexec_b64 s[40:41], vcc
	s_cbranch_execz .LBB2_10384
.LBB2_10309:                            ;   in Loop: Header=BB2_47 Depth=1
	v_cmp_eq_u32_e64 s[90:91], 0, v4
	s_mov_b64 s[42:43], 0
	s_branch .LBB2_10311
.LBB2_10310:                            ;   in Loop: Header=BB2_10311 Depth=2
	s_or_b64 exec, exec, s[28:29]
	v_add_u32_e32 v19, v50, v19
	s_mov_b64 s[90:91], 0
	s_andn2_b64 exec, exec, s[42:43]
	s_cbranch_execz .LBB2_10385
.LBB2_10311:                            ;   Parent Loop BB2_47 Depth=1
                                        ; =>  This Loop Header: Depth=2
                                        ;       Child Loop BB2_10317 Depth 3
                                        ;       Child Loop BB2_10345 Depth 3
	;; [unrolled: 1-line block ×3, first 2 shown]
	v_sub_u32_e32 v2, v15, v19
	v_min_i32_e32 v50, v50, v2
	v_and_b32_e32 v2, 12, v34
	v_cmp_ne_u32_e32 vcc, 0, v2
	s_and_saveexec_b64 s[92:93], vcc
	s_cbranch_execz .LBB2_10337
; %bb.10312:                            ;   in Loop: Header=BB2_10311 Depth=2
	v_and_b32_e32 v14, 8, v34
	s_waitcnt lgkmcnt(0)
	v_add_co_u32_e32 v2, vcc, v26, v14
	v_addc_co_u32_e32 v3, vcc, 0, v27, vcc
	v_add_co_u32_e32 v4, vcc, 2, v24
	v_addc_co_u32_e32 v5, vcc, 0, v25, vcc
	v_cmp_lt_u64_e32 vcc, v[2:3], v[4:5]
	s_and_saveexec_b64 s[94:95], vcc
	s_cbranch_execz .LBB2_10324
; %bb.10313:                            ;   in Loop: Header=BB2_10311 Depth=2
	v_and_b32_e32 v2, 64, v34
	s_mov_b32 s8, 0
	v_cmp_eq_u32_e32 vcc, 0, v2
	s_mov_b64 s[30:31], 0
                                        ; implicit-def: $sgpr34_sgpr35
                                        ; implicit-def: $sgpr36_sgpr37
                                        ; implicit-def: $sgpr38_sgpr39
	s_branch .LBB2_10317
.LBB2_10314:                            ;   in Loop: Header=BB2_10317 Depth=3
	s_waitcnt vmcnt(0) lgkmcnt(0)
	v_add_co_u32_e64 v8, s[28:29], v26, v14
	v_addc_co_u32_e64 v9, s[28:29], 0, v27, s[28:29]
	v_cmp_ge_u64_e64 s[28:29], v[8:9], v[4:5]
	s_or_b64 s[52:53], s[52:53], exec
	s_orn2_b64 s[50:51], s[28:29], exec
.LBB2_10315:                            ;   in Loop: Header=BB2_10317 Depth=3
	s_or_b64 exec, exec, s[64:65]
	s_andn2_b64 s[28:29], s[38:39], exec
	s_and_b64 s[38:39], s[52:53], exec
	s_or_b64 s[38:39], s[28:29], s[38:39]
	s_andn2_b64 s[28:29], s[36:37], exec
	s_and_b64 s[36:37], s[50:51], exec
	s_or_b64 s[36:37], s[28:29], s[36:37]
.LBB2_10316:                            ;   in Loop: Header=BB2_10317 Depth=3
	s_or_b64 exec, exec, s[48:49]
	s_and_b64 s[28:29], exec, s[36:37]
	s_or_b64 s[30:31], s[28:29], s[30:31]
	s_andn2_b64 s[28:29], s[34:35], exec
	s_and_b64 s[34:35], s[38:39], exec
	s_or_b64 s[34:35], s[28:29], s[34:35]
	s_andn2_b64 exec, exec, s[30:31]
	s_cbranch_execz .LBB2_10321
.LBB2_10317:                            ;   Parent Loop BB2_47 Depth=1
                                        ;     Parent Loop BB2_10311 Depth=2
                                        ; =>    This Inner Loop Header: Depth=3
	s_sleep 1
	s_waitcnt vmcnt(0) lgkmcnt(0)
	flat_load_dwordx2 v[26:27], v[20:21] glc
	s_or_b64 s[38:39], s[38:39], exec
	s_or_b64 s[36:37], s[36:37], exec
                                        ; implicit-def: $vgpr2
	s_and_saveexec_b64 s[48:49], vcc
	s_cbranch_execz .LBB2_10316
; %bb.10318:                            ;   in Loop: Header=BB2_10317 Depth=3
	s_cmpk_lt_i32 s8, 0x270f
	s_cselect_b64 s[54:55], -1, 0
	s_cmpk_gt_i32 s8, 0x270e
	s_mov_b64 s[50:51], -1
	s_cbranch_scc0 .LBB2_10320
; %bb.10319:                            ;   in Loop: Header=BB2_10317 Depth=3
	s_trap 2
	ds_read_b64 v[2:3], v0
	s_andn2_b64 s[54:55], s[54:55], exec
	s_mov_b32 s8, 0
	s_mov_b64 s[52:53], 0
	s_waitcnt vmcnt(0) lgkmcnt(0)
	flat_load_dword v2, v[2:3] glc
	s_waitcnt vmcnt(0) lgkmcnt(0)
	buffer_wbinvl1_vol
	v_cmp_eq_u32_e64 s[28:29], 0, v2
	s_and_b64 s[28:29], s[28:29], exec
	s_or_b64 s[54:55], s[54:55], s[28:29]
	s_and_saveexec_b64 s[64:65], s[54:55]
	s_cbranch_execz .LBB2_10315
	s_branch .LBB2_10314
.LBB2_10320:                            ;   in Loop: Header=BB2_10317 Depth=3
	s_add_i32 s8, s8, 1
	s_mov_b64 s[52:53], -1
                                        ; implicit-def: $vgpr2
	s_and_saveexec_b64 s[64:65], s[54:55]
	s_cbranch_execz .LBB2_10315
	s_branch .LBB2_10314
.LBB2_10321:                            ;   in Loop: Header=BB2_10311 Depth=2
	s_or_b64 exec, exec, s[30:31]
	s_xor_b64 s[28:29], s[34:35], -1
	s_and_saveexec_b64 vcc, s[28:29]
	s_xor_b64 s[28:29], exec, vcc
	s_cbranch_execz .LBB2_10323
; %bb.10322:                            ;   in Loop: Header=BB2_10311 Depth=2
	v_or_b32_e32 v34, 64, v34
	s_waitcnt lgkmcnt(0)
	ds_write_b32 v0, v2
	s_trap 2
.LBB2_10323:                            ;   in Loop: Header=BB2_10311 Depth=2
	s_or_b64 exec, exec, s[28:29]
.LBB2_10324:                            ;   in Loop: Header=BB2_10311 Depth=2
	s_or_b64 exec, exec, s[94:95]
	v_and_b32_e32 v2, 0x108, v34
	v_cmp_ne_u32_e32 vcc, s9, v2
	;;#ASMSTART
	s_wakeup
	;;#ASMEND
                                        ; implicit-def: $vgpr2_vgpr3
	s_and_saveexec_b64 s[28:29], vcc
	s_xor_b64 s[28:29], exec, s[28:29]
; %bb.10325:                            ;   in Loop: Header=BB2_10311 Depth=2
	v_and_b32_e32 v2, 7, v24
	v_mov_b32_e32 v3, v29
                                        ; implicit-def: $vgpr24_vgpr25
; %bb.10326:                            ;   in Loop: Header=BB2_10311 Depth=2
	s_andn2_saveexec_b64 s[28:29], s[28:29]
	s_cbranch_execz .LBB2_10328
; %bb.10327:                            ;   in Loop: Header=BB2_10311 Depth=2
	buffer_load_dword v8, off, s[0:3], s33 offset:92 ; 4-byte Folded Reload
	buffer_load_dword v9, off, s[0:3], s33 offset:96 ; 4-byte Folded Reload
	;; [unrolled: 1-line block ×4, first 2 shown]
	v_and_b32_e32 v2, 7, v24
	v_mov_b32_e32 v3, v29
	v_ashrrev_i32_e32 v51, 31, v50
	s_waitcnt vmcnt(0)
	v_mad_u64_u32 v[8:9], s[94:95], v2, 24, v[8:9]
	flat_store_dwordx2 v[8:9], v[50:51] offset:8
.LBB2_10328:                            ;   in Loop: Header=BB2_10311 Depth=2
	s_or_b64 exec, exec, s[28:29]
	v_and_b32_e32 v8, 0x100, v34
	v_cmp_ne_u32_e32 vcc, 0, v8
	s_mov_b64 s[28:29], -1
                                        ; implicit-def: $vgpr8_vgpr9
	s_and_saveexec_b64 s[94:95], vcc
	s_cbranch_execz .LBB2_10332
; %bb.10329:                            ;   in Loop: Header=BB2_10311 Depth=2
	buffer_load_dword v8, off, s[0:3], s33 offset:92 ; 4-byte Folded Reload
	buffer_load_dword v9, off, s[0:3], s33 offset:96 ; 4-byte Folded Reload
	;; [unrolled: 1-line block ×4, first 2 shown]
	s_waitcnt vmcnt(0)
	v_mad_u64_u32 v[10:11], s[28:29], v2, 24, v[8:9]
	v_mov_b32_e32 v8, v11
	v_mad_u64_u32 v[8:9], s[28:29], v3, 24, v[8:9]
	v_mov_b32_e32 v11, v8
	flat_load_dword v8, v[10:11]
	s_waitcnt vmcnt(0) lgkmcnt(0)
	v_cmp_ne_u32_e32 vcc, 1, v8
	v_cmp_eq_u32_e64 s[28:29], 1, v8
                                        ; implicit-def: $vgpr8_vgpr9
	s_and_saveexec_b64 s[30:31], s[28:29]
	s_cbranch_execz .LBB2_10331
; %bb.10330:                            ;   in Loop: Header=BB2_10311 Depth=2
	flat_load_dword v8, v[10:11] offset:4 glc
	s_waitcnt vmcnt(0) lgkmcnt(0)
	v_ashrrev_i32_e32 v9, 31, v8
.LBB2_10331:                            ;   in Loop: Header=BB2_10311 Depth=2
	s_or_b64 exec, exec, s[30:31]
	s_orn2_b64 s[28:29], vcc, exec
.LBB2_10332:                            ;   in Loop: Header=BB2_10311 Depth=2
	s_or_b64 exec, exec, s[94:95]
	s_and_saveexec_b64 s[94:95], s[28:29]
	s_cbranch_execz .LBB2_10334
; %bb.10333:                            ;   in Loop: Header=BB2_10311 Depth=2
	buffer_load_dword v8, off, s[0:3], s33 offset:116 ; 4-byte Folded Reload
	buffer_load_dword v9, off, s[0:3], s33 offset:136 ; 4-byte Folded Reload
	s_waitcnt vmcnt(0)
	v_mul_lo_u32 v3, v3, v8
	v_mul_lo_u32 v10, v2, v9
	v_mad_u64_u32 v[8:9], s[28:29], v2, v8, 0
	v_add3_u32 v9, v9, v10, v3
.LBB2_10334:                            ;   in Loop: Header=BB2_10311 Depth=2
	s_or_b64 exec, exec, s[94:95]
	v_cmp_eq_u32_e32 vcc, 0, v14
	v_mov_b32_e32 v2, 0x90
	v_mov_b32_e32 v3, 0xd0
	v_cndmask_b32_e32 v10, v3, v2, vcc
	buffer_load_dword v2, off, s[0:3], s33 offset:84 ; 4-byte Folded Reload
	buffer_load_dword v3, off, s[0:3], s33 offset:88 ; 4-byte Folded Reload
	s_waitcnt vmcnt(0)
	v_add_co_u32_e32 v2, vcc, v2, v8
	v_addc_co_u32_e32 v3, vcc, v3, v9, vcc
	v_add_u32_e32 v8, v0, v10
	ds_write_b64 v8, v[2:3] offset:584
	v_and_b32_e32 v2, 0x2000, v34
	v_cmp_ne_u32_e32 vcc, 0, v2
	s_and_saveexec_b64 s[28:29], vcc
	s_cbranch_execz .LBB2_10336
; %bb.10335:                            ;   in Loop: Header=BB2_10311 Depth=2
	ds_read_b64 v[2:3], v0 offset:872
	s_waitcnt lgkmcnt(0)
	v_add_co_u32_e32 v2, vcc, 1, v2
	v_addc_co_u32_e32 v3, vcc, 0, v3, vcc
	ds_write_b64 v0, v[2:3] offset:872
.LBB2_10336:                            ;   in Loop: Header=BB2_10311 Depth=2
	s_or_b64 exec, exec, s[28:29]
	v_mov_b32_e32 v25, v5
	v_mov_b32_e32 v24, v4
.LBB2_10337:                            ;   in Loop: Header=BB2_10311 Depth=2
	s_or_b64 exec, exec, s[92:93]
	s_xor_b64 s[28:29], s[90:91], -1
	s_and_b64 s[28:29], exec, s[28:29]
	s_or_b64 s[42:43], s[28:29], s[42:43]
	s_and_saveexec_b64 s[28:29], s[12:13]
	s_cbranch_execz .LBB2_10356
; %bb.10338:                            ;   in Loop: Header=BB2_10311 Depth=2
	s_and_saveexec_b64 s[90:91], s[58:59]
	s_xor_b64 s[90:91], exec, s[90:91]
	s_cbranch_execz .LBB2_10353
; %bb.10339:                            ;   in Loop: Header=BB2_10311 Depth=2
	s_and_saveexec_b64 s[92:93], s[6:7]
	s_cbranch_execz .LBB2_10352
; %bb.10340:                            ;   in Loop: Header=BB2_10311 Depth=2
	s_mov_b64 s[30:31], exec
	v_mbcnt_lo_u32_b32 v2, s30, 0
	v_mbcnt_hi_u32_b32 v2, s31, v2
	v_cmp_eq_u32_e32 vcc, 0, v2
	s_waitcnt vmcnt(0) lgkmcnt(0)
	buffer_wbinvl1_vol
	s_and_saveexec_b64 s[94:95], vcc
	s_cbranch_execz .LBB2_10342
; %bb.10341:                            ;   in Loop: Header=BB2_10311 Depth=2
	s_bcnt1_i32_b64 s8, s[30:31]
	v_mov_b32_e32 v2, s8
	v_mov_b32_e32 v3, v29
	ds_add_u64 v0, v[2:3]
	s_trap 2
.LBB2_10342:                            ;   in Loop: Header=BB2_10311 Depth=2
	s_or_b64 exec, exec, s[94:95]
	s_trap 2
	ds_read_b64 v[2:3], v0
	s_waitcnt lgkmcnt(0)
	v_add_co_u32_e32 v12, vcc, v12, v36
	v_addc_co_u32_e32 v13, vcc, 0, v13, vcc
	v_cmp_lt_u64_e32 vcc, v[2:3], v[12:13]
	s_and_saveexec_b64 s[94:95], vcc
	s_cbranch_execz .LBB2_10351
; %bb.10343:                            ;   in Loop: Header=BB2_10311 Depth=2
	s_mov_b32 s8, 0
	s_mov_b64 s[30:31], 0
                                        ; implicit-def: $sgpr34_sgpr35
                                        ; implicit-def: $sgpr36_sgpr37
	s_branch .LBB2_10345
.LBB2_10344:                            ;   in Loop: Header=BB2_10345 Depth=3
	s_or_b64 exec, exec, s[48:49]
	s_and_b64 vcc, exec, vcc
	s_or_b64 s[30:31], vcc, s[30:31]
	s_andn2_b64 vcc, s[34:35], exec
	s_and_b64 s[34:35], s[36:37], exec
	s_or_b64 s[34:35], vcc, s[34:35]
	s_andn2_b64 exec, exec, s[30:31]
	s_cbranch_execz .LBB2_10349
.LBB2_10345:                            ;   Parent Loop BB2_47 Depth=1
                                        ;     Parent Loop BB2_10311 Depth=2
                                        ; =>    This Inner Loop Header: Depth=3
	s_add_i32 s8, s8, 1
	s_cmpk_lg_i32 s8, 0x2710
	s_cselect_b64 s[38:39], -1, 0
	s_and_b64 vcc, exec, s[38:39]
	s_cbranch_vccz .LBB2_10347
; %bb.10346:                            ;   in Loop: Header=BB2_10345 Depth=3
	s_mov_b64 vcc, -1
	s_or_b64 s[36:37], s[36:37], exec
	s_and_saveexec_b64 s[48:49], s[38:39]
	s_cbranch_execz .LBB2_10344
	s_branch .LBB2_10348
.LBB2_10347:                            ;   in Loop: Header=BB2_10345 Depth=3
	s_trap 2
	ds_read_b64 v[2:3], v0
	s_andn2_b64 s[38:39], s[38:39], exec
	s_mov_b32 s8, 0
	s_waitcnt lgkmcnt(0)
	flat_load_dword v2, v[2:3] glc
	s_waitcnt vmcnt(0) lgkmcnt(0)
	buffer_wbinvl1_vol
	v_cmp_eq_u32_e32 vcc, 0, v2
	s_and_b64 vcc, vcc, exec
	s_or_b64 s[38:39], s[38:39], vcc
	s_mov_b64 vcc, -1
	s_or_b64 s[36:37], s[36:37], exec
	s_and_saveexec_b64 s[48:49], s[38:39]
	s_cbranch_execz .LBB2_10344
.LBB2_10348:                            ;   in Loop: Header=BB2_10345 Depth=3
	s_sleep 1
	s_trap 2
	ds_read_b64 v[2:3], v0
	s_waitcnt lgkmcnt(0)
	s_andn2_b64 s[36:37], s[36:37], exec
	v_cmp_ge_u64_e32 vcc, v[2:3], v[12:13]
	s_orn2_b64 vcc, vcc, exec
	s_branch .LBB2_10344
.LBB2_10349:                            ;   in Loop: Header=BB2_10311 Depth=2
	s_or_b64 exec, exec, s[30:31]
	s_and_saveexec_b64 vcc, s[34:35]
	s_xor_b64 vcc, exec, vcc
	s_cbranch_execz .LBB2_10351
; %bb.10350:                            ;   in Loop: Header=BB2_10311 Depth=2
	v_mov_b32_e32 v2, 1
	ds_write_b32 v0, v2
	s_trap 2
.LBB2_10351:                            ;   in Loop: Header=BB2_10311 Depth=2
	s_or_b64 exec, exec, s[94:95]
	;;#ASMSTART
	s_wakeup
	;;#ASMEND
.LBB2_10352:                            ;   in Loop: Header=BB2_10311 Depth=2
	s_or_b64 exec, exec, s[92:93]
.LBB2_10353:                            ;   in Loop: Header=BB2_10311 Depth=2
	s_andn2_saveexec_b64 s[90:91], s[90:91]
	s_cbranch_execz .LBB2_10355
; %bb.10354:                            ;   in Loop: Header=BB2_10311 Depth=2
	s_waitcnt vmcnt(0) lgkmcnt(0)
	buffer_wbinvl1_vol
	s_barrier
.LBB2_10355:                            ;   in Loop: Header=BB2_10311 Depth=2
	s_or_b64 exec, exec, s[90:91]
.LBB2_10356:                            ;   in Loop: Header=BB2_10311 Depth=2
	s_or_b64 exec, exec, s[28:29]
	v_and_b32_e32 v2, 16, v34
	s_and_saveexec_b64 s[28:29], s[18:19]
	s_xor_b64 s[28:29], exec, s[28:29]
	s_cbranch_execz .LBB2_10360
; %bb.10357:                            ;   in Loop: Header=BB2_10311 Depth=2
	s_trap 2
	ds_read_b32 v2, v0
	v_cmp_lt_i32_e32 vcc, 0, v50
	v_and_b32_e32 v3, 16, v34
	s_waitcnt lgkmcnt(0)
	v_readfirstlane_b32 s8, v2
	s_cmp_eq_u32 s8, 0
	s_cselect_b64 s[90:91], -1, 0
	s_and_b64 s[90:91], vcc, s[90:91]
	v_cmp_ne_u32_e32 vcc, 0, v3
	v_and_b32_e32 v2, 16, v34
	s_and_b64 s[92:93], vcc, s[90:91]
	s_and_saveexec_b64 s[90:91], s[92:93]
	s_cbranch_execz .LBB2_10359
; %bb.10358:                            ;   in Loop: Header=BB2_10311 Depth=2
	v_mov_b32_e32 v2, 1
	s_waitcnt vmcnt(0)
	buffer_wbinvl1_vol
.LBB2_10359:                            ;   in Loop: Header=BB2_10311 Depth=2
	s_or_b64 exec, exec, s[90:91]
.LBB2_10360:                            ;   in Loop: Header=BB2_10311 Depth=2
	s_andn2_saveexec_b64 s[28:29], s[28:29]
	s_cbranch_execz .LBB2_10379
; %bb.10361:                            ;   in Loop: Header=BB2_10311 Depth=2
	s_and_saveexec_b64 s[90:91], s[58:59]
	s_xor_b64 s[90:91], exec, s[90:91]
	s_cbranch_execz .LBB2_10376
; %bb.10362:                            ;   in Loop: Header=BB2_10311 Depth=2
	s_and_saveexec_b64 s[92:93], s[6:7]
	s_cbranch_execz .LBB2_10375
; %bb.10363:                            ;   in Loop: Header=BB2_10311 Depth=2
	s_mov_b64 s[30:31], exec
	v_mbcnt_lo_u32_b32 v3, s30, 0
	v_mbcnt_hi_u32_b32 v3, s31, v3
	v_cmp_eq_u32_e32 vcc, 0, v3
	;;#ASMSTART
	s_waitcnt lgkmcnt(0) vmcnt(0)
	;;#ASMEND
	s_and_saveexec_b64 s[94:95], vcc
	s_cbranch_execz .LBB2_10365
; %bb.10364:                            ;   in Loop: Header=BB2_10311 Depth=2
	s_bcnt1_i32_b64 s8, s[30:31]
	v_mov_b32_e32 v3, s8
	v_mov_b32_e32 v4, v29
	s_waitcnt lgkmcnt(0)
	ds_add_u64 v0, v[3:4]
	s_trap 2
.LBB2_10365:                            ;   in Loop: Header=BB2_10311 Depth=2
	s_or_b64 exec, exec, s[94:95]
	s_trap 2
	ds_read_b64 v[3:4], v0
	s_waitcnt lgkmcnt(0)
	v_add_co_u32_e32 v12, vcc, v12, v36
	v_addc_co_u32_e32 v13, vcc, 0, v13, vcc
	v_cmp_lt_u64_e32 vcc, v[3:4], v[12:13]
	s_and_saveexec_b64 s[94:95], vcc
	s_cbranch_execz .LBB2_10374
; %bb.10366:                            ;   in Loop: Header=BB2_10311 Depth=2
	s_mov_b32 s8, 0
	s_mov_b64 s[30:31], 0
                                        ; implicit-def: $sgpr34_sgpr35
                                        ; implicit-def: $sgpr36_sgpr37
	s_branch .LBB2_10368
.LBB2_10367:                            ;   in Loop: Header=BB2_10368 Depth=3
	s_or_b64 exec, exec, s[48:49]
	s_and_b64 vcc, exec, vcc
	s_or_b64 s[30:31], vcc, s[30:31]
	s_andn2_b64 vcc, s[34:35], exec
	s_and_b64 s[34:35], s[36:37], exec
	s_or_b64 s[34:35], vcc, s[34:35]
	s_andn2_b64 exec, exec, s[30:31]
	s_cbranch_execz .LBB2_10372
.LBB2_10368:                            ;   Parent Loop BB2_47 Depth=1
                                        ;     Parent Loop BB2_10311 Depth=2
                                        ; =>    This Inner Loop Header: Depth=3
	s_add_i32 s8, s8, 1
	s_cmpk_lg_i32 s8, 0x2710
	s_cselect_b64 s[38:39], -1, 0
	s_and_b64 vcc, exec, s[38:39]
	s_cbranch_vccz .LBB2_10370
; %bb.10369:                            ;   in Loop: Header=BB2_10368 Depth=3
	s_mov_b64 vcc, -1
	s_or_b64 s[36:37], s[36:37], exec
	s_and_saveexec_b64 s[48:49], s[38:39]
	s_cbranch_execz .LBB2_10367
	s_branch .LBB2_10371
.LBB2_10370:                            ;   in Loop: Header=BB2_10368 Depth=3
	s_trap 2
	ds_read_b64 v[3:4], v0
	s_andn2_b64 s[38:39], s[38:39], exec
	s_mov_b32 s8, 0
	s_waitcnt vmcnt(0) lgkmcnt(0)
	flat_load_dword v3, v[3:4] glc
	s_waitcnt vmcnt(0) lgkmcnt(0)
	buffer_wbinvl1_vol
	v_cmp_eq_u32_e32 vcc, 0, v3
	s_and_b64 vcc, vcc, exec
	s_or_b64 s[38:39], s[38:39], vcc
	s_mov_b64 vcc, -1
	s_or_b64 s[36:37], s[36:37], exec
	s_and_saveexec_b64 s[48:49], s[38:39]
	s_cbranch_execz .LBB2_10367
.LBB2_10371:                            ;   in Loop: Header=BB2_10368 Depth=3
	s_sleep 1
	s_trap 2
	ds_read_b64 v[3:4], v0
	s_waitcnt lgkmcnt(0)
	s_andn2_b64 s[36:37], s[36:37], exec
	v_cmp_ge_u64_e32 vcc, v[3:4], v[12:13]
	s_orn2_b64 vcc, vcc, exec
	s_branch .LBB2_10367
.LBB2_10372:                            ;   in Loop: Header=BB2_10311 Depth=2
	s_or_b64 exec, exec, s[30:31]
	s_and_saveexec_b64 vcc, s[34:35]
	s_xor_b64 vcc, exec, vcc
	s_cbranch_execz .LBB2_10374
; %bb.10373:                            ;   in Loop: Header=BB2_10311 Depth=2
	v_mov_b32_e32 v3, 1
	ds_write_b32 v0, v3
	s_trap 2
.LBB2_10374:                            ;   in Loop: Header=BB2_10311 Depth=2
	s_or_b64 exec, exec, s[94:95]
	;;#ASMSTART
	s_wakeup
	;;#ASMEND
.LBB2_10375:                            ;   in Loop: Header=BB2_10311 Depth=2
	s_or_b64 exec, exec, s[92:93]
.LBB2_10376:                            ;   in Loop: Header=BB2_10311 Depth=2
	s_andn2_saveexec_b64 s[90:91], s[90:91]
	s_cbranch_execz .LBB2_10378
; %bb.10377:                            ;   in Loop: Header=BB2_10311 Depth=2
	;;#ASMSTART
	s_waitcnt lgkmcnt(0) vmcnt(0)
	;;#ASMEND
	s_waitcnt vmcnt(0) lgkmcnt(0)
	s_barrier
.LBB2_10378:                            ;   in Loop: Header=BB2_10311 Depth=2
	s_or_b64 exec, exec, s[90:91]
.LBB2_10379:                            ;   in Loop: Header=BB2_10311 Depth=2
	s_or_b64 exec, exec, s[28:29]
	v_cmp_ne_u32_e32 vcc, 0, v2
	s_xor_b64 s[28:29], s[20:21], -1
	s_and_b64 s[90:91], vcc, s[28:29]
	s_and_saveexec_b64 s[28:29], s[90:91]
	s_cbranch_execz .LBB2_10381
; %bb.10380:                            ;   in Loop: Header=BB2_10311 Depth=2
	buffer_load_dword v2, off, s[0:3], s33 offset:108 ; 4-byte Folded Reload
	buffer_load_dword v3, off, s[0:3], s33 offset:112 ; 4-byte Folded Reload
	v_mov_b32_e32 v4, 1
	s_waitcnt vmcnt(0)
	flat_store_dword v[2:3], v4
.LBB2_10381:                            ;   in Loop: Header=BB2_10311 Depth=2
	s_or_b64 exec, exec, s[28:29]
	v_and_b32_e32 v2, 48, v34
	v_cmp_ne_u32_e32 vcc, 0, v2
	s_and_saveexec_b64 s[28:29], vcc
	s_cbranch_execz .LBB2_10310
; %bb.10382:                            ;   in Loop: Header=BB2_10311 Depth=2
	v_add_co_u32_e32 v24, vcc, 2, v24
	v_addc_co_u32_e32 v25, vcc, 0, v25, vcc
	flat_store_dwordx2 v[20:21], v[24:25]
	s_branch .LBB2_10310
.LBB2_10383:                            ;   in Loop: Header=BB2_47 Depth=1
	s_or_b64 exec, exec, s[92:93]
	s_or_b64 exec, exec, s[90:91]
	v_cmp_gt_i32_e32 vcc, 2, v4
	s_and_saveexec_b64 s[40:41], vcc
	s_cbranch_execnz .LBB2_10309
.LBB2_10384:                            ;   in Loop: Header=BB2_47 Depth=1
	s_or_b64 exec, exec, s[40:41]
	s_and_b64 vcc, exec, s[26:27]
	s_cbranch_vccz .LBB2_10386
	s_branch .LBB2_10644
.LBB2_10385:                            ;   in Loop: Header=BB2_47 Depth=1
	s_or_b64 exec, exec, s[42:43]
	s_or_b64 exec, exec, s[40:41]
	s_and_b64 vcc, exec, s[26:27]
	s_cbranch_vccnz .LBB2_10644
.LBB2_10386:                            ;   in Loop: Header=BB2_47 Depth=1
	s_mov_b32 s8, 1
.LBB2_10387:                            ;   Parent Loop BB2_47 Depth=1
                                        ; =>  This Loop Header: Depth=2
                                        ;       Child Loop BB2_10390 Depth 3
                                        ;         Child Loop BB2_10398 Depth 4
                                        ;         Child Loop BB2_10426 Depth 4
	;; [unrolled: 1-line block ×4, first 2 shown]
                                        ;           Child Loop BB2_10469 Depth 5
                                        ;         Child Loop BB2_10475 Depth 4
                                        ;           Child Loop BB2_10476 Depth 5
                                        ;         Child Loop BB2_10483 Depth 4
                                        ;         Child Loop BB2_10488 Depth 4
                                        ;           Child Loop BB2_10489 Depth 5
                                        ;         Child Loop BB2_10501 Depth 4
                                        ;         Child Loop BB2_10506 Depth 4
	;; [unrolled: 1-line block ×6, first 2 shown]
                                        ;       Child Loop BB2_10568 Depth 3
                                        ;         Child Loop BB2_10574 Depth 4
                                        ;         Child Loop BB2_10602 Depth 4
	;; [unrolled: 1-line block ×3, first 2 shown]
	buffer_load_dword v8, off, s[0:3], s33 offset:228 ; 4-byte Folded Reload
	buffer_load_dword v9, off, s[0:3], s33 offset:232 ; 4-byte Folded Reload
	s_sub_i32 s26, s70, s8
	s_cmp_ge_i32 s26, s66
	s_cselect_b32 s27, s66, 0
	s_sub_i32 s26, s26, s27
	s_ashr_i32 s28, s26, 31
	v_mov_b32_e32 v19, 0
	s_waitcnt vmcnt(0)
	v_mul_lo_u32 v5, v8, s28
	v_mul_lo_u32 v4, v9, s26
	v_mad_u64_u32 v[2:3], s[26:27], v8, s26, 0
	v_add3_u32 v3, v3, v5, v4
	buffer_load_dword v4, off, s[0:3], s33 offset:220 ; 4-byte Folded Reload
	buffer_load_dword v5, off, s[0:3], s33 offset:224 ; 4-byte Folded Reload
	s_waitcnt vmcnt(0)
	v_sub_co_u32_e32 v4, vcc, v4, v2
	v_subb_co_u32_e32 v5, vcc, v5, v3, vcc
	v_cmp_lt_i64_e32 vcc, v[8:9], v[4:5]
	v_cndmask_b32_e32 v4, v4, v8, vcc
	v_max_i32_e32 v18, 0, v4
	v_add_u32_e32 v5, 31, v18
	v_lshrrev_b32_e32 v5, 1, v5
	v_and_b32_e32 v5, 0x3ffffff0, v5
	v_cmp_lt_i32_e32 vcc, 0, v4
	v_max_i32_e32 v50, s81, v5
	s_and_b64 s[26:27], s[74:75], vcc
	v_mov_b32_e32 v4, 0
	s_and_saveexec_b64 s[42:43], s[26:27]
	s_cbranch_execz .LBB2_10565
; %bb.10388:                            ;   in Loop: Header=BB2_10387 Depth=2
	buffer_load_dword v4, off, s[0:3], s33 offset:152 ; 4-byte Folded Reload
	s_mov_b32 s64, 1
	s_mov_b64 s[92:93], -1
	v_mov_b32_e32 v19, 0
	s_mov_b64 s[90:91], 0
	s_waitcnt vmcnt(0)
	v_add_co_u32_e32 v23, vcc, v2, v4
	buffer_load_dword v2, off, s[0:3], s33 offset:156 ; 4-byte Folded Reload
	s_waitcnt vmcnt(0)
	v_addc_co_u32_e32 v28, vcc, v3, v2, vcc
	s_branch .LBB2_10390
.LBB2_10389:                            ;   in Loop: Header=BB2_10390 Depth=3
	s_or_b64 exec, exec, s[26:27]
	v_add_u32_e32 v19, v50, v19
	v_cmp_ge_i32_e32 vcc, v19, v18
	s_xor_b64 s[26:27], s[92:93], -1
	s_or_b64 s[26:27], s[26:27], vcc
	s_and_b64 s[26:27], exec, s[26:27]
	s_or_b64 s[90:91], s[26:27], s[90:91]
	s_mov_b64 s[92:93], 0
	s_waitcnt vmcnt(0)
	v_mov_b32_e32 v4, s64
	s_mov_b32 s64, 2
	s_andn2_b64 exec, exec, s[90:91]
	s_cbranch_execz .LBB2_10640
.LBB2_10390:                            ;   Parent Loop BB2_47 Depth=1
                                        ;     Parent Loop BB2_10387 Depth=2
                                        ; =>    This Loop Header: Depth=3
                                        ;         Child Loop BB2_10398 Depth 4
                                        ;         Child Loop BB2_10426 Depth 4
	;; [unrolled: 1-line block ×4, first 2 shown]
                                        ;           Child Loop BB2_10469 Depth 5
                                        ;         Child Loop BB2_10475 Depth 4
                                        ;           Child Loop BB2_10476 Depth 5
                                        ;         Child Loop BB2_10483 Depth 4
                                        ;         Child Loop BB2_10488 Depth 4
                                        ;           Child Loop BB2_10489 Depth 5
                                        ;         Child Loop BB2_10501 Depth 4
                                        ;         Child Loop BB2_10506 Depth 4
	;; [unrolled: 1-line block ×6, first 2 shown]
	s_and_saveexec_b64 s[26:27], s[4:5]
	s_cbranch_execz .LBB2_10392
; %bb.10391:                            ;   in Loop: Header=BB2_10390 Depth=3
	s_trap 2
	ds_read_b128 v[2:5], v0
	v_ashrrev_i32_e32 v8, 31, v19
	s_waitcnt lgkmcnt(0)
	v_add_co_u32_e32 v2, vcc, v2, v23
	v_addc_co_u32_e32 v3, vcc, v3, v28, vcc
	v_add_co_u32_e32 v2, vcc, v2, v19
	v_addc_co_u32_e32 v3, vcc, v3, v8, vcc
	ds_write_b64 v0, v[2:3]
	v_add_co_u32_e32 v2, vcc, v4, v23
	v_addc_co_u32_e32 v3, vcc, v5, v28, vcc
	v_add_co_u32_e32 v2, vcc, v2, v19
	v_addc_co_u32_e32 v3, vcc, v3, v8, vcc
	v_cmp_ne_u64_e32 vcc, 0, v[4:5]
	v_cndmask_b32_e32 v3, 0, v3, vcc
	v_cndmask_b32_e32 v2, 0, v2, vcc
	ds_write_b64 v0, v[2:3]
.LBB2_10392:                            ;   in Loop: Header=BB2_10390 Depth=3
	s_or_b64 exec, exec, s[26:27]
	v_sub_u32_e32 v2, v18, v19
	v_min_i32_e32 v50, v50, v2
	v_and_b32_e32 v2, 12, v34
	v_cmp_ne_u32_e32 vcc, 0, v2
	s_and_saveexec_b64 s[28:29], vcc
	s_cbranch_execz .LBB2_10418
; %bb.10393:                            ;   in Loop: Header=BB2_10390 Depth=3
	v_and_b32_e32 v14, 8, v34
	s_waitcnt lgkmcnt(0)
	v_add_co_u32_e32 v2, vcc, v26, v14
	v_addc_co_u32_e32 v3, vcc, 0, v27, vcc
	v_add_co_u32_e32 v4, vcc, 2, v24
	v_addc_co_u32_e32 v5, vcc, 0, v25, vcc
	v_cmp_lt_u64_e32 vcc, v[2:3], v[4:5]
	s_and_saveexec_b64 s[40:41], vcc
	s_cbranch_execz .LBB2_10405
; %bb.10394:                            ;   in Loop: Header=BB2_10390 Depth=3
	v_and_b32_e32 v2, 64, v34
	s_mov_b32 s65, 0
	v_cmp_eq_u32_e32 vcc, 0, v2
	s_mov_b64 s[94:95], 0
                                        ; implicit-def: $sgpr30_sgpr31
                                        ; implicit-def: $sgpr34_sgpr35
                                        ; implicit-def: $sgpr36_sgpr37
	s_branch .LBB2_10398
.LBB2_10395:                            ;   in Loop: Header=BB2_10398 Depth=4
	s_waitcnt vmcnt(0) lgkmcnt(0)
	v_add_co_u32_e64 v8, s[26:27], v26, v14
	v_addc_co_u32_e64 v9, s[26:27], 0, v27, s[26:27]
	v_cmp_ge_u64_e64 s[26:27], v[8:9], v[4:5]
	s_or_b64 s[50:51], s[50:51], exec
	s_orn2_b64 s[48:49], s[26:27], exec
.LBB2_10396:                            ;   in Loop: Header=BB2_10398 Depth=4
	s_or_b64 exec, exec, s[54:55]
	s_andn2_b64 s[26:27], s[36:37], exec
	s_and_b64 s[36:37], s[50:51], exec
	s_or_b64 s[36:37], s[26:27], s[36:37]
	s_andn2_b64 s[26:27], s[34:35], exec
	s_and_b64 s[34:35], s[48:49], exec
	s_or_b64 s[34:35], s[26:27], s[34:35]
.LBB2_10397:                            ;   in Loop: Header=BB2_10398 Depth=4
	s_or_b64 exec, exec, s[38:39]
	s_and_b64 s[26:27], exec, s[34:35]
	s_or_b64 s[94:95], s[26:27], s[94:95]
	s_andn2_b64 s[26:27], s[30:31], exec
	s_and_b64 s[30:31], s[36:37], exec
	s_or_b64 s[30:31], s[26:27], s[30:31]
	s_andn2_b64 exec, exec, s[94:95]
	s_cbranch_execz .LBB2_10402
.LBB2_10398:                            ;   Parent Loop BB2_47 Depth=1
                                        ;     Parent Loop BB2_10387 Depth=2
                                        ;       Parent Loop BB2_10390 Depth=3
                                        ; =>      This Inner Loop Header: Depth=4
	s_sleep 1
	s_waitcnt vmcnt(0) lgkmcnt(0)
	flat_load_dwordx2 v[26:27], v[20:21] glc
	s_or_b64 s[36:37], s[36:37], exec
	s_or_b64 s[34:35], s[34:35], exec
                                        ; implicit-def: $vgpr2
	s_and_saveexec_b64 s[38:39], vcc
	s_cbranch_execz .LBB2_10397
; %bb.10399:                            ;   in Loop: Header=BB2_10398 Depth=4
	s_cmpk_lt_i32 s65, 0x270f
	s_cselect_b64 s[52:53], -1, 0
	s_cmpk_gt_i32 s65, 0x270e
	s_mov_b64 s[48:49], -1
	s_cbranch_scc0 .LBB2_10401
; %bb.10400:                            ;   in Loop: Header=BB2_10398 Depth=4
	s_trap 2
	ds_read_b64 v[2:3], v0
	s_andn2_b64 s[52:53], s[52:53], exec
	s_mov_b32 s65, 0
	s_mov_b64 s[50:51], 0
	s_waitcnt vmcnt(0) lgkmcnt(0)
	flat_load_dword v2, v[2:3] glc
	s_waitcnt vmcnt(0) lgkmcnt(0)
	buffer_wbinvl1_vol
	v_cmp_eq_u32_e64 s[26:27], 0, v2
	s_and_b64 s[26:27], s[26:27], exec
	s_or_b64 s[52:53], s[52:53], s[26:27]
	s_and_saveexec_b64 s[54:55], s[52:53]
	s_cbranch_execz .LBB2_10396
	s_branch .LBB2_10395
.LBB2_10401:                            ;   in Loop: Header=BB2_10398 Depth=4
	s_add_i32 s65, s65, 1
	s_mov_b64 s[50:51], -1
                                        ; implicit-def: $vgpr2
	s_and_saveexec_b64 s[54:55], s[52:53]
	s_cbranch_execz .LBB2_10396
	s_branch .LBB2_10395
.LBB2_10402:                            ;   in Loop: Header=BB2_10390 Depth=3
	s_or_b64 exec, exec, s[94:95]
	s_xor_b64 s[26:27], s[30:31], -1
	s_and_saveexec_b64 s[94:95], s[26:27]
	s_xor_b64 s[26:27], exec, s[94:95]
	s_cbranch_execz .LBB2_10404
; %bb.10403:                            ;   in Loop: Header=BB2_10390 Depth=3
	v_or_b32_e32 v34, 64, v34
	s_waitcnt lgkmcnt(0)
	ds_write_b32 v0, v2
	s_trap 2
.LBB2_10404:                            ;   in Loop: Header=BB2_10390 Depth=3
	s_or_b64 exec, exec, s[26:27]
.LBB2_10405:                            ;   in Loop: Header=BB2_10390 Depth=3
	s_or_b64 exec, exec, s[40:41]
	v_and_b32_e32 v2, 0x108, v34
	v_cmp_ne_u32_e32 vcc, s9, v2
	;;#ASMSTART
	s_wakeup
	;;#ASMEND
                                        ; implicit-def: $vgpr2_vgpr3
	s_and_saveexec_b64 s[26:27], vcc
	s_xor_b64 s[26:27], exec, s[26:27]
; %bb.10406:                            ;   in Loop: Header=BB2_10390 Depth=3
	v_and_b32_e32 v2, 7, v24
	v_mov_b32_e32 v3, v29
                                        ; implicit-def: $vgpr24_vgpr25
; %bb.10407:                            ;   in Loop: Header=BB2_10390 Depth=3
	s_andn2_saveexec_b64 s[26:27], s[26:27]
	s_cbranch_execz .LBB2_10409
; %bb.10408:                            ;   in Loop: Header=BB2_10390 Depth=3
	buffer_load_dword v8, off, s[0:3], s33 offset:92 ; 4-byte Folded Reload
	buffer_load_dword v9, off, s[0:3], s33 offset:96 ; 4-byte Folded Reload
	;; [unrolled: 1-line block ×4, first 2 shown]
	v_and_b32_e32 v2, 7, v24
	v_mov_b32_e32 v3, v29
	v_ashrrev_i32_e32 v51, 31, v50
	s_waitcnt vmcnt(0)
	v_mad_u64_u32 v[8:9], s[40:41], v2, 24, v[8:9]
	flat_store_dwordx2 v[8:9], v[50:51] offset:8
.LBB2_10409:                            ;   in Loop: Header=BB2_10390 Depth=3
	s_or_b64 exec, exec, s[26:27]
	v_and_b32_e32 v8, 0x100, v34
	v_cmp_ne_u32_e32 vcc, 0, v8
	s_mov_b64 s[26:27], -1
                                        ; implicit-def: $vgpr8_vgpr9
	s_and_saveexec_b64 s[40:41], vcc
	s_cbranch_execz .LBB2_10413
; %bb.10410:                            ;   in Loop: Header=BB2_10390 Depth=3
	buffer_load_dword v8, off, s[0:3], s33 offset:92 ; 4-byte Folded Reload
	buffer_load_dword v9, off, s[0:3], s33 offset:96 ; 4-byte Folded Reload
	;; [unrolled: 1-line block ×4, first 2 shown]
	s_waitcnt vmcnt(0)
	v_mad_u64_u32 v[10:11], s[26:27], v2, 24, v[8:9]
	v_mov_b32_e32 v8, v11
	v_mad_u64_u32 v[8:9], s[26:27], v3, 24, v[8:9]
	v_mov_b32_e32 v11, v8
	flat_load_dword v8, v[10:11]
	s_waitcnt vmcnt(0) lgkmcnt(0)
	v_cmp_ne_u32_e32 vcc, 1, v8
	v_cmp_eq_u32_e64 s[26:27], 1, v8
                                        ; implicit-def: $vgpr8_vgpr9
	s_and_saveexec_b64 s[94:95], s[26:27]
	s_cbranch_execz .LBB2_10412
; %bb.10411:                            ;   in Loop: Header=BB2_10390 Depth=3
	flat_load_dword v8, v[10:11] offset:4 glc
	s_waitcnt vmcnt(0) lgkmcnt(0)
	v_ashrrev_i32_e32 v9, 31, v8
.LBB2_10412:                            ;   in Loop: Header=BB2_10390 Depth=3
	s_or_b64 exec, exec, s[94:95]
	s_orn2_b64 s[26:27], vcc, exec
.LBB2_10413:                            ;   in Loop: Header=BB2_10390 Depth=3
	s_or_b64 exec, exec, s[40:41]
	s_and_saveexec_b64 s[40:41], s[26:27]
	s_cbranch_execz .LBB2_10415
; %bb.10414:                            ;   in Loop: Header=BB2_10390 Depth=3
	buffer_load_dword v8, off, s[0:3], s33 offset:116 ; 4-byte Folded Reload
	buffer_load_dword v9, off, s[0:3], s33 offset:136 ; 4-byte Folded Reload
	s_waitcnt vmcnt(0)
	v_mul_lo_u32 v3, v3, v8
	v_mul_lo_u32 v10, v2, v9
	v_mad_u64_u32 v[8:9], s[26:27], v2, v8, 0
	v_add3_u32 v9, v9, v10, v3
.LBB2_10415:                            ;   in Loop: Header=BB2_10390 Depth=3
	s_or_b64 exec, exec, s[40:41]
	v_cmp_eq_u32_e32 vcc, 0, v14
	v_mov_b32_e32 v2, 0xd0
	v_mov_b32_e32 v3, 0x88
	v_cndmask_b32_e32 v10, v2, v3, vcc
	buffer_load_dword v2, off, s[0:3], s33 offset:84 ; 4-byte Folded Reload
	buffer_load_dword v3, off, s[0:3], s33 offset:88 ; 4-byte Folded Reload
	s_waitcnt vmcnt(0)
	v_add_co_u32_e32 v2, vcc, v2, v8
	v_addc_co_u32_e32 v3, vcc, v3, v9, vcc
	v_add_u32_e32 v8, v0, v10
	ds_write_b64 v8, v[2:3] offset:584
	v_and_b32_e32 v2, 0x2000, v34
	v_cmp_ne_u32_e32 vcc, 0, v2
	s_and_saveexec_b64 s[26:27], vcc
	s_cbranch_execz .LBB2_10417
; %bb.10416:                            ;   in Loop: Header=BB2_10390 Depth=3
	ds_read_b64 v[2:3], v0 offset:872
	s_waitcnt lgkmcnt(0)
	v_add_co_u32_e32 v2, vcc, 1, v2
	v_addc_co_u32_e32 v3, vcc, 0, v3, vcc
	ds_write_b64 v0, v[2:3] offset:872
.LBB2_10417:                            ;   in Loop: Header=BB2_10390 Depth=3
	s_or_b64 exec, exec, s[26:27]
	v_mov_b32_e32 v25, v5
	v_mov_b32_e32 v24, v4
.LBB2_10418:                            ;   in Loop: Header=BB2_10390 Depth=3
	s_or_b64 exec, exec, s[28:29]
	s_and_saveexec_b64 s[26:27], s[12:13]
	s_cbranch_execz .LBB2_10437
; %bb.10419:                            ;   in Loop: Header=BB2_10390 Depth=3
	s_and_saveexec_b64 s[28:29], s[58:59]
	s_xor_b64 s[28:29], exec, s[28:29]
	s_cbranch_execz .LBB2_10434
; %bb.10420:                            ;   in Loop: Header=BB2_10390 Depth=3
	s_and_saveexec_b64 s[40:41], s[6:7]
	s_cbranch_execz .LBB2_10433
; %bb.10421:                            ;   in Loop: Header=BB2_10390 Depth=3
	s_mov_b64 s[30:31], exec
	v_mbcnt_lo_u32_b32 v2, s30, 0
	v_mbcnt_hi_u32_b32 v2, s31, v2
	v_cmp_eq_u32_e32 vcc, 0, v2
	s_waitcnt lgkmcnt(0)
	buffer_wbinvl1_vol
	s_and_saveexec_b64 s[94:95], vcc
	s_cbranch_execz .LBB2_10423
; %bb.10422:                            ;   in Loop: Header=BB2_10390 Depth=3
	s_bcnt1_i32_b64 vcc_lo, s[30:31]
	v_mov_b32_e32 v2, vcc_lo
	v_mov_b32_e32 v3, v29
	ds_add_u64 v0, v[2:3]
	s_trap 2
.LBB2_10423:                            ;   in Loop: Header=BB2_10390 Depth=3
	s_or_b64 exec, exec, s[94:95]
	s_trap 2
	ds_read_b64 v[2:3], v0
	s_waitcnt lgkmcnt(0)
	v_add_co_u32_e32 v12, vcc, v12, v36
	v_addc_co_u32_e32 v13, vcc, 0, v13, vcc
	v_cmp_lt_u64_e32 vcc, v[2:3], v[12:13]
	s_and_saveexec_b64 s[94:95], vcc
	s_cbranch_execz .LBB2_10432
; %bb.10424:                            ;   in Loop: Header=BB2_10390 Depth=3
	s_mov_b32 s50, 0
	s_mov_b64 s[30:31], 0
                                        ; implicit-def: $sgpr34_sgpr35
                                        ; implicit-def: $sgpr36_sgpr37
	s_branch .LBB2_10426
.LBB2_10425:                            ;   in Loop: Header=BB2_10426 Depth=4
	s_or_b64 exec, exec, s[48:49]
	s_and_b64 vcc, exec, vcc
	s_or_b64 s[30:31], vcc, s[30:31]
	s_andn2_b64 vcc, s[34:35], exec
	s_and_b64 s[34:35], s[36:37], exec
	s_or_b64 s[34:35], vcc, s[34:35]
	s_andn2_b64 exec, exec, s[30:31]
	s_cbranch_execz .LBB2_10430
.LBB2_10426:                            ;   Parent Loop BB2_47 Depth=1
                                        ;     Parent Loop BB2_10387 Depth=2
                                        ;       Parent Loop BB2_10390 Depth=3
                                        ; =>      This Inner Loop Header: Depth=4
	s_add_i32 s50, s50, 1
	s_cmpk_lg_i32 s50, 0x2710
	s_cselect_b64 s[38:39], -1, 0
	s_and_b64 vcc, exec, s[38:39]
	s_cbranch_vccz .LBB2_10428
; %bb.10427:                            ;   in Loop: Header=BB2_10426 Depth=4
	s_mov_b64 vcc, -1
	s_or_b64 s[36:37], s[36:37], exec
	s_and_saveexec_b64 s[48:49], s[38:39]
	s_cbranch_execz .LBB2_10425
	s_branch .LBB2_10429
.LBB2_10428:                            ;   in Loop: Header=BB2_10426 Depth=4
	s_trap 2
	ds_read_b64 v[2:3], v0
	s_andn2_b64 s[38:39], s[38:39], exec
	s_mov_b32 s50, 0
	s_waitcnt lgkmcnt(0)
	flat_load_dword v2, v[2:3] glc
	s_waitcnt vmcnt(0) lgkmcnt(0)
	buffer_wbinvl1_vol
	v_cmp_eq_u32_e32 vcc, 0, v2
	s_and_b64 vcc, vcc, exec
	s_or_b64 s[38:39], s[38:39], vcc
	s_mov_b64 vcc, -1
	s_or_b64 s[36:37], s[36:37], exec
	s_and_saveexec_b64 s[48:49], s[38:39]
	s_cbranch_execz .LBB2_10425
.LBB2_10429:                            ;   in Loop: Header=BB2_10426 Depth=4
	s_sleep 1
	s_trap 2
	ds_read_b64 v[2:3], v0
	s_waitcnt lgkmcnt(0)
	s_andn2_b64 s[36:37], s[36:37], exec
	v_cmp_ge_u64_e32 vcc, v[2:3], v[12:13]
	s_orn2_b64 vcc, vcc, exec
	s_branch .LBB2_10425
.LBB2_10430:                            ;   in Loop: Header=BB2_10390 Depth=3
	s_or_b64 exec, exec, s[30:31]
	s_and_saveexec_b64 vcc, s[34:35]
	s_xor_b64 vcc, exec, vcc
	s_cbranch_execz .LBB2_10432
; %bb.10431:                            ;   in Loop: Header=BB2_10390 Depth=3
	v_mov_b32_e32 v2, 1
	ds_write_b32 v0, v2
	s_trap 2
.LBB2_10432:                            ;   in Loop: Header=BB2_10390 Depth=3
	s_or_b64 exec, exec, s[94:95]
	;;#ASMSTART
	s_wakeup
	;;#ASMEND
.LBB2_10433:                            ;   in Loop: Header=BB2_10390 Depth=3
	s_or_b64 exec, exec, s[40:41]
.LBB2_10434:                            ;   in Loop: Header=BB2_10390 Depth=3
	s_andn2_saveexec_b64 s[28:29], s[28:29]
	s_cbranch_execz .LBB2_10436
; %bb.10435:                            ;   in Loop: Header=BB2_10390 Depth=3
	s_waitcnt lgkmcnt(0)
	buffer_wbinvl1_vol
	s_barrier
.LBB2_10436:                            ;   in Loop: Header=BB2_10390 Depth=3
	s_or_b64 exec, exec, s[28:29]
.LBB2_10437:                            ;   in Loop: Header=BB2_10390 Depth=3
	s_or_b64 exec, exec, s[26:27]
	s_trap 2
	ds_read_b32 v2, v0
	v_and_b32_e32 v3, 0x4000, v34
	v_cmp_ne_u32_e32 vcc, 0, v3
	s_xor_b64 s[26:27], s[10:11], -1
	s_and_b64 s[28:29], s[26:27], vcc
	s_and_saveexec_b64 s[26:27], s[28:29]
	s_cbranch_execz .LBB2_10456
; %bb.10438:                            ;   in Loop: Header=BB2_10390 Depth=3
	s_and_saveexec_b64 s[28:29], s[58:59]
	s_xor_b64 s[28:29], exec, s[28:29]
	s_cbranch_execz .LBB2_10453
; %bb.10439:                            ;   in Loop: Header=BB2_10390 Depth=3
	s_and_saveexec_b64 s[40:41], s[6:7]
	s_cbranch_execz .LBB2_10452
; %bb.10440:                            ;   in Loop: Header=BB2_10390 Depth=3
	s_mov_b64 s[30:31], exec
	v_mbcnt_lo_u32_b32 v3, s30, 0
	v_mbcnt_hi_u32_b32 v3, s31, v3
	v_cmp_eq_u32_e32 vcc, 0, v3
	s_waitcnt lgkmcnt(0)
	buffer_wbinvl1_vol
	s_and_saveexec_b64 s[94:95], vcc
	s_cbranch_execz .LBB2_10442
; %bb.10441:                            ;   in Loop: Header=BB2_10390 Depth=3
	s_bcnt1_i32_b64 vcc_lo, s[30:31]
	v_mov_b32_e32 v3, vcc_lo
	v_mov_b32_e32 v4, v29
	ds_add_u64 v0, v[3:4]
	s_trap 2
.LBB2_10442:                            ;   in Loop: Header=BB2_10390 Depth=3
	s_or_b64 exec, exec, s[94:95]
	s_trap 2
	ds_read_b64 v[3:4], v0
	s_waitcnt lgkmcnt(0)
	v_add_co_u32_e32 v12, vcc, v12, v36
	v_addc_co_u32_e32 v13, vcc, 0, v13, vcc
	v_cmp_lt_u64_e32 vcc, v[3:4], v[12:13]
	s_and_saveexec_b64 s[94:95], vcc
	s_cbranch_execz .LBB2_10451
; %bb.10443:                            ;   in Loop: Header=BB2_10390 Depth=3
	s_mov_b32 s50, 0
	s_mov_b64 s[30:31], 0
                                        ; implicit-def: $sgpr34_sgpr35
                                        ; implicit-def: $sgpr36_sgpr37
	s_branch .LBB2_10445
.LBB2_10444:                            ;   in Loop: Header=BB2_10445 Depth=4
	s_or_b64 exec, exec, s[48:49]
	s_and_b64 vcc, exec, vcc
	s_or_b64 s[30:31], vcc, s[30:31]
	s_andn2_b64 vcc, s[34:35], exec
	s_and_b64 s[34:35], s[36:37], exec
	s_or_b64 s[34:35], vcc, s[34:35]
	s_andn2_b64 exec, exec, s[30:31]
	s_cbranch_execz .LBB2_10449
.LBB2_10445:                            ;   Parent Loop BB2_47 Depth=1
                                        ;     Parent Loop BB2_10387 Depth=2
                                        ;       Parent Loop BB2_10390 Depth=3
                                        ; =>      This Inner Loop Header: Depth=4
	s_add_i32 s50, s50, 1
	s_cmpk_lg_i32 s50, 0x2710
	s_cselect_b64 s[38:39], -1, 0
	s_and_b64 vcc, exec, s[38:39]
	s_cbranch_vccz .LBB2_10447
; %bb.10446:                            ;   in Loop: Header=BB2_10445 Depth=4
	s_mov_b64 vcc, -1
	s_or_b64 s[36:37], s[36:37], exec
	s_and_saveexec_b64 s[48:49], s[38:39]
	s_cbranch_execz .LBB2_10444
	s_branch .LBB2_10448
.LBB2_10447:                            ;   in Loop: Header=BB2_10445 Depth=4
	s_trap 2
	ds_read_b64 v[3:4], v0
	s_andn2_b64 s[38:39], s[38:39], exec
	s_mov_b32 s50, 0
	s_waitcnt lgkmcnt(0)
	flat_load_dword v3, v[3:4] glc
	s_waitcnt vmcnt(0) lgkmcnt(0)
	buffer_wbinvl1_vol
	v_cmp_eq_u32_e32 vcc, 0, v3
	s_and_b64 vcc, vcc, exec
	s_or_b64 s[38:39], s[38:39], vcc
	s_mov_b64 vcc, -1
	s_or_b64 s[36:37], s[36:37], exec
	s_and_saveexec_b64 s[48:49], s[38:39]
	s_cbranch_execz .LBB2_10444
.LBB2_10448:                            ;   in Loop: Header=BB2_10445 Depth=4
	s_sleep 1
	s_trap 2
	ds_read_b64 v[3:4], v0
	s_waitcnt lgkmcnt(0)
	s_andn2_b64 s[36:37], s[36:37], exec
	v_cmp_ge_u64_e32 vcc, v[3:4], v[12:13]
	s_orn2_b64 vcc, vcc, exec
	s_branch .LBB2_10444
.LBB2_10449:                            ;   in Loop: Header=BB2_10390 Depth=3
	s_or_b64 exec, exec, s[30:31]
	s_and_saveexec_b64 vcc, s[34:35]
	s_xor_b64 vcc, exec, vcc
	s_cbranch_execz .LBB2_10451
; %bb.10450:                            ;   in Loop: Header=BB2_10390 Depth=3
	v_mov_b32_e32 v3, 1
	ds_write_b32 v0, v3
	s_trap 2
.LBB2_10451:                            ;   in Loop: Header=BB2_10390 Depth=3
	s_or_b64 exec, exec, s[94:95]
	;;#ASMSTART
	s_wakeup
	;;#ASMEND
.LBB2_10452:                            ;   in Loop: Header=BB2_10390 Depth=3
	s_or_b64 exec, exec, s[40:41]
.LBB2_10453:                            ;   in Loop: Header=BB2_10390 Depth=3
	s_andn2_saveexec_b64 s[28:29], s[28:29]
	s_cbranch_execz .LBB2_10455
; %bb.10454:                            ;   in Loop: Header=BB2_10390 Depth=3
	s_waitcnt lgkmcnt(0)
	buffer_wbinvl1_vol
	s_barrier
.LBB2_10455:                            ;   in Loop: Header=BB2_10390 Depth=3
	s_or_b64 exec, exec, s[28:29]
.LBB2_10456:                            ;   in Loop: Header=BB2_10390 Depth=3
	s_or_b64 exec, exec, s[26:27]
	s_trap 2
	ds_read_b64 v[14:15], v0
	s_waitcnt lgkmcnt(0)
	v_cmp_eq_u64_e32 vcc, 0, v[14:15]
	s_cbranch_vccnz .LBB2_10465
; %bb.10457:                            ;   in Loop: Header=BB2_10390 Depth=3
	s_trap 2
	ds_read_b64 v[16:17], v0
	s_waitcnt lgkmcnt(0)
	v_cmp_eq_u64_e32 vcc, 0, v[16:17]
	s_cbranch_vccnz .LBB2_10465
; %bb.10458:                            ;   in Loop: Header=BB2_10390 Depth=3
	s_trap 2
	ds_read_b64 v[4:5], v0
	v_cmp_eq_u32_e64 s[26:27], 0, v2
	v_cndmask_b32_e64 v30, 0, v50, s[26:27]
	s_mov_b64 s[26:27], -1
	s_waitcnt lgkmcnt(0)
	v_cmp_ne_u64_e32 vcc, 0, v[4:5]
	s_cbranch_vccz .LBB2_10492
; %bb.10459:                            ;   in Loop: Header=BB2_10390 Depth=3
	s_and_saveexec_b64 s[28:29], s[16:17]
	s_cbranch_execz .LBB2_10461
; %bb.10460:                            ;   in Loop: Header=BB2_10390 Depth=3
	ds_read_b32 v2, v0 offset:720
	s_waitcnt lgkmcnt(0)
	v_and_b32_e32 v2, 15, v2
	v_cmp_eq_u32_e32 vcc, 0, v2
	s_orn2_b64 s[26:27], vcc, exec
.LBB2_10461:                            ;   in Loop: Header=BB2_10390 Depth=3
	s_or_b64 exec, exec, s[28:29]
	s_and_saveexec_b64 s[28:29], s[24:25]
	s_cbranch_execz .LBB2_10463
; %bb.10462:                            ;   in Loop: Header=BB2_10390 Depth=3
	ds_read_b32 v2, v0 offset:784
	s_waitcnt lgkmcnt(0)
	v_and_b32_e32 v2, 15, v2
	v_cmp_eq_u32_e32 vcc, 0, v2
	s_and_b64 s[40:41], s[26:27], vcc
	s_andn2_b64 s[26:27], s[26:27], exec
	s_and_b64 s[40:41], s[40:41], exec
	s_or_b64 s[26:27], s[26:27], s[40:41]
.LBB2_10463:                            ;   in Loop: Header=BB2_10390 Depth=3
	s_or_b64 exec, exec, s[28:29]
	buffer_load_dword v31, off, s[0:3], s33 offset:140 ; 4-byte Folded Reload
	s_xor_b64 s[26:27], s[26:27], -1
	v_cndmask_b32_e64 v3, 0, 1, s[26:27]
	s_mov_b64 s[28:29], -1
	v_mov_b32_e32 v2, 0
	v_cmp_ne_u32_e32 vcc, 0, v3
	v_mov_b32_e32 v3, v30
	s_cbranch_vccz .LBB2_10466
; %bb.10464:                            ;   in Loop: Header=BB2_10390 Depth=3
	s_and_saveexec_b64 s[40:41], s[28:29]
	s_cbranch_execnz .LBB2_10481
	s_branch .LBB2_10491
.LBB2_10465:                            ;   in Loop: Header=BB2_10390 Depth=3
	s_mov_b64 s[26:27], 0
	s_and_saveexec_b64 s[28:29], s[12:13]
	s_cbranch_execnz .LBB2_10520
	s_branch .LBB2_10538
.LBB2_10466:                            ;   in Loop: Header=BB2_10390 Depth=3
	buffer_load_dword v2, off, s[0:3], s33 offset:168 ; 4-byte Folded Reload
	s_waitcnt vmcnt(0)
	v_sub_u32_e32 v31, v30, v2
	v_ashrrev_i32_e32 v2, 31, v30
	v_lshrrev_b32_e32 v2, 22, v2
	v_add_u32_e32 v2, v30, v2
	v_ashrrev_i32_e32 v3, 10, v2
	v_and_b32_e32 v33, 0xfffffc00, v2
	buffer_load_dword v2, off, s[0:3], s33 offset:172 ; 4-byte Folded Reload
	v_sub_u32_e32 v49, v30, v33
	v_cmp_lt_i32_e64 s[26:27], 15, v49
	s_waitcnt vmcnt(0)
	v_sub_u32_e32 v2, v3, v2
	v_addc_co_u32_e64 v37, vcc, 0, v2, s[26:27]
	v_cmp_lt_i32_e32 vcc, 15, v31
	s_and_saveexec_b64 s[94:95], vcc
	s_cbranch_execz .LBB2_10472
; %bb.10467:                            ;   in Loop: Header=BB2_10390 Depth=3
	buffer_load_dword v8, off, s[0:3], s33 offset:168 ; 4-byte Folded Reload
	s_mov_b64 s[30:31], 0
	s_waitcnt vmcnt(0)
	v_add_co_u32_e32 v2, vcc, v14, v8
	v_addc_co_u32_e32 v3, vcc, 0, v15, vcc
	v_add_co_u32_e32 v32, vcc, v16, v8
	v_addc_co_u32_e32 v51, vcc, 0, v17, vcc
	;; [unrolled: 2-line block ×3, first 2 shown]
.LBB2_10468:                            ;   Parent Loop BB2_47 Depth=1
                                        ;     Parent Loop BB2_10387 Depth=2
                                        ;       Parent Loop BB2_10390 Depth=3
                                        ; =>      This Loop Header: Depth=4
                                        ;           Child Loop BB2_10469 Depth 5
	global_load_dwordx4 v[8:11], v[2:3], off glc slc
	s_mov_b64 s[34:35], -1
	s_mov_b64 s[36:37], 0
	s_waitcnt vmcnt(0)
.LBB2_10469:                            ;   Parent Loop BB2_47 Depth=1
                                        ;     Parent Loop BB2_10387 Depth=2
                                        ;       Parent Loop BB2_10390 Depth=3
                                        ;         Parent Loop BB2_10468 Depth=4
                                        ; =>        This Inner Loop Header: Depth=5
	s_cmp_eq_u32 s36, 1
	s_cselect_b64 s[28:29], -1, 0
	v_cndmask_b32_e64 v39, v51, v53, s[28:29]
	v_cndmask_b32_e64 v38, v32, v52, s[28:29]
	global_store_dwordx4 v[38:39], v[8:11], off glc slc
	v_add_co_u32_e32 v38, vcc, 0x400, v38
	s_cmp_eq_u32 s36, 0
	v_addc_co_u32_e32 v39, vcc, 0, v39, vcc
	s_cselect_b64 vcc, -1, 0
	s_and_b64 s[40:41], exec, s[34:35]
	s_mov_b64 s[36:37], 1
	v_cndmask_b32_e64 v52, v52, v38, s[28:29]
	s_mov_b64 s[34:35], 0
	v_cndmask_b32_e64 v53, v53, v39, s[28:29]
	v_cndmask_b32_e32 v51, v51, v39, vcc
	v_cndmask_b32_e32 v32, v32, v38, vcc
	s_mov_b64 vcc, s[40:41]
	s_cbranch_vccnz .LBB2_10469
; %bb.10470:                            ;   in Loop: Header=BB2_10468 Depth=4
	buffer_load_dword v8, off, s[0:3], s33 offset:68 ; 4-byte Folded Reload
	buffer_load_dword v9, off, s[0:3], s33 offset:72 ; 4-byte Folded Reload
	v_sub_u32_e32 v37, v37, v36
	s_waitcnt vmcnt(1)
	v_add_co_u32_e32 v32, vcc, v32, v8
	s_waitcnt vmcnt(0)
	v_addc_co_u32_e32 v51, vcc, v51, v9, vcc
	v_add_co_u32_e32 v52, vcc, v52, v8
	buffer_load_dword v8, off, s[0:3], s33 offset:76 ; 4-byte Folded Reload
	v_addc_co_u32_e32 v53, vcc, v53, v9, vcc
	s_waitcnt vmcnt(0)
	v_add_co_u32_e32 v2, vcc, v8, v2
	buffer_load_dword v8, off, s[0:3], s33 offset:80 ; 4-byte Folded Reload
	s_waitcnt vmcnt(0)
	v_addc_co_u32_e32 v3, vcc, v8, v3, vcc
	buffer_load_dword v8, off, s[0:3], s33 offset:56 ; 4-byte Folded Reload
	s_waitcnt vmcnt(0)
	v_sub_u32_e32 v31, v31, v8
	v_cmp_gt_i32_e32 vcc, 16, v31
	s_or_b64 s[30:31], vcc, s[30:31]
	s_andn2_b64 exec, exec, s[30:31]
	s_cbranch_execnz .LBB2_10468
; %bb.10471:                            ;   in Loop: Header=BB2_10390 Depth=3
	s_or_b64 exec, exec, s[30:31]
.LBB2_10472:                            ;   in Loop: Header=BB2_10390 Depth=3
	s_or_b64 exec, exec, s[94:95]
	v_and_b32_e32 v8, 15, v30
	v_cndmask_b32_e64 v32, v49, v8, s[26:27]
	v_mov_b32_e32 v2, 0
	v_cmp_ne_u32_e32 vcc, 0, v32
	s_mov_b64 s[28:29], 0
                                        ; implicit-def: $vgpr3
                                        ; implicit-def: $vgpr31
	s_and_saveexec_b64 s[94:95], vcc
	s_cbranch_execz .LBB2_10480
; %bb.10473:                            ;   in Loop: Header=BB2_10390 Depth=3
	buffer_load_dword v3, off, s[0:3], s33 offset:216 ; 4-byte Folded Reload
	v_sub_u32_e32 v2, v49, v8
	v_cndmask_b32_e64 v2, 0, v2, s[26:27]
	v_cmp_lt_i32_e32 vcc, 0, v37
	v_add_u32_e32 v31, v2, v33
	v_cndmask_b32_e32 v2, 0, v36, vcc
	v_sub_u32_e32 v2, v2, v37
	s_waitcnt vmcnt(0)
	v_lshl_or_b32 v2, v2, 6, v3
	v_ashrrev_i32_e32 v3, 31, v2
	v_lshrrev_b32_e32 v3, 26, v3
	v_add_u32_e32 v3, v2, v3
	v_ashrrev_i32_e32 v8, 6, v3
	v_and_b32_e32 v3, 0xffffffc0, v3
	v_sub_u32_e32 v33, v2, v3
	v_ashrrev_i32_e32 v3, 31, v32
	v_lshrrev_b32_e32 v3, 22, v3
	v_add_u32_e32 v3, v32, v3
	v_and_b32_e32 v37, 0xfffffc00, v3
	v_lshlrev_b32_e32 v2, 4, v33
	v_sub_u32_e32 v49, v32, v37
	v_lshl_add_u32 v2, v8, 10, v2
	v_ashrrev_i32_e32 v9, 10, v3
	v_cmp_lt_i32_e64 s[26:27], 15, v49
	v_sub_u32_e32 v52, v32, v2
	v_addc_co_u32_e64 v3, vcc, 0, v9, s[26:27]
	v_sub_u32_e32 v51, v3, v8
	v_cmp_lt_i32_e32 vcc, 15, v52
	s_and_saveexec_b64 s[30:31], vcc
	s_cbranch_execz .LBB2_10479
; %bb.10474:                            ;   in Loop: Header=BB2_10390 Depth=3
	v_add_u32_e32 v8, v2, v31
	v_ashrrev_i32_e32 v9, 31, v8
	v_add_co_u32_e32 v2, vcc, v8, v14
	v_addc_co_u32_e32 v3, vcc, v9, v15, vcc
	v_add_co_u32_e32 v53, vcc, v8, v16
	v_addc_co_u32_e32 v54, vcc, v9, v17, vcc
	;; [unrolled: 2-line block ×3, first 2 shown]
	s_mov_b64 s[34:35], 0
.LBB2_10475:                            ;   Parent Loop BB2_47 Depth=1
                                        ;     Parent Loop BB2_10387 Depth=2
                                        ;       Parent Loop BB2_10390 Depth=3
                                        ; =>      This Loop Header: Depth=4
                                        ;           Child Loop BB2_10476 Depth 5
	global_load_dwordx4 v[8:11], v[2:3], off glc slc
	s_mov_b64 s[36:37], -1
	s_mov_b64 s[38:39], 0
	s_waitcnt vmcnt(0)
.LBB2_10476:                            ;   Parent Loop BB2_47 Depth=1
                                        ;     Parent Loop BB2_10387 Depth=2
                                        ;       Parent Loop BB2_10390 Depth=3
                                        ;         Parent Loop BB2_10475 Depth=4
                                        ; =>        This Inner Loop Header: Depth=5
	s_cmp_eq_u32 s38, 1
	s_cselect_b64 s[28:29], -1, 0
	v_cndmask_b32_e64 v39, v54, v40, s[28:29]
	v_cndmask_b32_e64 v38, v53, v55, s[28:29]
	global_store_dwordx4 v[38:39], v[8:11], off glc slc
	v_add_co_u32_e32 v38, vcc, 0x400, v38
	s_cmp_eq_u32 s38, 0
	v_addc_co_u32_e32 v39, vcc, 0, v39, vcc
	s_cselect_b64 vcc, -1, 0
	s_and_b64 s[40:41], exec, s[36:37]
	s_mov_b64 s[38:39], 1
	v_cndmask_b32_e64 v55, v55, v38, s[28:29]
	s_mov_b64 s[36:37], 0
	v_cndmask_b32_e64 v40, v40, v39, s[28:29]
	v_cndmask_b32_e32 v54, v54, v39, vcc
	v_cndmask_b32_e32 v53, v53, v38, vcc
	s_mov_b64 vcc, s[40:41]
	s_cbranch_vccnz .LBB2_10476
; %bb.10477:                            ;   in Loop: Header=BB2_10475 Depth=4
	buffer_load_dword v8, off, s[0:3], s33 offset:68 ; 4-byte Folded Reload
	buffer_load_dword v9, off, s[0:3], s33 offset:72 ; 4-byte Folded Reload
	v_sub_u32_e32 v51, v51, v36
	s_waitcnt vmcnt(1)
	v_add_co_u32_e32 v53, vcc, v53, v8
	s_waitcnt vmcnt(0)
	v_addc_co_u32_e32 v54, vcc, v54, v9, vcc
	v_add_co_u32_e32 v55, vcc, v55, v8
	buffer_load_dword v8, off, s[0:3], s33 offset:76 ; 4-byte Folded Reload
	v_addc_co_u32_e32 v40, vcc, v40, v9, vcc
	s_waitcnt vmcnt(0)
	v_add_co_u32_e32 v2, vcc, v8, v2
	buffer_load_dword v8, off, s[0:3], s33 offset:80 ; 4-byte Folded Reload
	s_waitcnt vmcnt(0)
	v_addc_co_u32_e32 v3, vcc, v8, v3, vcc
	buffer_load_dword v8, off, s[0:3], s33 offset:56 ; 4-byte Folded Reload
	s_waitcnt vmcnt(0)
	v_sub_u32_e32 v52, v52, v8
	v_cmp_gt_i32_e32 vcc, 16, v52
	s_or_b64 s[34:35], vcc, s[34:35]
	s_andn2_b64 exec, exec, s[34:35]
	s_cbranch_execnz .LBB2_10475
; %bb.10478:                            ;   in Loop: Header=BB2_10390 Depth=3
	s_or_b64 exec, exec, s[34:35]
.LBB2_10479:                            ;   in Loop: Header=BB2_10390 Depth=3
	s_or_b64 exec, exec, s[30:31]
	v_and_b32_e32 v3, 15, v32
	v_cmp_lt_i32_e32 vcc, 0, v51
	v_sub_u32_e32 v2, v49, v3
	v_cndmask_b32_e64 v3, v49, v3, s[26:27]
	v_cndmask_b32_e32 v8, 0, v36, vcc
	v_cndmask_b32_e64 v2, 0, v2, s[26:27]
	v_sub_u32_e32 v8, v8, v51
	v_cmp_ne_u32_e32 vcc, 0, v3
	v_add3_u32 v2, v37, v31, v2
	v_lshl_add_u32 v31, v8, 6, v33
	s_and_b64 s[28:29], vcc, exec
.LBB2_10480:                            ;   in Loop: Header=BB2_10390 Depth=3
	s_or_b64 exec, exec, s[94:95]
	s_and_saveexec_b64 s[40:41], s[28:29]
	s_cbranch_execz .LBB2_10491
.LBB2_10481:                            ;   in Loop: Header=BB2_10390 Depth=3
	s_waitcnt vmcnt(0)
	v_ashrrev_i32_e32 v8, 31, v31
	v_ashrrev_i32_e32 v9, 31, v3
	v_lshrrev_b32_e32 v8, 26, v8
	v_lshrrev_b32_e32 v9, 23, v9
	v_add_u32_e32 v8, v31, v8
	v_add_u32_e32 v9, v3, v9
	v_ashrrev_i32_e32 v32, 6, v8
	v_ashrrev_i32_e32 v37, 9, v9
	v_sub_u32_e32 v33, v37, v32
	v_cmp_lt_i32_e32 vcc, 0, v33
	s_and_saveexec_b64 s[26:27], vcc
	s_cbranch_execz .LBB2_10485
; %bb.10482:                            ;   in Loop: Header=BB2_10390 Depth=3
	buffer_load_dword v41, off, s[0:3], s33 offset:60 ; 4-byte Folded Reload
	v_and_b32_e32 v8, 0xffffffc0, v8
	v_sub_u32_e32 v8, v31, v8
	v_lshlrev_b32_e32 v9, 9, v32
	v_add3_u32 v10, v2, v8, v9
	v_ashrrev_i32_e32 v11, 31, v10
	v_add_co_u32_e32 v8, vcc, v10, v16
	v_addc_co_u32_e32 v9, vcc, v11, v17, vcc
	v_add_co_u32_e32 v4, vcc, v10, v4
	v_addc_co_u32_e32 v5, vcc, v11, v5, vcc
	v_add_co_u32_e32 v38, vcc, 0x1c0, v14
	v_addc_co_u32_e32 v39, vcc, 0, v15, vcc
	v_add_co_u32_e32 v10, vcc, v38, v10
	v_addc_co_u32_e32 v11, vcc, v39, v11, vcc
	s_mov_b64 s[28:29], 0
	v_mov_b32_e32 v40, v36
.LBB2_10483:                            ;   Parent Loop BB2_47 Depth=1
                                        ;     Parent Loop BB2_10387 Depth=2
                                        ;       Parent Loop BB2_10390 Depth=3
                                        ; =>      This Inner Loop Header: Depth=4
	v_add_co_u32_e32 v38, vcc, 0xfffffe40, v10
	v_addc_co_u32_e32 v39, vcc, -1, v11, vcc
	flat_load_ubyte v49, v[38:39] glc slc
	v_add_co_u32_e32 v38, vcc, 0xfffffe80, v10
	v_addc_co_u32_e32 v39, vcc, -1, v11, vcc
	flat_load_ubyte v51, v[38:39] glc slc
	;; [unrolled: 3-line block ×7, first 2 shown]
	s_nop 0
	flat_load_ubyte v39, v[10:11] glc slc
	v_sub_u32_e32 v33, v33, v40
	s_waitcnt vmcnt(0) lgkmcnt(0)
	flat_store_byte v[8:9], v49 glc slc
	flat_store_byte v[8:9], v51 offset:64 glc slc
	flat_store_byte v[8:9], v52 offset:128 glc slc
	;; [unrolled: 1-line block ×7, first 2 shown]
	flat_store_byte v[4:5], v49 glc slc
	flat_store_byte v[4:5], v51 offset:64 glc slc
	flat_store_byte v[4:5], v52 offset:128 glc slc
	;; [unrolled: 1-line block ×7, first 2 shown]
	v_add_co_u32_e32 v8, vcc, v8, v41
	v_addc_co_u32_e32 v9, vcc, 0, v9, vcc
	v_add_co_u32_e32 v4, vcc, v4, v41
	v_addc_co_u32_e32 v5, vcc, 0, v5, vcc
	;; [unrolled: 2-line block ×3, first 2 shown]
	v_cmp_gt_i32_e32 vcc, 1, v33
	s_or_b64 s[28:29], vcc, s[28:29]
	s_andn2_b64 exec, exec, s[28:29]
	s_cbranch_execnz .LBB2_10483
; %bb.10484:                            ;   in Loop: Header=BB2_10390 Depth=3
	s_or_b64 exec, exec, s[28:29]
.LBB2_10485:                            ;   in Loop: Header=BB2_10390 Depth=3
	s_or_b64 exec, exec, s[26:27]
	v_lshlrev_b32_e32 v4, 9, v37
	v_cmp_ne_u32_e32 vcc, v3, v4
	s_and_b64 exec, exec, vcc
	s_cbranch_execz .LBB2_10491
; %bb.10486:                            ;   in Loop: Header=BB2_10390 Depth=3
	v_lshlrev_b32_e32 v5, 6, v32
	v_sub_u32_e32 v5, v31, v5
	v_lshlrev_b32_e32 v8, 6, v33
	v_sub_u32_e32 v5, v5, v8
	v_add_u32_e32 v5, v4, v5
	v_sub_u32_e32 v4, v3, v5
	v_cmp_lt_i32_e32 vcc, 0, v4
	s_and_b64 exec, exec, vcc
	s_cbranch_execz .LBB2_10491
; %bb.10487:                            ;   in Loop: Header=BB2_10390 Depth=3
	v_add_u32_e32 v31, v5, v2
	s_trap 2
	ds_read_b64 v[2:3], v0
	ds_read_b128 v[8:11], v0
	v_ashrrev_i32_e32 v32, 31, v31
	s_mov_b64 s[94:95], 0
	s_waitcnt lgkmcnt(0)
	v_add_co_u32_e32 v2, vcc, v2, v31
	v_addc_co_u32_e32 v3, vcc, v3, v32, vcc
	v_add_co_u32_e32 v5, vcc, v8, v31
	v_addc_co_u32_e32 v8, vcc, v9, v32, vcc
	;; [unrolled: 2-line block ×3, first 2 shown]
.LBB2_10488:                            ;   Parent Loop BB2_47 Depth=1
                                        ;     Parent Loop BB2_10387 Depth=2
                                        ;       Parent Loop BB2_10390 Depth=3
                                        ; =>      This Loop Header: Depth=4
                                        ;           Child Loop BB2_10489 Depth 5
	flat_load_ubyte v11, v[2:3] glc slc
	s_mov_b64 s[30:31], -1
	s_mov_b64 s[34:35], 0
	s_waitcnt vmcnt(0)
.LBB2_10489:                            ;   Parent Loop BB2_47 Depth=1
                                        ;     Parent Loop BB2_10387 Depth=2
                                        ;       Parent Loop BB2_10390 Depth=3
                                        ;         Parent Loop BB2_10488 Depth=4
                                        ; =>        This Inner Loop Header: Depth=5
	s_cmp_eq_u32 s34, 1
	s_cselect_b64 vcc, -1, 0
	v_cndmask_b32_e32 v32, v8, v10, vcc
	v_cndmask_b32_e32 v31, v5, v9, vcc
	s_waitcnt lgkmcnt(0)
	flat_store_byte v[31:32], v11 glc slc
	v_add_co_u32_e64 v31, s[26:27], 64, v31
	s_cmp_eq_u32 s34, 0
	v_addc_co_u32_e64 v32, s[26:27], 0, v32, s[26:27]
	s_cselect_b64 s[26:27], -1, 0
	s_and_b64 s[28:29], exec, s[30:31]
	s_mov_b64 s[34:35], 1
	s_mov_b64 s[30:31], 0
	v_cndmask_b32_e32 v10, v10, v32, vcc
	v_cndmask_b32_e32 v9, v9, v31, vcc
	v_cndmask_b32_e64 v8, v8, v32, s[26:27]
	v_cndmask_b32_e64 v5, v5, v31, s[26:27]
	s_mov_b64 vcc, s[28:29]
	s_cbranch_vccnz .LBB2_10489
; %bb.10490:                            ;   in Loop: Header=BB2_10488 Depth=4
	buffer_load_dword v11, off, s[0:3], s33 offset:120 ; 4-byte Folded Reload
	buffer_load_dword v31, off, s[0:3], s33 offset:124 ; 4-byte Folded Reload
	s_waitcnt vmcnt(0)
	v_add_co_u32_e32 v5, vcc, v5, v11
	v_addc_co_u32_e32 v8, vcc, v8, v31, vcc
	v_add_co_u32_e32 v9, vcc, v9, v11
	buffer_load_dword v11, off, s[0:3], s33 offset:64 ; 4-byte Folded Reload
	v_addc_co_u32_e32 v10, vcc, v10, v31, vcc
	s_waitcnt vmcnt(0)
	v_sub_u32_e32 v4, v4, v11
	buffer_load_dword v11, off, s[0:3], s33 offset:128 ; 4-byte Folded Reload
	v_cmp_gt_i32_e32 vcc, 1, v4
	s_or_b64 s[94:95], vcc, s[94:95]
	s_waitcnt vmcnt(0)
	v_add_co_u32_e32 v2, vcc, v11, v2
	buffer_load_dword v11, off, s[0:3], s33 offset:132 ; 4-byte Folded Reload
	s_waitcnt vmcnt(0)
	v_addc_co_u32_e32 v3, vcc, v11, v3, vcc
	s_andn2_b64 exec, exec, s[94:95]
	s_cbranch_execnz .LBB2_10488
.LBB2_10491:                            ;   in Loop: Header=BB2_10390 Depth=3
	s_or_b64 exec, exec, s[40:41]
	s_mov_b64 s[26:27], 0
.LBB2_10492:                            ;   in Loop: Header=BB2_10390 Depth=3
	s_and_b64 vcc, exec, s[26:27]
	s_cbranch_vccz .LBB2_10519
; %bb.10493:                            ;   in Loop: Header=BB2_10390 Depth=3
	s_mov_b64 s[26:27], -1
	s_and_saveexec_b64 s[28:29], s[16:17]
	s_cbranch_execz .LBB2_10495
; %bb.10494:                            ;   in Loop: Header=BB2_10390 Depth=3
	ds_read_b32 v2, v0 offset:720
	s_waitcnt lgkmcnt(0)
	v_and_b32_e32 v2, 15, v2
	v_cmp_eq_u32_e32 vcc, 0, v2
	s_orn2_b64 s[26:27], vcc, exec
.LBB2_10495:                            ;   in Loop: Header=BB2_10390 Depth=3
	s_or_b64 exec, exec, s[28:29]
	s_and_saveexec_b64 s[28:29], s[14:15]
	s_cbranch_execz .LBB2_10497
; %bb.10496:                            ;   in Loop: Header=BB2_10390 Depth=3
	ds_read_b32 v2, v0 offset:784
	s_waitcnt lgkmcnt(0)
	v_and_b32_e32 v2, 15, v2
	v_cmp_eq_u32_e32 vcc, 0, v2
	s_and_b64 s[40:41], s[26:27], vcc
	s_andn2_b64 s[26:27], s[26:27], exec
	s_and_b64 s[40:41], s[40:41], exec
	s_or_b64 s[26:27], s[26:27], s[40:41]
.LBB2_10497:                            ;   in Loop: Header=BB2_10390 Depth=3
	s_or_b64 exec, exec, s[28:29]
	buffer_load_dword v4, off, s[0:3], s33 offset:140 ; 4-byte Folded Reload
	s_xor_b64 s[26:27], s[26:27], -1
	v_cndmask_b32_e64 v3, 0, 1, s[26:27]
	s_mov_b64 s[40:41], -1
	v_mov_b32_e32 v2, 0
	v_cmp_ne_u32_e32 vcc, 0, v3
	v_mov_b32_e32 v3, v30
	s_cbranch_vccz .LBB2_10499
; %bb.10498:                            ;   in Loop: Header=BB2_10390 Depth=3
	s_and_saveexec_b64 s[26:27], s[40:41]
	s_cbranch_execnz .LBB2_10510
	s_branch .LBB2_10518
.LBB2_10499:                            ;   in Loop: Header=BB2_10390 Depth=3
	v_ashrrev_i32_e32 v2, 31, v30
	v_lshrrev_b32_e32 v2, 21, v2
	v_add_u32_e32 v2, v30, v2
	s_waitcnt vmcnt(0)
	v_ashrrev_i32_e32 v4, 11, v2
	buffer_load_dword v2, off, s[0:3], s33 offset:172 ; 4-byte Folded Reload
	s_waitcnt vmcnt(0)
	v_sub_u32_e32 v8, v4, v2
	v_cmp_lt_i32_e32 vcc, 0, v8
	s_and_saveexec_b64 s[26:27], vcc
	s_cbranch_execz .LBB2_10503
; %bb.10500:                            ;   in Loop: Header=BB2_10390 Depth=3
	buffer_load_dword v2, off, s[0:3], s33 offset:252 ; 4-byte Folded Reload
	buffer_load_dword v3, off, s[0:3], s33 offset:256 ; 4-byte Folded Reload
	;; [unrolled: 1-line block ×3, first 2 shown]
	s_mov_b64 s[28:29], 0
	v_mov_b32_e32 v5, v36
.LBB2_10501:                            ;   Parent Loop BB2_47 Depth=1
                                        ;     Parent Loop BB2_10387 Depth=2
                                        ;       Parent Loop BB2_10390 Depth=3
                                        ; =>      This Inner Loop Header: Depth=4
	s_waitcnt vmcnt(0)
	v_add_co_u32_e32 v9, vcc, v14, v2
	v_addc_co_u32_e32 v10, vcc, v15, v3, vcc
	global_load_dwordx4 v[51:54], v[9:10], off glc slc
	global_load_dwordx4 v[37:40], v[9:10], off offset:1024 glc slc
	v_add_co_u32_e32 v9, vcc, v16, v2
	v_addc_co_u32_e32 v10, vcc, v17, v3, vcc
	v_add_co_u32_e32 v2, vcc, v2, v11
	v_sub_u32_e32 v8, v8, v5
	v_addc_co_u32_e32 v3, vcc, 0, v3, vcc
	v_cmp_gt_i32_e32 vcc, 1, v8
	s_or_b64 s[28:29], vcc, s[28:29]
	s_waitcnt vmcnt(0)
	global_store_dwordx4 v[9:10], v[51:54], off glc slc
	global_store_dwordx4 v[9:10], v[37:40], off offset:1024 glc slc
	s_andn2_b64 exec, exec, s[28:29]
	s_cbranch_execnz .LBB2_10501
; %bb.10502:                            ;   in Loop: Header=BB2_10390 Depth=3
	s_or_b64 exec, exec, s[28:29]
.LBB2_10503:                            ;   in Loop: Header=BB2_10390 Depth=3
	s_or_b64 exec, exec, s[26:27]
	v_lshlrev_b32_e32 v5, 11, v4
	v_cmp_ne_u32_e32 vcc, v30, v5
	s_mov_b64 s[40:41], 0
	v_mov_b32_e32 v2, 0
                                        ; implicit-def: $vgpr3
                                        ; implicit-def: $vgpr4
	s_and_saveexec_b64 s[28:29], vcc
	s_cbranch_execz .LBB2_10509
; %bb.10504:                            ;   in Loop: Header=BB2_10390 Depth=3
	buffer_load_dword v4, off, s[0:3], s33 offset:216 ; 4-byte Folded Reload
	v_lshlrev_b32_e32 v2, 6, v8
	v_sub_u32_e32 v3, v30, v5
	s_waitcnt vmcnt(0)
	v_sub_u32_e32 v2, v4, v2
	v_ashrrev_i32_e32 v4, 31, v2
	v_lshrrev_b32_e32 v4, 26, v4
	v_add_u32_e32 v4, v2, v4
	v_ashrrev_i32_e32 v8, 6, v4
	v_and_b32_e32 v4, 0xffffffc0, v4
	v_sub_u32_e32 v4, v2, v4
	v_lshlrev_b32_e32 v2, 4, v4
	v_lshl_add_u32 v10, v8, 10, v2
	v_ashrrev_i32_e32 v2, 31, v3
	v_lshrrev_b32_e32 v2, 22, v2
	v_add_u32_e32 v2, v3, v2
	v_ashrrev_i32_e32 v11, 10, v2
	v_and_b32_e32 v2, 0xfffffc00, v2
	v_sub_u32_e32 v9, v3, v10
	v_sub_u32_e32 v3, v3, v2
	v_cmp_lt_i32_e32 vcc, 15, v3
	v_addc_co_u32_e64 v11, s[26:27], 0, v11, vcc
	v_sub_u32_e32 v8, v11, v8
	v_cmp_lt_i32_e64 s[26:27], 15, v9
	s_and_saveexec_b64 s[40:41], s[26:27]
	s_cbranch_execz .LBB2_10508
; %bb.10505:                            ;   in Loop: Header=BB2_10390 Depth=3
	buffer_load_dword v37, off, s[0:3], s33 offset:56 ; 4-byte Folded Reload
	v_add_u32_e32 v10, v10, v5
	v_ashrrev_i32_e32 v11, 31, v10
	s_mov_b64 s[94:95], 0
	v_mov_b32_e32 v33, v36
.LBB2_10506:                            ;   Parent Loop BB2_47 Depth=1
                                        ;     Parent Loop BB2_10387 Depth=2
                                        ;       Parent Loop BB2_10390 Depth=3
                                        ; =>      This Inner Loop Header: Depth=4
	v_add_co_u32_e64 v31, s[26:27], v14, v10
	v_addc_co_u32_e64 v32, s[26:27], v15, v11, s[26:27]
	global_load_dwordx4 v[51:54], v[31:32], off glc slc
	v_add_co_u32_e64 v31, s[26:27], v16, v10
	v_addc_co_u32_e64 v32, s[26:27], v17, v11, s[26:27]
	s_waitcnt vmcnt(0)
	v_add_co_u32_e64 v10, s[26:27], v10, v37
	v_sub_u32_e32 v9, v9, v37
	v_addc_co_u32_e64 v11, s[26:27], 0, v11, s[26:27]
	v_cmp_gt_i32_e64 s[26:27], 16, v9
	v_sub_u32_e32 v8, v8, v33
	s_or_b64 s[94:95], s[26:27], s[94:95]
	global_store_dwordx4 v[31:32], v[51:54], off glc slc
	s_andn2_b64 exec, exec, s[94:95]
	s_cbranch_execnz .LBB2_10506
; %bb.10507:                            ;   in Loop: Header=BB2_10390 Depth=3
	s_or_b64 exec, exec, s[94:95]
.LBB2_10508:                            ;   in Loop: Header=BB2_10390 Depth=3
	s_or_b64 exec, exec, s[40:41]
	v_and_b32_e32 v9, 15, v30
	v_sub_u32_e32 v10, v3, v9
	v_cndmask_b32_e32 v10, 0, v10, vcc
	v_cndmask_b32_e32 v3, v3, v9, vcc
	v_cmp_lt_i32_e32 vcc, 0, v8
	v_add3_u32 v2, v2, v5, v10
	v_cndmask_b32_e32 v5, 0, v36, vcc
	v_sub_u32_e32 v5, v5, v8
	v_cmp_ne_u32_e32 vcc, 0, v3
	v_lshl_add_u32 v4, v5, 6, v4
	s_and_b64 s[40:41], vcc, exec
.LBB2_10509:                            ;   in Loop: Header=BB2_10390 Depth=3
	s_or_b64 exec, exec, s[28:29]
	s_and_saveexec_b64 s[26:27], s[40:41]
	s_cbranch_execz .LBB2_10518
.LBB2_10510:                            ;   in Loop: Header=BB2_10390 Depth=3
	s_waitcnt vmcnt(0)
	v_ashrrev_i32_e32 v5, 31, v4
	v_ashrrev_i32_e32 v8, 31, v3
	v_lshrrev_b32_e32 v5, 26, v5
	v_lshrrev_b32_e32 v8, 23, v8
	v_add_u32_e32 v10, v4, v5
	v_add_u32_e32 v8, v3, v8
	v_ashrrev_i32_e32 v5, 6, v10
	v_ashrrev_i32_e32 v9, 9, v8
	v_sub_u32_e32 v8, v9, v5
	v_cmp_lt_i32_e32 vcc, 0, v8
	s_and_saveexec_b64 s[28:29], vcc
	s_cbranch_execz .LBB2_10514
; %bb.10511:                            ;   in Loop: Header=BB2_10390 Depth=3
	buffer_load_dword v55, off, s[0:3], s33 offset:60 ; 4-byte Folded Reload
	v_and_b32_e32 v10, 0xffffffc0, v10
	v_sub_u32_e32 v10, v4, v10
	v_lshlrev_b32_e32 v11, 9, v5
	v_add3_u32 v10, v2, v10, v11
	v_ashrrev_i32_e32 v11, 31, v10
	s_mov_b64 s[40:41], 0
	v_mov_b32_e32 v54, v36
.LBB2_10512:                            ;   Parent Loop BB2_47 Depth=1
                                        ;     Parent Loop BB2_10387 Depth=2
                                        ;       Parent Loop BB2_10390 Depth=3
                                        ; =>      This Inner Loop Header: Depth=4
	v_add_co_u32_e32 v31, vcc, v10, v14
	v_addc_co_u32_e32 v32, vcc, v11, v15, vcc
	flat_load_ubyte v33, v[31:32] glc slc
	flat_load_ubyte v37, v[31:32] offset:64 glc slc
	flat_load_ubyte v38, v[31:32] offset:128 glc slc
	;; [unrolled: 1-line block ×7, first 2 shown]
	v_add_co_u32_e32 v31, vcc, v10, v16
	v_addc_co_u32_e32 v32, vcc, v11, v17, vcc
	s_waitcnt vmcnt(0)
	v_add_co_u32_e32 v14, vcc, v14, v55
	v_addc_co_u32_e32 v15, vcc, 0, v15, vcc
	v_add_co_u32_e32 v16, vcc, v16, v55
	v_sub_u32_e32 v8, v8, v54
	v_addc_co_u32_e32 v17, vcc, 0, v17, vcc
	v_cmp_gt_i32_e32 vcc, 1, v8
	s_or_b64 s[40:41], vcc, s[40:41]
	s_waitcnt lgkmcnt(0)
	flat_store_byte v[31:32], v33 glc slc
	flat_store_byte v[31:32], v37 offset:64 glc slc
	flat_store_byte v[31:32], v38 offset:128 glc slc
	;; [unrolled: 1-line block ×7, first 2 shown]
	s_andn2_b64 exec, exec, s[40:41]
	s_cbranch_execnz .LBB2_10512
; %bb.10513:                            ;   in Loop: Header=BB2_10390 Depth=3
	s_or_b64 exec, exec, s[40:41]
.LBB2_10514:                            ;   in Loop: Header=BB2_10390 Depth=3
	s_or_b64 exec, exec, s[28:29]
	buffer_load_dword v14, off, s[0:3], s33 offset:64 ; 4-byte Folded Reload
	v_lshlrev_b32_e32 v9, 9, v9
	v_cmp_ne_u32_e32 vcc, v3, v9
	s_and_b64 s[28:29], exec, vcc
	s_mov_b64 exec, s[28:29]
	s_cbranch_execz .LBB2_10518
; %bb.10515:                            ;   in Loop: Header=BB2_10390 Depth=3
	v_lshlrev_b32_e32 v5, 6, v5
	v_sub_u32_e32 v4, v4, v5
	v_lshlrev_b32_e32 v5, 6, v8
	v_sub_u32_e32 v4, v4, v5
	v_add_u32_e32 v5, v9, v4
	v_sub_u32_e32 v4, v3, v5
	v_cmp_lt_i32_e32 vcc, 0, v4
	s_and_b64 exec, exec, vcc
	s_cbranch_execz .LBB2_10518
; %bb.10516:                            ;   in Loop: Header=BB2_10390 Depth=3
	v_add_u32_e32 v5, v5, v2
	s_trap 2
	ds_read_b64 v[2:3], v0
	v_ashrrev_i32_e32 v8, 31, v5
	s_mov_b64 s[28:29], 0
.LBB2_10517:                            ;   Parent Loop BB2_47 Depth=1
                                        ;     Parent Loop BB2_10387 Depth=2
                                        ;       Parent Loop BB2_10390 Depth=3
                                        ; =>      This Inner Loop Header: Depth=4
	s_waitcnt lgkmcnt(0)
	v_add_co_u32_e32 v9, vcc, v2, v5
	v_addc_co_u32_e32 v10, vcc, v3, v8, vcc
	flat_load_ubyte v11, v[9:10] glc slc
	s_waitcnt vmcnt(0)
	v_add_co_u32_e32 v5, vcc, v5, v14
	v_sub_u32_e32 v4, v4, v14
	v_addc_co_u32_e32 v8, vcc, 0, v8, vcc
	v_cmp_gt_i32_e32 vcc, 1, v4
	s_or_b64 s[28:29], vcc, s[28:29]
	s_waitcnt lgkmcnt(0)
	flat_store_byte v[9:10], v11 glc slc
	s_andn2_b64 exec, exec, s[28:29]
	s_cbranch_execnz .LBB2_10517
.LBB2_10518:                            ;   in Loop: Header=BB2_10390 Depth=3
	s_or_b64 exec, exec, s[26:27]
.LBB2_10519:                            ;   in Loop: Header=BB2_10390 Depth=3
	v_cmp_lt_i32_e64 s[26:27], 0, v30
	s_and_saveexec_b64 s[28:29], s[12:13]
	s_cbranch_execz .LBB2_10538
.LBB2_10520:                            ;   in Loop: Header=BB2_10390 Depth=3
	s_and_saveexec_b64 s[40:41], s[58:59]
	s_xor_b64 s[40:41], exec, s[40:41]
	s_cbranch_execz .LBB2_10535
; %bb.10521:                            ;   in Loop: Header=BB2_10390 Depth=3
	s_and_saveexec_b64 s[94:95], s[6:7]
	s_cbranch_execz .LBB2_10534
; %bb.10522:                            ;   in Loop: Header=BB2_10390 Depth=3
	s_mov_b64 s[34:35], exec
	v_mbcnt_lo_u32_b32 v2, s34, 0
	v_mbcnt_hi_u32_b32 v2, s35, v2
	v_cmp_eq_u32_e32 vcc, 0, v2
	s_waitcnt vmcnt(0) lgkmcnt(0)
	buffer_wbinvl1_vol
	s_and_saveexec_b64 s[30:31], vcc
	s_cbranch_execz .LBB2_10524
; %bb.10523:                            ;   in Loop: Header=BB2_10390 Depth=3
	s_bcnt1_i32_b64 vcc_lo, s[34:35]
	v_mov_b32_e32 v2, vcc_lo
	v_mov_b32_e32 v3, v29
	ds_add_u64 v0, v[2:3]
	s_trap 2
.LBB2_10524:                            ;   in Loop: Header=BB2_10390 Depth=3
	s_or_b64 exec, exec, s[30:31]
	s_trap 2
	ds_read_b64 v[2:3], v0
	s_waitcnt lgkmcnt(0)
	v_add_co_u32_e32 v12, vcc, v12, v36
	v_addc_co_u32_e32 v13, vcc, 0, v13, vcc
	v_cmp_lt_u64_e32 vcc, v[2:3], v[12:13]
	s_and_saveexec_b64 s[30:31], vcc
	s_cbranch_execz .LBB2_10533
; %bb.10525:                            ;   in Loop: Header=BB2_10390 Depth=3
	s_mov_b32 s52, 0
	s_mov_b64 s[34:35], 0
                                        ; implicit-def: $sgpr36_sgpr37
                                        ; implicit-def: $sgpr38_sgpr39
	s_branch .LBB2_10527
.LBB2_10526:                            ;   in Loop: Header=BB2_10527 Depth=4
	s_or_b64 exec, exec, s[50:51]
	s_and_b64 vcc, exec, vcc
	s_or_b64 s[34:35], vcc, s[34:35]
	s_andn2_b64 vcc, s[36:37], exec
	s_and_b64 s[36:37], s[38:39], exec
	s_or_b64 s[36:37], vcc, s[36:37]
	s_andn2_b64 exec, exec, s[34:35]
	s_cbranch_execz .LBB2_10531
.LBB2_10527:                            ;   Parent Loop BB2_47 Depth=1
                                        ;     Parent Loop BB2_10387 Depth=2
                                        ;       Parent Loop BB2_10390 Depth=3
                                        ; =>      This Inner Loop Header: Depth=4
	s_add_i32 s52, s52, 1
	s_cmpk_lg_i32 s52, 0x2710
	s_cselect_b64 s[48:49], -1, 0
	s_and_b64 vcc, exec, s[48:49]
	s_cbranch_vccz .LBB2_10529
; %bb.10528:                            ;   in Loop: Header=BB2_10527 Depth=4
	s_mov_b64 vcc, -1
	s_or_b64 s[38:39], s[38:39], exec
	s_and_saveexec_b64 s[50:51], s[48:49]
	s_cbranch_execz .LBB2_10526
	s_branch .LBB2_10530
.LBB2_10529:                            ;   in Loop: Header=BB2_10527 Depth=4
	s_trap 2
	ds_read_b64 v[2:3], v0
	s_andn2_b64 s[48:49], s[48:49], exec
	s_mov_b32 s52, 0
	s_waitcnt lgkmcnt(0)
	flat_load_dword v2, v[2:3] glc
	s_waitcnt vmcnt(0) lgkmcnt(0)
	buffer_wbinvl1_vol
	v_cmp_eq_u32_e32 vcc, 0, v2
	s_and_b64 vcc, vcc, exec
	s_or_b64 s[48:49], s[48:49], vcc
	s_mov_b64 vcc, -1
	s_or_b64 s[38:39], s[38:39], exec
	s_and_saveexec_b64 s[50:51], s[48:49]
	s_cbranch_execz .LBB2_10526
.LBB2_10530:                            ;   in Loop: Header=BB2_10527 Depth=4
	s_sleep 1
	s_trap 2
	ds_read_b64 v[2:3], v0
	s_waitcnt lgkmcnt(0)
	s_andn2_b64 s[38:39], s[38:39], exec
	v_cmp_ge_u64_e32 vcc, v[2:3], v[12:13]
	s_orn2_b64 vcc, vcc, exec
	s_branch .LBB2_10526
.LBB2_10531:                            ;   in Loop: Header=BB2_10390 Depth=3
	s_or_b64 exec, exec, s[34:35]
	s_and_saveexec_b64 vcc, s[36:37]
	s_xor_b64 vcc, exec, vcc
	s_cbranch_execz .LBB2_10533
; %bb.10532:                            ;   in Loop: Header=BB2_10390 Depth=3
	v_mov_b32_e32 v2, 1
	ds_write_b32 v0, v2
	s_trap 2
.LBB2_10533:                            ;   in Loop: Header=BB2_10390 Depth=3
	s_or_b64 exec, exec, s[30:31]
	;;#ASMSTART
	s_wakeup
	;;#ASMEND
.LBB2_10534:                            ;   in Loop: Header=BB2_10390 Depth=3
	s_or_b64 exec, exec, s[94:95]
.LBB2_10535:                            ;   in Loop: Header=BB2_10390 Depth=3
	s_andn2_saveexec_b64 s[40:41], s[40:41]
	s_cbranch_execz .LBB2_10537
; %bb.10536:                            ;   in Loop: Header=BB2_10390 Depth=3
	s_waitcnt vmcnt(0) lgkmcnt(0)
	buffer_wbinvl1_vol
	s_barrier
.LBB2_10537:                            ;   in Loop: Header=BB2_10390 Depth=3
	s_or_b64 exec, exec, s[40:41]
.LBB2_10538:                            ;   in Loop: Header=BB2_10390 Depth=3
	s_or_b64 exec, exec, s[28:29]
	v_and_b32_e32 v2, 16, v34
	s_and_saveexec_b64 s[28:29], s[18:19]
	s_xor_b64 s[28:29], exec, s[28:29]
	s_cbranch_execz .LBB2_10542
; %bb.10539:                            ;   in Loop: Header=BB2_10390 Depth=3
	v_and_b32_e32 v3, 16, v34
	v_cmp_ne_u32_e32 vcc, 0, v3
	v_and_b32_e32 v2, 16, v34
	s_and_b64 s[40:41], vcc, s[26:27]
	s_and_saveexec_b64 s[26:27], s[40:41]
	s_cbranch_execz .LBB2_10541
; %bb.10540:                            ;   in Loop: Header=BB2_10390 Depth=3
	v_mov_b32_e32 v2, 1
	s_waitcnt vmcnt(0) lgkmcnt(0)
	buffer_wbinvl1_vol
.LBB2_10541:                            ;   in Loop: Header=BB2_10390 Depth=3
	s_or_b64 exec, exec, s[26:27]
.LBB2_10542:                            ;   in Loop: Header=BB2_10390 Depth=3
	s_andn2_saveexec_b64 s[26:27], s[28:29]
	s_cbranch_execz .LBB2_10561
; %bb.10543:                            ;   in Loop: Header=BB2_10390 Depth=3
	s_and_saveexec_b64 s[28:29], s[58:59]
	s_xor_b64 s[28:29], exec, s[28:29]
	s_cbranch_execz .LBB2_10558
; %bb.10544:                            ;   in Loop: Header=BB2_10390 Depth=3
	s_and_saveexec_b64 s[40:41], s[6:7]
	s_cbranch_execz .LBB2_10557
; %bb.10545:                            ;   in Loop: Header=BB2_10390 Depth=3
	s_mov_b64 s[30:31], exec
	v_mbcnt_lo_u32_b32 v3, s30, 0
	v_mbcnt_hi_u32_b32 v3, s31, v3
	v_cmp_eq_u32_e32 vcc, 0, v3
	;;#ASMSTART
	s_waitcnt lgkmcnt(0) vmcnt(0)
	;;#ASMEND
	s_and_saveexec_b64 s[94:95], vcc
	s_cbranch_execz .LBB2_10547
; %bb.10546:                            ;   in Loop: Header=BB2_10390 Depth=3
	s_bcnt1_i32_b64 vcc_lo, s[30:31]
	v_mov_b32_e32 v3, vcc_lo
	s_waitcnt vmcnt(0)
	v_mov_b32_e32 v4, v29
	s_waitcnt lgkmcnt(0)
	ds_add_u64 v0, v[3:4]
	s_trap 2
.LBB2_10547:                            ;   in Loop: Header=BB2_10390 Depth=3
	s_or_b64 exec, exec, s[94:95]
	s_trap 2
	s_waitcnt vmcnt(0)
	ds_read_b64 v[3:4], v0
	s_waitcnt lgkmcnt(0)
	v_add_co_u32_e32 v12, vcc, v12, v36
	v_addc_co_u32_e32 v13, vcc, 0, v13, vcc
	v_cmp_lt_u64_e32 vcc, v[3:4], v[12:13]
	s_and_saveexec_b64 s[94:95], vcc
	s_cbranch_execz .LBB2_10556
; %bb.10548:                            ;   in Loop: Header=BB2_10390 Depth=3
	s_mov_b32 s50, 0
	s_mov_b64 s[30:31], 0
                                        ; implicit-def: $sgpr34_sgpr35
                                        ; implicit-def: $sgpr36_sgpr37
	s_branch .LBB2_10550
.LBB2_10549:                            ;   in Loop: Header=BB2_10550 Depth=4
	s_or_b64 exec, exec, s[48:49]
	s_and_b64 vcc, exec, vcc
	s_or_b64 s[30:31], vcc, s[30:31]
	s_andn2_b64 vcc, s[34:35], exec
	s_and_b64 s[34:35], s[36:37], exec
	s_or_b64 s[34:35], vcc, s[34:35]
	s_andn2_b64 exec, exec, s[30:31]
	s_cbranch_execz .LBB2_10554
.LBB2_10550:                            ;   Parent Loop BB2_47 Depth=1
                                        ;     Parent Loop BB2_10387 Depth=2
                                        ;       Parent Loop BB2_10390 Depth=3
                                        ; =>      This Inner Loop Header: Depth=4
	s_add_i32 s50, s50, 1
	s_cmpk_lg_i32 s50, 0x2710
	s_cselect_b64 s[38:39], -1, 0
	s_and_b64 vcc, exec, s[38:39]
	s_cbranch_vccz .LBB2_10552
; %bb.10551:                            ;   in Loop: Header=BB2_10550 Depth=4
	s_mov_b64 vcc, -1
	s_or_b64 s[36:37], s[36:37], exec
	s_and_saveexec_b64 s[48:49], s[38:39]
	s_cbranch_execz .LBB2_10549
	s_branch .LBB2_10553
.LBB2_10552:                            ;   in Loop: Header=BB2_10550 Depth=4
	s_trap 2
	ds_read_b64 v[3:4], v0
	s_andn2_b64 s[38:39], s[38:39], exec
	s_mov_b32 s50, 0
	s_waitcnt lgkmcnt(0)
	flat_load_dword v3, v[3:4] glc
	s_waitcnt vmcnt(0) lgkmcnt(0)
	buffer_wbinvl1_vol
	v_cmp_eq_u32_e32 vcc, 0, v3
	s_and_b64 vcc, vcc, exec
	s_or_b64 s[38:39], s[38:39], vcc
	s_mov_b64 vcc, -1
	s_or_b64 s[36:37], s[36:37], exec
	s_and_saveexec_b64 s[48:49], s[38:39]
	s_cbranch_execz .LBB2_10549
.LBB2_10553:                            ;   in Loop: Header=BB2_10550 Depth=4
	s_sleep 1
	s_trap 2
	ds_read_b64 v[3:4], v0
	s_waitcnt lgkmcnt(0)
	s_andn2_b64 s[36:37], s[36:37], exec
	v_cmp_ge_u64_e32 vcc, v[3:4], v[12:13]
	s_orn2_b64 vcc, vcc, exec
	s_branch .LBB2_10549
.LBB2_10554:                            ;   in Loop: Header=BB2_10390 Depth=3
	s_or_b64 exec, exec, s[30:31]
	s_and_saveexec_b64 vcc, s[34:35]
	s_xor_b64 vcc, exec, vcc
	s_cbranch_execz .LBB2_10556
; %bb.10555:                            ;   in Loop: Header=BB2_10390 Depth=3
	v_mov_b32_e32 v3, 1
	ds_write_b32 v0, v3
	s_trap 2
.LBB2_10556:                            ;   in Loop: Header=BB2_10390 Depth=3
	s_or_b64 exec, exec, s[94:95]
	;;#ASMSTART
	s_wakeup
	;;#ASMEND
.LBB2_10557:                            ;   in Loop: Header=BB2_10390 Depth=3
	s_or_b64 exec, exec, s[40:41]
.LBB2_10558:                            ;   in Loop: Header=BB2_10390 Depth=3
	s_andn2_saveexec_b64 s[28:29], s[28:29]
	s_cbranch_execz .LBB2_10560
; %bb.10559:                            ;   in Loop: Header=BB2_10390 Depth=3
	;;#ASMSTART
	s_waitcnt lgkmcnt(0) vmcnt(0)
	;;#ASMEND
	s_waitcnt vmcnt(0) lgkmcnt(0)
	s_barrier
.LBB2_10560:                            ;   in Loop: Header=BB2_10390 Depth=3
	s_or_b64 exec, exec, s[28:29]
.LBB2_10561:                            ;   in Loop: Header=BB2_10390 Depth=3
	s_or_b64 exec, exec, s[26:27]
	v_cmp_ne_u32_e32 vcc, 0, v2
	s_xor_b64 s[26:27], s[20:21], -1
	s_and_b64 s[28:29], vcc, s[26:27]
	s_and_saveexec_b64 s[26:27], s[28:29]
	s_cbranch_execz .LBB2_10563
; %bb.10562:                            ;   in Loop: Header=BB2_10390 Depth=3
	buffer_load_dword v2, off, s[0:3], s33 offset:108 ; 4-byte Folded Reload
	buffer_load_dword v3, off, s[0:3], s33 offset:112 ; 4-byte Folded Reload
	s_waitcnt vmcnt(0)
	v_mov_b32_e32 v4, 1
	flat_store_dword v[2:3], v4
.LBB2_10563:                            ;   in Loop: Header=BB2_10390 Depth=3
	s_or_b64 exec, exec, s[26:27]
	v_and_b32_e32 v2, 48, v34
	v_cmp_ne_u32_e32 vcc, 0, v2
	s_and_saveexec_b64 s[26:27], vcc
	s_cbranch_execz .LBB2_10389
; %bb.10564:                            ;   in Loop: Header=BB2_10390 Depth=3
	v_add_co_u32_e32 v24, vcc, 2, v24
	v_addc_co_u32_e32 v25, vcc, 0, v25, vcc
	flat_store_dwordx2 v[20:21], v[24:25]
	s_branch .LBB2_10389
.LBB2_10565:                            ;   in Loop: Header=BB2_10387 Depth=2
	s_or_b64 exec, exec, s[42:43]
	v_cmp_gt_i32_e32 vcc, 2, v4
	s_and_saveexec_b64 s[28:29], vcc
	s_cbranch_execz .LBB2_10641
.LBB2_10566:                            ;   in Loop: Header=BB2_10387 Depth=2
	v_cmp_eq_u32_e64 s[42:43], 0, v4
	s_mov_b64 s[40:41], 0
	s_branch .LBB2_10568
.LBB2_10567:                            ;   in Loop: Header=BB2_10568 Depth=3
	s_or_b64 exec, exec, s[26:27]
	v_add_u32_e32 v19, v50, v19
	s_mov_b64 s[42:43], 0
	s_andn2_b64 exec, exec, s[40:41]
	s_cbranch_execz .LBB2_10642
.LBB2_10568:                            ;   Parent Loop BB2_47 Depth=1
                                        ;     Parent Loop BB2_10387 Depth=2
                                        ; =>    This Loop Header: Depth=3
                                        ;         Child Loop BB2_10574 Depth 4
                                        ;         Child Loop BB2_10602 Depth 4
	;; [unrolled: 1-line block ×3, first 2 shown]
	v_sub_u32_e32 v2, v18, v19
	v_min_i32_e32 v50, v50, v2
	v_and_b32_e32 v2, 12, v34
	v_cmp_ne_u32_e32 vcc, 0, v2
	s_and_saveexec_b64 s[90:91], vcc
	s_cbranch_execz .LBB2_10594
; %bb.10569:                            ;   in Loop: Header=BB2_10568 Depth=3
	v_and_b32_e32 v14, 8, v34
	s_waitcnt lgkmcnt(0)
	v_add_co_u32_e32 v2, vcc, v26, v14
	v_addc_co_u32_e32 v3, vcc, 0, v27, vcc
	v_add_co_u32_e32 v4, vcc, 2, v24
	v_addc_co_u32_e32 v5, vcc, 0, v25, vcc
	v_cmp_lt_u64_e32 vcc, v[2:3], v[4:5]
	s_and_saveexec_b64 s[92:93], vcc
	s_cbranch_execz .LBB2_10581
; %bb.10570:                            ;   in Loop: Header=BB2_10568 Depth=3
	v_and_b32_e32 v2, 64, v34
	s_mov_b32 s64, 0
	v_cmp_eq_u32_e32 vcc, 0, v2
	s_mov_b64 s[94:95], 0
                                        ; implicit-def: $sgpr30_sgpr31
                                        ; implicit-def: $sgpr34_sgpr35
                                        ; implicit-def: $sgpr36_sgpr37
	s_branch .LBB2_10574
.LBB2_10571:                            ;   in Loop: Header=BB2_10574 Depth=4
	s_waitcnt vmcnt(0) lgkmcnt(0)
	v_add_co_u32_e64 v8, s[26:27], v26, v14
	v_addc_co_u32_e64 v9, s[26:27], 0, v27, s[26:27]
	v_cmp_ge_u64_e64 s[26:27], v[8:9], v[4:5]
	s_or_b64 s[50:51], s[50:51], exec
	s_orn2_b64 s[48:49], s[26:27], exec
.LBB2_10572:                            ;   in Loop: Header=BB2_10574 Depth=4
	s_or_b64 exec, exec, s[54:55]
	s_andn2_b64 s[26:27], s[36:37], exec
	s_and_b64 s[36:37], s[50:51], exec
	s_or_b64 s[36:37], s[26:27], s[36:37]
	s_andn2_b64 s[26:27], s[34:35], exec
	s_and_b64 s[34:35], s[48:49], exec
	s_or_b64 s[34:35], s[26:27], s[34:35]
.LBB2_10573:                            ;   in Loop: Header=BB2_10574 Depth=4
	s_or_b64 exec, exec, s[38:39]
	s_and_b64 s[26:27], exec, s[34:35]
	s_or_b64 s[94:95], s[26:27], s[94:95]
	s_andn2_b64 s[26:27], s[30:31], exec
	s_and_b64 s[30:31], s[36:37], exec
	s_or_b64 s[30:31], s[26:27], s[30:31]
	s_andn2_b64 exec, exec, s[94:95]
	s_cbranch_execz .LBB2_10578
.LBB2_10574:                            ;   Parent Loop BB2_47 Depth=1
                                        ;     Parent Loop BB2_10387 Depth=2
                                        ;       Parent Loop BB2_10568 Depth=3
                                        ; =>      This Inner Loop Header: Depth=4
	s_sleep 1
	s_waitcnt vmcnt(0) lgkmcnt(0)
	flat_load_dwordx2 v[26:27], v[20:21] glc
	s_or_b64 s[36:37], s[36:37], exec
	s_or_b64 s[34:35], s[34:35], exec
                                        ; implicit-def: $vgpr2
	s_and_saveexec_b64 s[38:39], vcc
	s_cbranch_execz .LBB2_10573
; %bb.10575:                            ;   in Loop: Header=BB2_10574 Depth=4
	s_cmpk_lt_i32 s64, 0x270f
	s_cselect_b64 s[52:53], -1, 0
	s_cmpk_gt_i32 s64, 0x270e
	s_mov_b64 s[48:49], -1
	s_cbranch_scc0 .LBB2_10577
; %bb.10576:                            ;   in Loop: Header=BB2_10574 Depth=4
	s_trap 2
	ds_read_b64 v[2:3], v0
	s_andn2_b64 s[52:53], s[52:53], exec
	s_mov_b32 s64, 0
	s_mov_b64 s[50:51], 0
	s_waitcnt vmcnt(0) lgkmcnt(0)
	flat_load_dword v2, v[2:3] glc
	s_waitcnt vmcnt(0) lgkmcnt(0)
	buffer_wbinvl1_vol
	v_cmp_eq_u32_e64 s[26:27], 0, v2
	s_and_b64 s[26:27], s[26:27], exec
	s_or_b64 s[52:53], s[52:53], s[26:27]
	s_and_saveexec_b64 s[54:55], s[52:53]
	s_cbranch_execz .LBB2_10572
	s_branch .LBB2_10571
.LBB2_10577:                            ;   in Loop: Header=BB2_10574 Depth=4
	s_add_i32 s64, s64, 1
	s_mov_b64 s[50:51], -1
                                        ; implicit-def: $vgpr2
	s_and_saveexec_b64 s[54:55], s[52:53]
	s_cbranch_execz .LBB2_10572
	s_branch .LBB2_10571
.LBB2_10578:                            ;   in Loop: Header=BB2_10568 Depth=3
	s_or_b64 exec, exec, s[94:95]
	s_xor_b64 s[26:27], s[30:31], -1
	s_and_saveexec_b64 s[94:95], s[26:27]
	s_xor_b64 s[26:27], exec, s[94:95]
	s_cbranch_execz .LBB2_10580
; %bb.10579:                            ;   in Loop: Header=BB2_10568 Depth=3
	v_or_b32_e32 v34, 64, v34
	s_waitcnt lgkmcnt(0)
	ds_write_b32 v0, v2
	s_trap 2
.LBB2_10580:                            ;   in Loop: Header=BB2_10568 Depth=3
	s_or_b64 exec, exec, s[26:27]
.LBB2_10581:                            ;   in Loop: Header=BB2_10568 Depth=3
	s_or_b64 exec, exec, s[92:93]
	v_and_b32_e32 v2, 0x108, v34
	v_cmp_ne_u32_e32 vcc, s9, v2
	;;#ASMSTART
	s_wakeup
	;;#ASMEND
                                        ; implicit-def: $vgpr2_vgpr3
	s_and_saveexec_b64 s[26:27], vcc
	s_xor_b64 s[26:27], exec, s[26:27]
; %bb.10582:                            ;   in Loop: Header=BB2_10568 Depth=3
	v_and_b32_e32 v2, 7, v24
	v_mov_b32_e32 v3, v29
                                        ; implicit-def: $vgpr24_vgpr25
; %bb.10583:                            ;   in Loop: Header=BB2_10568 Depth=3
	s_andn2_saveexec_b64 s[26:27], s[26:27]
	s_cbranch_execz .LBB2_10585
; %bb.10584:                            ;   in Loop: Header=BB2_10568 Depth=3
	buffer_load_dword v8, off, s[0:3], s33 offset:92 ; 4-byte Folded Reload
	buffer_load_dword v9, off, s[0:3], s33 offset:96 ; 4-byte Folded Reload
	;; [unrolled: 1-line block ×4, first 2 shown]
	v_and_b32_e32 v2, 7, v24
	v_mov_b32_e32 v3, v29
	v_ashrrev_i32_e32 v51, 31, v50
	s_waitcnt vmcnt(0)
	v_mad_u64_u32 v[8:9], s[92:93], v2, 24, v[8:9]
	flat_store_dwordx2 v[8:9], v[50:51] offset:8
.LBB2_10585:                            ;   in Loop: Header=BB2_10568 Depth=3
	s_or_b64 exec, exec, s[26:27]
	v_and_b32_e32 v8, 0x100, v34
	v_cmp_ne_u32_e32 vcc, 0, v8
	s_mov_b64 s[26:27], -1
                                        ; implicit-def: $vgpr8_vgpr9
	s_and_saveexec_b64 s[92:93], vcc
	s_cbranch_execz .LBB2_10589
; %bb.10586:                            ;   in Loop: Header=BB2_10568 Depth=3
	buffer_load_dword v8, off, s[0:3], s33 offset:92 ; 4-byte Folded Reload
	buffer_load_dword v9, off, s[0:3], s33 offset:96 ; 4-byte Folded Reload
	;; [unrolled: 1-line block ×4, first 2 shown]
	s_waitcnt vmcnt(0)
	v_mad_u64_u32 v[10:11], s[26:27], v2, 24, v[8:9]
	v_mov_b32_e32 v8, v11
	v_mad_u64_u32 v[8:9], s[26:27], v3, 24, v[8:9]
	v_mov_b32_e32 v11, v8
	flat_load_dword v8, v[10:11]
	s_waitcnt vmcnt(0) lgkmcnt(0)
	v_cmp_ne_u32_e32 vcc, 1, v8
	v_cmp_eq_u32_e64 s[26:27], 1, v8
                                        ; implicit-def: $vgpr8_vgpr9
	s_and_saveexec_b64 s[94:95], s[26:27]
	s_cbranch_execz .LBB2_10588
; %bb.10587:                            ;   in Loop: Header=BB2_10568 Depth=3
	flat_load_dword v8, v[10:11] offset:4 glc
	s_waitcnt vmcnt(0) lgkmcnt(0)
	v_ashrrev_i32_e32 v9, 31, v8
.LBB2_10588:                            ;   in Loop: Header=BB2_10568 Depth=3
	s_or_b64 exec, exec, s[94:95]
	s_orn2_b64 s[26:27], vcc, exec
.LBB2_10589:                            ;   in Loop: Header=BB2_10568 Depth=3
	s_or_b64 exec, exec, s[92:93]
	s_and_saveexec_b64 s[92:93], s[26:27]
	s_cbranch_execz .LBB2_10591
; %bb.10590:                            ;   in Loop: Header=BB2_10568 Depth=3
	buffer_load_dword v8, off, s[0:3], s33 offset:116 ; 4-byte Folded Reload
	buffer_load_dword v9, off, s[0:3], s33 offset:136 ; 4-byte Folded Reload
	s_waitcnt vmcnt(0)
	v_mul_lo_u32 v3, v3, v8
	v_mul_lo_u32 v10, v2, v9
	v_mad_u64_u32 v[8:9], s[26:27], v2, v8, 0
	v_add3_u32 v9, v9, v10, v3
.LBB2_10591:                            ;   in Loop: Header=BB2_10568 Depth=3
	s_or_b64 exec, exec, s[92:93]
	v_cmp_eq_u32_e32 vcc, 0, v14
	v_mov_b32_e32 v2, 0xd0
	v_mov_b32_e32 v3, 0x88
	v_cndmask_b32_e32 v10, v2, v3, vcc
	buffer_load_dword v2, off, s[0:3], s33 offset:84 ; 4-byte Folded Reload
	buffer_load_dword v3, off, s[0:3], s33 offset:88 ; 4-byte Folded Reload
	s_waitcnt vmcnt(0)
	v_add_co_u32_e32 v2, vcc, v2, v8
	v_addc_co_u32_e32 v3, vcc, v3, v9, vcc
	v_add_u32_e32 v8, v0, v10
	ds_write_b64 v8, v[2:3] offset:584
	v_and_b32_e32 v2, 0x2000, v34
	v_cmp_ne_u32_e32 vcc, 0, v2
	s_and_saveexec_b64 s[26:27], vcc
	s_cbranch_execz .LBB2_10593
; %bb.10592:                            ;   in Loop: Header=BB2_10568 Depth=3
	ds_read_b64 v[2:3], v0 offset:872
	s_waitcnt lgkmcnt(0)
	v_add_co_u32_e32 v2, vcc, 1, v2
	v_addc_co_u32_e32 v3, vcc, 0, v3, vcc
	ds_write_b64 v0, v[2:3] offset:872
.LBB2_10593:                            ;   in Loop: Header=BB2_10568 Depth=3
	s_or_b64 exec, exec, s[26:27]
	v_mov_b32_e32 v25, v5
	v_mov_b32_e32 v24, v4
.LBB2_10594:                            ;   in Loop: Header=BB2_10568 Depth=3
	s_or_b64 exec, exec, s[90:91]
	s_xor_b64 s[26:27], s[42:43], -1
	s_and_b64 s[26:27], exec, s[26:27]
	s_or_b64 s[40:41], s[26:27], s[40:41]
	s_and_saveexec_b64 s[26:27], s[12:13]
	s_cbranch_execz .LBB2_10613
; %bb.10595:                            ;   in Loop: Header=BB2_10568 Depth=3
	s_and_saveexec_b64 s[42:43], s[58:59]
	s_xor_b64 s[42:43], exec, s[42:43]
	s_cbranch_execz .LBB2_10610
; %bb.10596:                            ;   in Loop: Header=BB2_10568 Depth=3
	s_and_saveexec_b64 s[90:91], s[6:7]
	s_cbranch_execz .LBB2_10609
; %bb.10597:                            ;   in Loop: Header=BB2_10568 Depth=3
	s_mov_b64 s[94:95], exec
	v_mbcnt_lo_u32_b32 v2, s94, 0
	v_mbcnt_hi_u32_b32 v2, s95, v2
	v_cmp_eq_u32_e32 vcc, 0, v2
	s_waitcnt vmcnt(0) lgkmcnt(0)
	buffer_wbinvl1_vol
	s_and_saveexec_b64 s[92:93], vcc
	s_cbranch_execz .LBB2_10599
; %bb.10598:                            ;   in Loop: Header=BB2_10568 Depth=3
	s_bcnt1_i32_b64 s94, s[94:95]
	v_mov_b32_e32 v2, s94
	v_mov_b32_e32 v3, v29
	ds_add_u64 v0, v[2:3]
	s_trap 2
.LBB2_10599:                            ;   in Loop: Header=BB2_10568 Depth=3
	s_or_b64 exec, exec, s[92:93]
	s_trap 2
	ds_read_b64 v[2:3], v0
	s_waitcnt lgkmcnt(0)
	v_add_co_u32_e32 v12, vcc, v12, v36
	v_addc_co_u32_e32 v13, vcc, 0, v13, vcc
	v_cmp_lt_u64_e32 vcc, v[2:3], v[12:13]
	s_and_saveexec_b64 s[92:93], vcc
	s_cbranch_execz .LBB2_10608
; %bb.10600:                            ;   in Loop: Header=BB2_10568 Depth=3
	s_mov_b32 s48, 0
	s_mov_b64 s[94:95], 0
                                        ; implicit-def: $sgpr30_sgpr31
                                        ; implicit-def: $sgpr34_sgpr35
	s_branch .LBB2_10602
.LBB2_10601:                            ;   in Loop: Header=BB2_10602 Depth=4
	s_or_b64 exec, exec, s[38:39]
	s_and_b64 vcc, exec, vcc
	s_or_b64 s[94:95], vcc, s[94:95]
	s_andn2_b64 vcc, s[30:31], exec
	s_and_b64 s[30:31], s[34:35], exec
	s_or_b64 s[30:31], vcc, s[30:31]
	s_andn2_b64 exec, exec, s[94:95]
	s_cbranch_execz .LBB2_10606
.LBB2_10602:                            ;   Parent Loop BB2_47 Depth=1
                                        ;     Parent Loop BB2_10387 Depth=2
                                        ;       Parent Loop BB2_10568 Depth=3
                                        ; =>      This Inner Loop Header: Depth=4
	s_add_i32 s48, s48, 1
	s_cmpk_lg_i32 s48, 0x2710
	s_cselect_b64 s[36:37], -1, 0
	s_and_b64 vcc, exec, s[36:37]
	s_cbranch_vccz .LBB2_10604
; %bb.10603:                            ;   in Loop: Header=BB2_10602 Depth=4
	s_mov_b64 vcc, -1
	s_or_b64 s[34:35], s[34:35], exec
	s_and_saveexec_b64 s[38:39], s[36:37]
	s_cbranch_execz .LBB2_10601
	s_branch .LBB2_10605
.LBB2_10604:                            ;   in Loop: Header=BB2_10602 Depth=4
	s_trap 2
	ds_read_b64 v[2:3], v0
	s_andn2_b64 s[36:37], s[36:37], exec
	s_mov_b32 s48, 0
	s_waitcnt lgkmcnt(0)
	flat_load_dword v2, v[2:3] glc
	s_waitcnt vmcnt(0) lgkmcnt(0)
	buffer_wbinvl1_vol
	v_cmp_eq_u32_e32 vcc, 0, v2
	s_and_b64 vcc, vcc, exec
	s_or_b64 s[36:37], s[36:37], vcc
	s_mov_b64 vcc, -1
	s_or_b64 s[34:35], s[34:35], exec
	s_and_saveexec_b64 s[38:39], s[36:37]
	s_cbranch_execz .LBB2_10601
.LBB2_10605:                            ;   in Loop: Header=BB2_10602 Depth=4
	s_sleep 1
	s_trap 2
	ds_read_b64 v[2:3], v0
	s_waitcnt lgkmcnt(0)
	s_andn2_b64 s[34:35], s[34:35], exec
	v_cmp_ge_u64_e32 vcc, v[2:3], v[12:13]
	s_orn2_b64 vcc, vcc, exec
	s_branch .LBB2_10601
.LBB2_10606:                            ;   in Loop: Header=BB2_10568 Depth=3
	s_or_b64 exec, exec, s[94:95]
	s_and_saveexec_b64 s[94:95], s[30:31]
	s_xor_b64 s[94:95], exec, s[94:95]
	s_cbranch_execz .LBB2_10608
; %bb.10607:                            ;   in Loop: Header=BB2_10568 Depth=3
	v_mov_b32_e32 v2, 1
	ds_write_b32 v0, v2
	s_trap 2
.LBB2_10608:                            ;   in Loop: Header=BB2_10568 Depth=3
	s_or_b64 exec, exec, s[92:93]
	;;#ASMSTART
	s_wakeup
	;;#ASMEND
.LBB2_10609:                            ;   in Loop: Header=BB2_10568 Depth=3
	s_or_b64 exec, exec, s[90:91]
.LBB2_10610:                            ;   in Loop: Header=BB2_10568 Depth=3
	s_andn2_saveexec_b64 s[42:43], s[42:43]
	s_cbranch_execz .LBB2_10612
; %bb.10611:                            ;   in Loop: Header=BB2_10568 Depth=3
	s_waitcnt vmcnt(0) lgkmcnt(0)
	buffer_wbinvl1_vol
	s_barrier
.LBB2_10612:                            ;   in Loop: Header=BB2_10568 Depth=3
	s_or_b64 exec, exec, s[42:43]
.LBB2_10613:                            ;   in Loop: Header=BB2_10568 Depth=3
	s_or_b64 exec, exec, s[26:27]
	v_and_b32_e32 v2, 16, v34
	s_and_saveexec_b64 s[26:27], s[18:19]
	s_xor_b64 s[26:27], exec, s[26:27]
	s_cbranch_execz .LBB2_10617
; %bb.10614:                            ;   in Loop: Header=BB2_10568 Depth=3
	s_trap 2
	ds_read_b32 v2, v0
	v_cmp_lt_i32_e32 vcc, 0, v50
	v_and_b32_e32 v3, 16, v34
	s_waitcnt lgkmcnt(0)
	v_readfirstlane_b32 s42, v2
	s_cmp_eq_u32 s42, 0
	s_cselect_b64 s[42:43], -1, 0
	s_and_b64 s[42:43], vcc, s[42:43]
	v_cmp_ne_u32_e32 vcc, 0, v3
	v_and_b32_e32 v2, 16, v34
	s_and_b64 s[90:91], vcc, s[42:43]
	s_and_saveexec_b64 s[42:43], s[90:91]
	s_cbranch_execz .LBB2_10616
; %bb.10615:                            ;   in Loop: Header=BB2_10568 Depth=3
	v_mov_b32_e32 v2, 1
	s_waitcnt vmcnt(0)
	buffer_wbinvl1_vol
.LBB2_10616:                            ;   in Loop: Header=BB2_10568 Depth=3
	s_or_b64 exec, exec, s[42:43]
.LBB2_10617:                            ;   in Loop: Header=BB2_10568 Depth=3
	s_andn2_saveexec_b64 s[26:27], s[26:27]
	s_cbranch_execz .LBB2_10636
; %bb.10618:                            ;   in Loop: Header=BB2_10568 Depth=3
	s_and_saveexec_b64 s[42:43], s[58:59]
	s_xor_b64 s[42:43], exec, s[42:43]
	s_cbranch_execz .LBB2_10633
; %bb.10619:                            ;   in Loop: Header=BB2_10568 Depth=3
	s_and_saveexec_b64 s[90:91], s[6:7]
	s_cbranch_execz .LBB2_10632
; %bb.10620:                            ;   in Loop: Header=BB2_10568 Depth=3
	s_mov_b64 s[94:95], exec
	v_mbcnt_lo_u32_b32 v3, s94, 0
	v_mbcnt_hi_u32_b32 v3, s95, v3
	v_cmp_eq_u32_e32 vcc, 0, v3
	;;#ASMSTART
	s_waitcnt lgkmcnt(0) vmcnt(0)
	;;#ASMEND
	s_and_saveexec_b64 s[92:93], vcc
	s_cbranch_execz .LBB2_10622
; %bb.10621:                            ;   in Loop: Header=BB2_10568 Depth=3
	s_bcnt1_i32_b64 s94, s[94:95]
	v_mov_b32_e32 v3, s94
	v_mov_b32_e32 v4, v29
	s_waitcnt lgkmcnt(0)
	ds_add_u64 v0, v[3:4]
	s_trap 2
.LBB2_10622:                            ;   in Loop: Header=BB2_10568 Depth=3
	s_or_b64 exec, exec, s[92:93]
	s_trap 2
	ds_read_b64 v[3:4], v0
	s_waitcnt lgkmcnt(0)
	v_add_co_u32_e32 v12, vcc, v12, v36
	v_addc_co_u32_e32 v13, vcc, 0, v13, vcc
	v_cmp_lt_u64_e32 vcc, v[3:4], v[12:13]
	s_and_saveexec_b64 s[92:93], vcc
	s_cbranch_execz .LBB2_10631
; %bb.10623:                            ;   in Loop: Header=BB2_10568 Depth=3
	s_mov_b32 s48, 0
	s_mov_b64 s[94:95], 0
                                        ; implicit-def: $sgpr30_sgpr31
                                        ; implicit-def: $sgpr34_sgpr35
	s_branch .LBB2_10625
.LBB2_10624:                            ;   in Loop: Header=BB2_10625 Depth=4
	s_or_b64 exec, exec, s[38:39]
	s_and_b64 vcc, exec, vcc
	s_or_b64 s[94:95], vcc, s[94:95]
	s_andn2_b64 vcc, s[30:31], exec
	s_and_b64 s[30:31], s[34:35], exec
	s_or_b64 s[30:31], vcc, s[30:31]
	s_andn2_b64 exec, exec, s[94:95]
	s_cbranch_execz .LBB2_10629
.LBB2_10625:                            ;   Parent Loop BB2_47 Depth=1
                                        ;     Parent Loop BB2_10387 Depth=2
                                        ;       Parent Loop BB2_10568 Depth=3
                                        ; =>      This Inner Loop Header: Depth=4
	s_add_i32 s48, s48, 1
	s_cmpk_lg_i32 s48, 0x2710
	s_cselect_b64 s[36:37], -1, 0
	s_and_b64 vcc, exec, s[36:37]
	s_cbranch_vccz .LBB2_10627
; %bb.10626:                            ;   in Loop: Header=BB2_10625 Depth=4
	s_mov_b64 vcc, -1
	s_or_b64 s[34:35], s[34:35], exec
	s_and_saveexec_b64 s[38:39], s[36:37]
	s_cbranch_execz .LBB2_10624
	s_branch .LBB2_10628
.LBB2_10627:                            ;   in Loop: Header=BB2_10625 Depth=4
	s_trap 2
	ds_read_b64 v[3:4], v0
	s_andn2_b64 s[36:37], s[36:37], exec
	s_mov_b32 s48, 0
	s_waitcnt lgkmcnt(0)
	flat_load_dword v3, v[3:4] glc
	s_waitcnt vmcnt(0) lgkmcnt(0)
	buffer_wbinvl1_vol
	v_cmp_eq_u32_e32 vcc, 0, v3
	s_and_b64 vcc, vcc, exec
	s_or_b64 s[36:37], s[36:37], vcc
	s_mov_b64 vcc, -1
	s_or_b64 s[34:35], s[34:35], exec
	s_and_saveexec_b64 s[38:39], s[36:37]
	s_cbranch_execz .LBB2_10624
.LBB2_10628:                            ;   in Loop: Header=BB2_10625 Depth=4
	s_sleep 1
	s_trap 2
	ds_read_b64 v[3:4], v0
	s_waitcnt lgkmcnt(0)
	s_andn2_b64 s[34:35], s[34:35], exec
	v_cmp_ge_u64_e32 vcc, v[3:4], v[12:13]
	s_orn2_b64 vcc, vcc, exec
	s_branch .LBB2_10624
.LBB2_10629:                            ;   in Loop: Header=BB2_10568 Depth=3
	s_or_b64 exec, exec, s[94:95]
	s_and_saveexec_b64 s[94:95], s[30:31]
	s_xor_b64 s[94:95], exec, s[94:95]
	s_cbranch_execz .LBB2_10631
; %bb.10630:                            ;   in Loop: Header=BB2_10568 Depth=3
	v_mov_b32_e32 v3, 1
	ds_write_b32 v0, v3
	s_trap 2
.LBB2_10631:                            ;   in Loop: Header=BB2_10568 Depth=3
	s_or_b64 exec, exec, s[92:93]
	;;#ASMSTART
	s_wakeup
	;;#ASMEND
.LBB2_10632:                            ;   in Loop: Header=BB2_10568 Depth=3
	s_or_b64 exec, exec, s[90:91]
.LBB2_10633:                            ;   in Loop: Header=BB2_10568 Depth=3
	s_andn2_saveexec_b64 s[42:43], s[42:43]
	s_cbranch_execz .LBB2_10635
; %bb.10634:                            ;   in Loop: Header=BB2_10568 Depth=3
	;;#ASMSTART
	s_waitcnt lgkmcnt(0) vmcnt(0)
	;;#ASMEND
	s_waitcnt vmcnt(0) lgkmcnt(0)
	s_barrier
.LBB2_10635:                            ;   in Loop: Header=BB2_10568 Depth=3
	s_or_b64 exec, exec, s[42:43]
.LBB2_10636:                            ;   in Loop: Header=BB2_10568 Depth=3
	s_or_b64 exec, exec, s[26:27]
	v_cmp_ne_u32_e32 vcc, 0, v2
	s_xor_b64 s[26:27], s[20:21], -1
	s_and_b64 s[42:43], vcc, s[26:27]
	s_and_saveexec_b64 s[26:27], s[42:43]
	s_cbranch_execz .LBB2_10638
; %bb.10637:                            ;   in Loop: Header=BB2_10568 Depth=3
	buffer_load_dword v2, off, s[0:3], s33 offset:108 ; 4-byte Folded Reload
	buffer_load_dword v3, off, s[0:3], s33 offset:112 ; 4-byte Folded Reload
	v_mov_b32_e32 v4, 1
	s_waitcnt vmcnt(0)
	flat_store_dword v[2:3], v4
.LBB2_10638:                            ;   in Loop: Header=BB2_10568 Depth=3
	s_or_b64 exec, exec, s[26:27]
	v_and_b32_e32 v2, 48, v34
	v_cmp_ne_u32_e32 vcc, 0, v2
	s_and_saveexec_b64 s[26:27], vcc
	s_cbranch_execz .LBB2_10567
; %bb.10639:                            ;   in Loop: Header=BB2_10568 Depth=3
	v_add_co_u32_e32 v24, vcc, 2, v24
	v_addc_co_u32_e32 v25, vcc, 0, v25, vcc
	flat_store_dwordx2 v[20:21], v[24:25]
	s_branch .LBB2_10567
.LBB2_10640:                            ;   in Loop: Header=BB2_10387 Depth=2
	s_or_b64 exec, exec, s[90:91]
	s_or_b64 exec, exec, s[42:43]
	v_cmp_gt_i32_e32 vcc, 2, v4
	s_and_saveexec_b64 s[28:29], vcc
	s_cbranch_execnz .LBB2_10566
.LBB2_10641:                            ;   in Loop: Header=BB2_10387 Depth=2
	s_or_b64 exec, exec, s[28:29]
	s_add_i32 s26, s8, 1
	s_cmp_eq_u32 s8, s84
	s_cbranch_scc0 .LBB2_10643
	s_branch .LBB2_10644
.LBB2_10642:                            ;   in Loop: Header=BB2_10387 Depth=2
	s_or_b64 exec, exec, s[40:41]
	s_or_b64 exec, exec, s[28:29]
	s_add_i32 s26, s8, 1
	s_cmp_eq_u32 s8, s84
	s_cbranch_scc1 .LBB2_10644
.LBB2_10643:                            ;   in Loop: Header=BB2_10387 Depth=2
	s_mov_b32 s8, s26
	s_branch .LBB2_10387
.LBB2_10644:                            ;   in Loop: Header=BB2_47 Depth=1
	buffer_load_dword v8, off, s[0:3], s33 offset:228 ; 4-byte Folded Reload
	buffer_load_dword v9, off, s[0:3], s33 offset:232 ; 4-byte Folded Reload
	v_mov_b32_e32 v14, 0
	s_waitcnt vmcnt(0)
	v_mul_lo_u32 v5, v8, s83
	v_mul_lo_u32 v4, v9, s82
	v_mad_u64_u32 v[2:3], s[26:27], v8, s82, 0
	v_add3_u32 v3, v3, v5, v4
	buffer_load_dword v4, off, s[0:3], s33 offset:220 ; 4-byte Folded Reload
	buffer_load_dword v5, off, s[0:3], s33 offset:224 ; 4-byte Folded Reload
	s_waitcnt vmcnt(0)
	v_sub_co_u32_e32 v4, vcc, v4, v2
	v_subb_co_u32_e32 v5, vcc, v5, v3, vcc
	v_cmp_lt_i64_e32 vcc, v[8:9], v[4:5]
	v_cndmask_b32_e32 v5, v4, v8, vcc
	v_max_i32_e32 v10, 0, v5
	v_add_u32_e32 v8, 31, v10
	v_lshrrev_b32_e32 v8, 1, v8
	v_and_b32_e32 v8, 0x3ffffff0, v8
	v_cmp_lt_i32_e32 vcc, 0, v5
	v_mov_b32_e32 v4, 0
	v_max_i32_e32 v11, s81, v8
	s_and_b64 s[26:27], s[74:75], vcc
	s_and_saveexec_b64 s[28:29], s[26:27]
	s_cbranch_execz .LBB2_10782
; %bb.10645:                            ;   in Loop: Header=BB2_47 Depth=1
	buffer_load_dword v4, off, s[0:3], s33 offset:152 ; 4-byte Folded Reload
	s_mov_b32 s8, 1
	s_mov_b64 s[42:43], -1
	v_mov_b32_e32 v14, 0
	s_mov_b64 s[40:41], 0
	s_waitcnt vmcnt(0)
	v_add_co_u32_e32 v15, vcc, v2, v4
	buffer_load_dword v2, off, s[0:3], s33 offset:156 ; 4-byte Folded Reload
	s_waitcnt vmcnt(0)
	v_addc_co_u32_e32 v16, vcc, v3, v2, vcc
	s_branch .LBB2_10647
.LBB2_10646:                            ;   in Loop: Header=BB2_10647 Depth=2
	s_or_b64 exec, exec, s[26:27]
	v_add_u32_e32 v14, v11, v14
	v_cmp_ge_i32_e32 vcc, v14, v10
	s_xor_b64 s[26:27], s[42:43], -1
	s_or_b64 s[26:27], s[26:27], vcc
	s_and_b64 s[26:27], exec, s[26:27]
	s_or_b64 s[40:41], s[26:27], s[40:41]
	s_mov_b64 s[42:43], 0
	v_mov_b32_e32 v4, s8
	s_mov_b32 s8, 2
	s_andn2_b64 exec, exec, s[40:41]
	s_cbranch_execz .LBB2_10781
.LBB2_10647:                            ;   Parent Loop BB2_47 Depth=1
                                        ; =>  This Loop Header: Depth=2
                                        ;       Child Loop BB2_10655 Depth 3
                                        ;       Child Loop BB2_10679 Depth 3
	;; [unrolled: 1-line block ×9, first 2 shown]
	s_and_saveexec_b64 s[26:27], s[4:5]
	s_cbranch_execz .LBB2_10649
; %bb.10648:                            ;   in Loop: Header=BB2_10647 Depth=2
	s_trap 2
	ds_read_b128 v[2:5], v0
	v_ashrrev_i32_e32 v8, 31, v14
	s_waitcnt lgkmcnt(0)
	v_add_co_u32_e32 v2, vcc, v2, v15
	v_addc_co_u32_e32 v3, vcc, v3, v16, vcc
	v_add_co_u32_e32 v2, vcc, v2, v14
	v_addc_co_u32_e32 v3, vcc, v3, v8, vcc
	ds_write_b64 v0, v[2:3]
	v_add_co_u32_e32 v2, vcc, v4, v15
	v_addc_co_u32_e32 v3, vcc, v5, v16, vcc
	v_add_co_u32_e32 v2, vcc, v2, v14
	v_addc_co_u32_e32 v3, vcc, v3, v8, vcc
	v_cmp_ne_u64_e32 vcc, 0, v[4:5]
	v_cndmask_b32_e32 v3, 0, v3, vcc
	v_cndmask_b32_e32 v2, 0, v2, vcc
	ds_write_b64 v0, v[2:3]
.LBB2_10649:                            ;   in Loop: Header=BB2_10647 Depth=2
	s_or_b64 exec, exec, s[26:27]
	v_and_b32_e32 v2, 4, v34
	v_cmp_ne_u32_e32 vcc, 0, v2
	s_and_saveexec_b64 s[90:91], vcc
	s_cbranch_execz .LBB2_10671
; %bb.10650:                            ;   in Loop: Header=BB2_10647 Depth=2
	v_add_co_u32_e32 v4, vcc, 2, v24
	v_addc_co_u32_e32 v5, vcc, 0, v25, vcc
	s_waitcnt lgkmcnt(0)
	v_cmp_lt_u64_e32 vcc, v[26:27], v[4:5]
	s_and_saveexec_b64 s[92:93], vcc
	s_cbranch_execz .LBB2_10662
; %bb.10651:                            ;   in Loop: Header=BB2_10647 Depth=2
	v_and_b32_e32 v2, 64, v34
	s_mov_b32 s64, 0
	v_cmp_eq_u32_e32 vcc, 0, v2
	s_mov_b64 s[94:95], 0
                                        ; implicit-def: $sgpr30_sgpr31
                                        ; implicit-def: $sgpr34_sgpr35
                                        ; implicit-def: $sgpr36_sgpr37
	s_branch .LBB2_10655
.LBB2_10652:                            ;   in Loop: Header=BB2_10655 Depth=3
	s_waitcnt vmcnt(0) lgkmcnt(0)
	v_cmp_ge_u64_e64 s[26:27], v[26:27], v[4:5]
	s_or_b64 s[50:51], s[50:51], exec
	s_orn2_b64 s[48:49], s[26:27], exec
.LBB2_10653:                            ;   in Loop: Header=BB2_10655 Depth=3
	s_or_b64 exec, exec, s[54:55]
	s_andn2_b64 s[26:27], s[36:37], exec
	s_and_b64 s[36:37], s[50:51], exec
	s_or_b64 s[36:37], s[26:27], s[36:37]
	s_andn2_b64 s[26:27], s[34:35], exec
	s_and_b64 s[34:35], s[48:49], exec
	s_or_b64 s[34:35], s[26:27], s[34:35]
.LBB2_10654:                            ;   in Loop: Header=BB2_10655 Depth=3
	s_or_b64 exec, exec, s[38:39]
	s_and_b64 s[26:27], exec, s[34:35]
	s_or_b64 s[94:95], s[26:27], s[94:95]
	s_andn2_b64 s[26:27], s[30:31], exec
	s_and_b64 s[30:31], s[36:37], exec
	s_or_b64 s[30:31], s[26:27], s[30:31]
	s_andn2_b64 exec, exec, s[94:95]
	s_cbranch_execz .LBB2_10659
.LBB2_10655:                            ;   Parent Loop BB2_47 Depth=1
                                        ;     Parent Loop BB2_10647 Depth=2
                                        ; =>    This Inner Loop Header: Depth=3
	s_sleep 1
	s_waitcnt vmcnt(0) lgkmcnt(0)
	flat_load_dwordx2 v[26:27], v[20:21] glc
	s_or_b64 s[36:37], s[36:37], exec
	s_or_b64 s[34:35], s[34:35], exec
                                        ; implicit-def: $vgpr2
	s_and_saveexec_b64 s[38:39], vcc
	s_cbranch_execz .LBB2_10654
; %bb.10656:                            ;   in Loop: Header=BB2_10655 Depth=3
	s_cmpk_lt_i32 s64, 0x270f
	s_cselect_b64 s[52:53], -1, 0
	s_cmpk_gt_i32 s64, 0x270e
	s_mov_b64 s[48:49], -1
	s_cbranch_scc0 .LBB2_10658
; %bb.10657:                            ;   in Loop: Header=BB2_10655 Depth=3
	s_trap 2
	ds_read_b64 v[2:3], v0
	s_andn2_b64 s[52:53], s[52:53], exec
	s_mov_b32 s64, 0
	s_mov_b64 s[50:51], 0
	s_waitcnt vmcnt(0) lgkmcnt(0)
	flat_load_dword v2, v[2:3] glc
	s_waitcnt vmcnt(0) lgkmcnt(0)
	buffer_wbinvl1_vol
	v_cmp_eq_u32_e64 s[26:27], 0, v2
	s_and_b64 s[26:27], s[26:27], exec
	s_or_b64 s[52:53], s[52:53], s[26:27]
	s_and_saveexec_b64 s[54:55], s[52:53]
	s_cbranch_execz .LBB2_10653
	s_branch .LBB2_10652
.LBB2_10658:                            ;   in Loop: Header=BB2_10655 Depth=3
	s_add_i32 s64, s64, 1
	s_mov_b64 s[50:51], -1
                                        ; implicit-def: $vgpr2
	s_and_saveexec_b64 s[54:55], s[52:53]
	s_cbranch_execz .LBB2_10653
	s_branch .LBB2_10652
.LBB2_10659:                            ;   in Loop: Header=BB2_10647 Depth=2
	s_or_b64 exec, exec, s[94:95]
	s_xor_b64 s[26:27], s[30:31], -1
	s_and_saveexec_b64 s[94:95], s[26:27]
	s_xor_b64 s[26:27], exec, s[94:95]
	s_cbranch_execz .LBB2_10661
; %bb.10660:                            ;   in Loop: Header=BB2_10647 Depth=2
	v_or_b32_e32 v34, 64, v34
	s_waitcnt lgkmcnt(0)
	ds_write_b32 v0, v2
	s_trap 2
.LBB2_10661:                            ;   in Loop: Header=BB2_10647 Depth=2
	s_or_b64 exec, exec, s[26:27]
.LBB2_10662:                            ;   in Loop: Header=BB2_10647 Depth=2
	s_or_b64 exec, exec, s[92:93]
	v_and_b32_e32 v2, 0x100, v34
	v_cmp_ne_u32_e32 vcc, 0, v2
	v_and_b32_e32 v17, 7, v24
	s_mov_b64 s[26:27], -1
	;;#ASMSTART
	s_wakeup
	;;#ASMEND
                                        ; implicit-def: $vgpr2_vgpr3
	s_and_saveexec_b64 s[92:93], vcc
	s_cbranch_execz .LBB2_10666
; %bb.10663:                            ;   in Loop: Header=BB2_10647 Depth=2
	buffer_load_dword v30, off, s[0:3], s33 offset:92 ; 4-byte Folded Reload
	buffer_load_dword v31, off, s[0:3], s33 offset:96 ; 4-byte Folded Reload
	;; [unrolled: 1-line block ×4, first 2 shown]
	s_waitcnt vmcnt(0)
	v_mad_u64_u32 v[8:9], s[26:27], v17, 24, v[30:31]
	flat_load_dword v2, v[8:9]
	s_waitcnt vmcnt(0) lgkmcnt(0)
	v_cmp_ne_u32_e32 vcc, 1, v2
	v_cmp_eq_u32_e64 s[26:27], 1, v2
                                        ; implicit-def: $vgpr2_vgpr3
	s_and_saveexec_b64 s[94:95], s[26:27]
	s_cbranch_execz .LBB2_10665
; %bb.10664:                            ;   in Loop: Header=BB2_10647 Depth=2
	flat_load_dword v2, v[8:9] offset:4 glc
	s_waitcnt vmcnt(0) lgkmcnt(0)
	v_ashrrev_i32_e32 v3, 31, v2
.LBB2_10665:                            ;   in Loop: Header=BB2_10647 Depth=2
	s_or_b64 exec, exec, s[94:95]
	s_orn2_b64 s[26:27], vcc, exec
.LBB2_10666:                            ;   in Loop: Header=BB2_10647 Depth=2
	s_or_b64 exec, exec, s[92:93]
	s_and_saveexec_b64 s[92:93], s[26:27]
	s_cbranch_execz .LBB2_10668
; %bb.10667:                            ;   in Loop: Header=BB2_10647 Depth=2
	buffer_load_dword v2, off, s[0:3], s33 offset:116 ; 4-byte Folded Reload
	s_waitcnt vmcnt(0)
	v_mad_i64_i32 v[2:3], s[26:27], v17, v2, 0
.LBB2_10668:                            ;   in Loop: Header=BB2_10647 Depth=2
	s_or_b64 exec, exec, s[92:93]
	buffer_load_dword v8, off, s[0:3], s33 offset:84 ; 4-byte Folded Reload
	buffer_load_dword v9, off, s[0:3], s33 offset:88 ; 4-byte Folded Reload
	s_waitcnt vmcnt(0)
	v_add_co_u32_e32 v2, vcc, v8, v2
	v_addc_co_u32_e32 v3, vcc, v9, v3, vcc
	ds_write_b64 v0, v[2:3] offset:720
	v_and_b32_e32 v2, 0x2000, v34
	v_cmp_ne_u32_e32 vcc, 0, v2
	s_and_saveexec_b64 s[26:27], vcc
	s_cbranch_execz .LBB2_10670
; %bb.10669:                            ;   in Loop: Header=BB2_10647 Depth=2
	ds_read_b64 v[2:3], v0 offset:872
	s_waitcnt lgkmcnt(0)
	v_add_co_u32_e32 v2, vcc, 1, v2
	v_addc_co_u32_e32 v3, vcc, 0, v3, vcc
	ds_write_b64 v0, v[2:3] offset:872
.LBB2_10670:                            ;   in Loop: Header=BB2_10647 Depth=2
	s_or_b64 exec, exec, s[26:27]
	v_mov_b32_e32 v25, v5
	v_mov_b32_e32 v24, v4
.LBB2_10671:                            ;   in Loop: Header=BB2_10647 Depth=2
	s_or_b64 exec, exec, s[90:91]
	s_and_saveexec_b64 s[26:27], s[12:13]
	s_cbranch_execz .LBB2_10690
; %bb.10672:                            ;   in Loop: Header=BB2_10647 Depth=2
	s_and_saveexec_b64 s[90:91], s[58:59]
	s_xor_b64 s[90:91], exec, s[90:91]
	s_cbranch_execz .LBB2_10687
; %bb.10673:                            ;   in Loop: Header=BB2_10647 Depth=2
	s_and_saveexec_b64 s[92:93], s[6:7]
	s_cbranch_execz .LBB2_10686
; %bb.10674:                            ;   in Loop: Header=BB2_10647 Depth=2
	s_mov_b64 s[30:31], exec
	v_mbcnt_lo_u32_b32 v2, s30, 0
	v_mbcnt_hi_u32_b32 v2, s31, v2
	v_cmp_eq_u32_e32 vcc, 0, v2
	s_waitcnt vmcnt(0) lgkmcnt(0)
	buffer_wbinvl1_vol
	s_and_saveexec_b64 s[94:95], vcc
	s_cbranch_execz .LBB2_10676
; %bb.10675:                            ;   in Loop: Header=BB2_10647 Depth=2
	s_bcnt1_i32_b64 vcc_lo, s[30:31]
	v_mov_b32_e32 v2, vcc_lo
	v_mov_b32_e32 v3, v29
	ds_add_u64 v0, v[2:3]
	s_trap 2
.LBB2_10676:                            ;   in Loop: Header=BB2_10647 Depth=2
	s_or_b64 exec, exec, s[94:95]
	s_trap 2
	ds_read_b64 v[2:3], v0
	s_waitcnt lgkmcnt(0)
	v_add_co_u32_e32 v12, vcc, v12, v36
	v_addc_co_u32_e32 v13, vcc, 0, v13, vcc
	v_cmp_lt_u64_e32 vcc, v[2:3], v[12:13]
	s_and_saveexec_b64 s[94:95], vcc
	s_cbranch_execz .LBB2_10685
; %bb.10677:                            ;   in Loop: Header=BB2_10647 Depth=2
	s_mov_b32 s50, 0
	s_mov_b64 s[30:31], 0
                                        ; implicit-def: $sgpr34_sgpr35
                                        ; implicit-def: $sgpr36_sgpr37
	s_branch .LBB2_10679
.LBB2_10678:                            ;   in Loop: Header=BB2_10679 Depth=3
	s_or_b64 exec, exec, s[48:49]
	s_and_b64 vcc, exec, vcc
	s_or_b64 s[30:31], vcc, s[30:31]
	s_andn2_b64 vcc, s[34:35], exec
	s_and_b64 s[34:35], s[36:37], exec
	s_or_b64 s[34:35], vcc, s[34:35]
	s_andn2_b64 exec, exec, s[30:31]
	s_cbranch_execz .LBB2_10683
.LBB2_10679:                            ;   Parent Loop BB2_47 Depth=1
                                        ;     Parent Loop BB2_10647 Depth=2
                                        ; =>    This Inner Loop Header: Depth=3
	s_add_i32 s50, s50, 1
	s_cmpk_lg_i32 s50, 0x2710
	s_cselect_b64 s[38:39], -1, 0
	s_and_b64 vcc, exec, s[38:39]
	s_cbranch_vccz .LBB2_10681
; %bb.10680:                            ;   in Loop: Header=BB2_10679 Depth=3
	s_mov_b64 vcc, -1
	s_or_b64 s[36:37], s[36:37], exec
	s_and_saveexec_b64 s[48:49], s[38:39]
	s_cbranch_execz .LBB2_10678
	s_branch .LBB2_10682
.LBB2_10681:                            ;   in Loop: Header=BB2_10679 Depth=3
	s_trap 2
	ds_read_b64 v[2:3], v0
	s_andn2_b64 s[38:39], s[38:39], exec
	s_mov_b32 s50, 0
	s_waitcnt lgkmcnt(0)
	flat_load_dword v2, v[2:3] glc
	s_waitcnt vmcnt(0) lgkmcnt(0)
	buffer_wbinvl1_vol
	v_cmp_eq_u32_e32 vcc, 0, v2
	s_and_b64 vcc, vcc, exec
	s_or_b64 s[38:39], s[38:39], vcc
	s_mov_b64 vcc, -1
	s_or_b64 s[36:37], s[36:37], exec
	s_and_saveexec_b64 s[48:49], s[38:39]
	s_cbranch_execz .LBB2_10678
.LBB2_10682:                            ;   in Loop: Header=BB2_10679 Depth=3
	s_sleep 1
	s_trap 2
	ds_read_b64 v[2:3], v0
	s_waitcnt lgkmcnt(0)
	s_andn2_b64 s[36:37], s[36:37], exec
	v_cmp_ge_u64_e32 vcc, v[2:3], v[12:13]
	s_orn2_b64 vcc, vcc, exec
	s_branch .LBB2_10678
.LBB2_10683:                            ;   in Loop: Header=BB2_10647 Depth=2
	s_or_b64 exec, exec, s[30:31]
	s_and_saveexec_b64 vcc, s[34:35]
	s_xor_b64 vcc, exec, vcc
	s_cbranch_execz .LBB2_10685
; %bb.10684:                            ;   in Loop: Header=BB2_10647 Depth=2
	v_mov_b32_e32 v2, 1
	ds_write_b32 v0, v2
	s_trap 2
.LBB2_10685:                            ;   in Loop: Header=BB2_10647 Depth=2
	s_or_b64 exec, exec, s[94:95]
	;;#ASMSTART
	s_wakeup
	;;#ASMEND
.LBB2_10686:                            ;   in Loop: Header=BB2_10647 Depth=2
	s_or_b64 exec, exec, s[92:93]
.LBB2_10687:                            ;   in Loop: Header=BB2_10647 Depth=2
	s_andn2_saveexec_b64 s[90:91], s[90:91]
	s_cbranch_execz .LBB2_10689
; %bb.10688:                            ;   in Loop: Header=BB2_10647 Depth=2
	s_waitcnt vmcnt(0) lgkmcnt(0)
	buffer_wbinvl1_vol
	s_barrier
.LBB2_10689:                            ;   in Loop: Header=BB2_10647 Depth=2
	s_or_b64 exec, exec, s[90:91]
.LBB2_10690:                            ;   in Loop: Header=BB2_10647 Depth=2
	s_or_b64 exec, exec, s[26:27]
	s_trap 2
	ds_read_b32 v2, v0
	v_and_b32_e32 v3, 0x4000, v34
	v_cmp_ne_u32_e32 vcc, 0, v3
	s_xor_b64 s[26:27], s[10:11], -1
	s_and_b64 s[90:91], s[26:27], vcc
	s_and_saveexec_b64 s[26:27], s[90:91]
	s_cbranch_execz .LBB2_10709
; %bb.10691:                            ;   in Loop: Header=BB2_10647 Depth=2
	s_and_saveexec_b64 s[90:91], s[58:59]
	s_xor_b64 s[90:91], exec, s[90:91]
	s_cbranch_execz .LBB2_10706
; %bb.10692:                            ;   in Loop: Header=BB2_10647 Depth=2
	s_and_saveexec_b64 s[92:93], s[6:7]
	s_cbranch_execz .LBB2_10705
; %bb.10693:                            ;   in Loop: Header=BB2_10647 Depth=2
	s_mov_b64 s[30:31], exec
	v_mbcnt_lo_u32_b32 v3, s30, 0
	v_mbcnt_hi_u32_b32 v3, s31, v3
	v_cmp_eq_u32_e32 vcc, 0, v3
	s_waitcnt vmcnt(0) lgkmcnt(0)
	buffer_wbinvl1_vol
	s_and_saveexec_b64 s[94:95], vcc
	s_cbranch_execz .LBB2_10695
; %bb.10694:                            ;   in Loop: Header=BB2_10647 Depth=2
	s_bcnt1_i32_b64 vcc_lo, s[30:31]
	v_mov_b32_e32 v3, vcc_lo
	v_mov_b32_e32 v4, v29
	ds_add_u64 v0, v[3:4]
	s_trap 2
.LBB2_10695:                            ;   in Loop: Header=BB2_10647 Depth=2
	s_or_b64 exec, exec, s[94:95]
	s_trap 2
	ds_read_b64 v[3:4], v0
	s_waitcnt lgkmcnt(0)
	v_add_co_u32_e32 v12, vcc, v12, v36
	v_addc_co_u32_e32 v13, vcc, 0, v13, vcc
	v_cmp_lt_u64_e32 vcc, v[3:4], v[12:13]
	s_and_saveexec_b64 s[94:95], vcc
	s_cbranch_execz .LBB2_10704
; %bb.10696:                            ;   in Loop: Header=BB2_10647 Depth=2
	s_mov_b32 s50, 0
	s_mov_b64 s[30:31], 0
                                        ; implicit-def: $sgpr34_sgpr35
                                        ; implicit-def: $sgpr36_sgpr37
	s_branch .LBB2_10698
.LBB2_10697:                            ;   in Loop: Header=BB2_10698 Depth=3
	s_or_b64 exec, exec, s[48:49]
	s_and_b64 vcc, exec, vcc
	s_or_b64 s[30:31], vcc, s[30:31]
	s_andn2_b64 vcc, s[34:35], exec
	s_and_b64 s[34:35], s[36:37], exec
	s_or_b64 s[34:35], vcc, s[34:35]
	s_andn2_b64 exec, exec, s[30:31]
	s_cbranch_execz .LBB2_10702
.LBB2_10698:                            ;   Parent Loop BB2_47 Depth=1
                                        ;     Parent Loop BB2_10647 Depth=2
                                        ; =>    This Inner Loop Header: Depth=3
	s_add_i32 s50, s50, 1
	s_cmpk_lg_i32 s50, 0x2710
	s_cselect_b64 s[38:39], -1, 0
	s_and_b64 vcc, exec, s[38:39]
	s_cbranch_vccz .LBB2_10700
; %bb.10699:                            ;   in Loop: Header=BB2_10698 Depth=3
	s_mov_b64 vcc, -1
	s_or_b64 s[36:37], s[36:37], exec
	s_and_saveexec_b64 s[48:49], s[38:39]
	s_cbranch_execz .LBB2_10697
	s_branch .LBB2_10701
.LBB2_10700:                            ;   in Loop: Header=BB2_10698 Depth=3
	s_trap 2
	ds_read_b64 v[3:4], v0
	s_andn2_b64 s[38:39], s[38:39], exec
	s_mov_b32 s50, 0
	s_waitcnt lgkmcnt(0)
	flat_load_dword v3, v[3:4] glc
	s_waitcnt vmcnt(0) lgkmcnt(0)
	buffer_wbinvl1_vol
	v_cmp_eq_u32_e32 vcc, 0, v3
	s_and_b64 vcc, vcc, exec
	s_or_b64 s[38:39], s[38:39], vcc
	s_mov_b64 vcc, -1
	s_or_b64 s[36:37], s[36:37], exec
	s_and_saveexec_b64 s[48:49], s[38:39]
	s_cbranch_execz .LBB2_10697
.LBB2_10701:                            ;   in Loop: Header=BB2_10698 Depth=3
	s_sleep 1
	s_trap 2
	ds_read_b64 v[3:4], v0
	s_waitcnt lgkmcnt(0)
	s_andn2_b64 s[36:37], s[36:37], exec
	v_cmp_ge_u64_e32 vcc, v[3:4], v[12:13]
	s_orn2_b64 vcc, vcc, exec
	s_branch .LBB2_10697
.LBB2_10702:                            ;   in Loop: Header=BB2_10647 Depth=2
	s_or_b64 exec, exec, s[30:31]
	s_and_saveexec_b64 vcc, s[34:35]
	s_xor_b64 vcc, exec, vcc
	s_cbranch_execz .LBB2_10704
; %bb.10703:                            ;   in Loop: Header=BB2_10647 Depth=2
	v_mov_b32_e32 v3, 1
	ds_write_b32 v0, v3
	s_trap 2
.LBB2_10704:                            ;   in Loop: Header=BB2_10647 Depth=2
	s_or_b64 exec, exec, s[94:95]
	;;#ASMSTART
	s_wakeup
	;;#ASMEND
.LBB2_10705:                            ;   in Loop: Header=BB2_10647 Depth=2
	s_or_b64 exec, exec, s[92:93]
.LBB2_10706:                            ;   in Loop: Header=BB2_10647 Depth=2
	s_andn2_saveexec_b64 s[90:91], s[90:91]
	s_cbranch_execz .LBB2_10708
; %bb.10707:                            ;   in Loop: Header=BB2_10647 Depth=2
	s_waitcnt vmcnt(0) lgkmcnt(0)
	buffer_wbinvl1_vol
	s_barrier
.LBB2_10708:                            ;   in Loop: Header=BB2_10647 Depth=2
	s_or_b64 exec, exec, s[90:91]
.LBB2_10709:                            ;   in Loop: Header=BB2_10647 Depth=2
	s_or_b64 exec, exec, s[26:27]
	s_trap 2
	ds_read_b64 v[4:5], v0
	v_sub_u32_e32 v3, v10, v14
	v_min_i32_e32 v11, v11, v3
	s_waitcnt lgkmcnt(0)
	v_cmp_eq_u64_e32 vcc, 0, v[4:5]
	s_cbranch_vccnz .LBB2_10717
; %bb.10710:                            ;   in Loop: Header=BB2_10647 Depth=2
	s_trap 2
	ds_read_b64 v[8:9], v0
	s_waitcnt lgkmcnt(0)
	v_cmp_eq_u64_e32 vcc, 0, v[8:9]
	s_cbranch_vccnz .LBB2_10717
; %bb.10711:                            ;   in Loop: Header=BB2_10647 Depth=2
	s_mov_b64 s[26:27], -1
	s_and_saveexec_b64 s[90:91], s[16:17]
	s_cbranch_execz .LBB2_10713
; %bb.10712:                            ;   in Loop: Header=BB2_10647 Depth=2
	ds_read_b32 v3, v0 offset:720
	s_waitcnt lgkmcnt(0)
	v_and_b32_e32 v3, 15, v3
	v_cmp_eq_u32_e32 vcc, 0, v3
	s_orn2_b64 s[26:27], vcc, exec
.LBB2_10713:                            ;   in Loop: Header=BB2_10647 Depth=2
	s_or_b64 exec, exec, s[90:91]
	s_and_saveexec_b64 s[90:91], s[14:15]
	s_cbranch_execz .LBB2_10715
; %bb.10714:                            ;   in Loop: Header=BB2_10647 Depth=2
	ds_read_b32 v3, v0 offset:784
	s_waitcnt lgkmcnt(0)
	v_and_b32_e32 v3, 15, v3
	v_cmp_eq_u32_e32 vcc, 0, v3
	s_and_b64 s[92:93], s[26:27], vcc
	s_andn2_b64 s[26:27], s[26:27], exec
	s_and_b64 s[92:93], s[92:93], exec
	s_or_b64 s[26:27], s[26:27], s[92:93]
.LBB2_10715:                            ;   in Loop: Header=BB2_10647 Depth=2
	s_or_b64 exec, exec, s[90:91]
	buffer_load_dword v18, off, s[0:3], s33 offset:140 ; 4-byte Folded Reload
	v_cmp_eq_u32_e32 vcc, 0, v2
	s_xor_b64 s[26:27], s[26:27], -1
	v_cndmask_b32_e32 v17, 0, v11, vcc
	v_cndmask_b32_e64 v2, 0, 1, s[26:27]
	s_mov_b64 s[92:93], -1
	v_cmp_ne_u32_e32 vcc, 0, v2
	v_mov_b32_e32 v2, 0
	v_mov_b32_e32 v3, v17
	s_cbranch_vccz .LBB2_10722
; %bb.10716:                            ;   in Loop: Header=BB2_10647 Depth=2
	s_and_saveexec_b64 s[26:27], s[92:93]
	s_cbranch_execnz .LBB2_10733
	s_branch .LBB2_10741
.LBB2_10717:                            ;   in Loop: Header=BB2_10647 Depth=2
	s_mov_b64 s[26:27], 0
	s_and_saveexec_b64 s[90:91], s[12:13]
	s_cbranch_execnz .LBB2_10742
.LBB2_10718:                            ;   in Loop: Header=BB2_10647 Depth=2
	s_or_b64 exec, exec, s[90:91]
	s_and_saveexec_b64 s[90:91], s[18:19]
	s_xor_b64 s[90:91], exec, s[90:91]
	s_cbranch_execz .LBB2_10760
.LBB2_10719:                            ;   in Loop: Header=BB2_10647 Depth=2
	v_and_b32_e32 v2, 16, v34
	v_cmp_ne_u32_e32 vcc, 0, v2
	s_and_b64 s[92:93], vcc, s[26:27]
	s_and_saveexec_b64 s[26:27], s[92:93]
	s_cbranch_execz .LBB2_10721
; %bb.10720:                            ;   in Loop: Header=BB2_10647 Depth=2
	s_waitcnt vmcnt(0) lgkmcnt(0)
	buffer_wbinvl1_vol
.LBB2_10721:                            ;   in Loop: Header=BB2_10647 Depth=2
	s_or_b64 exec, exec, s[26:27]
	s_andn2_saveexec_b64 s[26:27], s[90:91]
	s_cbranch_execz .LBB2_10779
	s_branch .LBB2_10761
.LBB2_10722:                            ;   in Loop: Header=BB2_10647 Depth=2
	v_ashrrev_i32_e32 v2, 31, v17
	v_lshrrev_b32_e32 v2, 21, v2
	v_add_u32_e32 v2, v17, v2
	s_waitcnt vmcnt(0)
	v_ashrrev_i32_e32 v18, 11, v2
	buffer_load_dword v2, off, s[0:3], s33 offset:172 ; 4-byte Folded Reload
	s_waitcnt vmcnt(0)
	v_sub_u32_e32 v23, v18, v2
	v_cmp_lt_i32_e32 vcc, 0, v23
	s_and_saveexec_b64 s[26:27], vcc
	s_cbranch_execz .LBB2_10726
; %bb.10723:                            ;   in Loop: Header=BB2_10647 Depth=2
	buffer_load_dword v2, off, s[0:3], s33 offset:252 ; 4-byte Folded Reload
	buffer_load_dword v3, off, s[0:3], s33 offset:256 ; 4-byte Folded Reload
	;; [unrolled: 1-line block ×3, first 2 shown]
	s_mov_b64 s[90:91], 0
	v_mov_b32_e32 v19, v36
.LBB2_10724:                            ;   Parent Loop BB2_47 Depth=1
                                        ;     Parent Loop BB2_10647 Depth=2
                                        ; =>    This Inner Loop Header: Depth=3
	s_waitcnt vmcnt(2)
	v_add_co_u32_e32 v37, vcc, v4, v2
	s_waitcnt vmcnt(1)
	v_addc_co_u32_e32 v38, vcc, v5, v3, vcc
	global_load_dwordx4 v[30:33], v[37:38], off glc slc
	global_load_dwordx4 v[49:52], v[37:38], off offset:1024 glc slc
	v_add_co_u32_e32 v37, vcc, v8, v2
	v_addc_co_u32_e32 v38, vcc, v9, v3, vcc
	s_waitcnt vmcnt(2)
	v_add_co_u32_e32 v2, vcc, v2, v28
	v_sub_u32_e32 v23, v23, v19
	v_addc_co_u32_e32 v3, vcc, 0, v3, vcc
	v_cmp_gt_i32_e32 vcc, 1, v23
	s_or_b64 s[90:91], vcc, s[90:91]
	s_waitcnt vmcnt(1)
	global_store_dwordx4 v[37:38], v[30:33], off glc slc
	s_waitcnt vmcnt(1)
	global_store_dwordx4 v[37:38], v[49:52], off offset:1024 glc slc
	s_andn2_b64 exec, exec, s[90:91]
	s_cbranch_execnz .LBB2_10724
; %bb.10725:                            ;   in Loop: Header=BB2_10647 Depth=2
	s_or_b64 exec, exec, s[90:91]
.LBB2_10726:                            ;   in Loop: Header=BB2_10647 Depth=2
	s_or_b64 exec, exec, s[26:27]
	v_lshlrev_b32_e32 v19, 11, v18
	v_cmp_ne_u32_e32 vcc, v17, v19
	s_mov_b64 s[92:93], 0
	v_mov_b32_e32 v2, 0
                                        ; implicit-def: $vgpr3
                                        ; implicit-def: $vgpr18
	s_and_saveexec_b64 s[90:91], vcc
	s_cbranch_execz .LBB2_10732
; %bb.10727:                            ;   in Loop: Header=BB2_10647 Depth=2
	buffer_load_dword v18, off, s[0:3], s33 offset:216 ; 4-byte Folded Reload
	v_lshlrev_b32_e32 v2, 6, v23
	v_sub_u32_e32 v3, v17, v19
	s_waitcnt vmcnt(0)
	v_sub_u32_e32 v2, v18, v2
	v_ashrrev_i32_e32 v18, 31, v2
	v_lshrrev_b32_e32 v18, 26, v18
	v_add_u32_e32 v18, v2, v18
	v_ashrrev_i32_e32 v23, 6, v18
	v_and_b32_e32 v18, 0xffffffc0, v18
	v_sub_u32_e32 v18, v2, v18
	v_lshlrev_b32_e32 v2, 4, v18
	v_lshl_add_u32 v30, v23, 10, v2
	v_ashrrev_i32_e32 v2, 31, v3
	v_lshrrev_b32_e32 v2, 22, v2
	v_add_u32_e32 v2, v3, v2
	v_ashrrev_i32_e32 v31, 10, v2
	v_and_b32_e32 v2, 0xfffffc00, v2
	v_sub_u32_e32 v28, v3, v30
	v_sub_u32_e32 v3, v3, v2
	v_cmp_lt_i32_e32 vcc, 15, v3
	v_addc_co_u32_e64 v31, s[26:27], 0, v31, vcc
	v_sub_u32_e32 v23, v31, v23
	v_cmp_lt_i32_e64 s[26:27], 15, v28
	s_and_saveexec_b64 s[92:93], s[26:27]
	s_cbranch_execz .LBB2_10731
; %bb.10728:                            ;   in Loop: Header=BB2_10647 Depth=2
	buffer_load_dword v38, off, s[0:3], s33 offset:56 ; 4-byte Folded Reload
	v_add_u32_e32 v30, v30, v19
	v_ashrrev_i32_e32 v31, 31, v30
	s_mov_b64 s[94:95], 0
	v_mov_b32_e32 v37, v36
.LBB2_10729:                            ;   Parent Loop BB2_47 Depth=1
                                        ;     Parent Loop BB2_10647 Depth=2
                                        ; =>    This Inner Loop Header: Depth=3
	v_add_co_u32_e64 v32, s[26:27], v4, v30
	v_addc_co_u32_e64 v33, s[26:27], v5, v31, s[26:27]
	global_load_dwordx4 v[49:52], v[32:33], off glc slc
	v_add_co_u32_e64 v32, s[26:27], v8, v30
	v_addc_co_u32_e64 v33, s[26:27], v9, v31, s[26:27]
	s_waitcnt vmcnt(1)
	v_add_co_u32_e64 v30, s[26:27], v30, v38
	v_sub_u32_e32 v28, v28, v38
	v_addc_co_u32_e64 v31, s[26:27], 0, v31, s[26:27]
	v_cmp_gt_i32_e64 s[26:27], 16, v28
	v_sub_u32_e32 v23, v23, v37
	s_or_b64 s[94:95], s[26:27], s[94:95]
	s_waitcnt vmcnt(0)
	global_store_dwordx4 v[32:33], v[49:52], off glc slc
	s_andn2_b64 exec, exec, s[94:95]
	s_cbranch_execnz .LBB2_10729
; %bb.10730:                            ;   in Loop: Header=BB2_10647 Depth=2
	s_or_b64 exec, exec, s[94:95]
.LBB2_10731:                            ;   in Loop: Header=BB2_10647 Depth=2
	s_or_b64 exec, exec, s[92:93]
	v_and_b32_e32 v28, 15, v17
	v_sub_u32_e32 v30, v3, v28
	v_cndmask_b32_e32 v30, 0, v30, vcc
	v_cndmask_b32_e32 v3, v3, v28, vcc
	v_cmp_lt_i32_e32 vcc, 0, v23
	v_add3_u32 v2, v2, v19, v30
	v_cndmask_b32_e32 v19, 0, v36, vcc
	v_sub_u32_e32 v19, v19, v23
	v_cmp_ne_u32_e32 vcc, 0, v3
	v_lshl_add_u32 v18, v19, 6, v18
	s_and_b64 s[92:93], vcc, exec
.LBB2_10732:                            ;   in Loop: Header=BB2_10647 Depth=2
	s_or_b64 exec, exec, s[90:91]
	s_and_saveexec_b64 s[26:27], s[92:93]
	s_cbranch_execz .LBB2_10741
.LBB2_10733:                            ;   in Loop: Header=BB2_10647 Depth=2
	s_waitcnt vmcnt(0)
	v_ashrrev_i32_e32 v19, 31, v18
	v_ashrrev_i32_e32 v23, 31, v3
	v_lshrrev_b32_e32 v19, 26, v19
	v_lshrrev_b32_e32 v23, 23, v23
	v_add_u32_e32 v30, v18, v19
	v_add_u32_e32 v23, v3, v23
	v_ashrrev_i32_e32 v19, 6, v30
	v_ashrrev_i32_e32 v28, 9, v23
	v_sub_u32_e32 v23, v28, v19
	v_cmp_lt_i32_e32 vcc, 0, v23
	s_and_saveexec_b64 s[90:91], vcc
	s_cbranch_execz .LBB2_10737
; %bb.10734:                            ;   in Loop: Header=BB2_10647 Depth=2
	buffer_load_dword v55, off, s[0:3], s33 offset:60 ; 4-byte Folded Reload
	v_and_b32_e32 v30, 0xffffffc0, v30
	v_sub_u32_e32 v30, v18, v30
	v_lshlrev_b32_e32 v31, 9, v19
	v_add3_u32 v30, v2, v30, v31
	v_ashrrev_i32_e32 v31, 31, v30
	s_mov_b64 s[92:93], 0
	v_mov_b32_e32 v54, v36
.LBB2_10735:                            ;   Parent Loop BB2_47 Depth=1
                                        ;     Parent Loop BB2_10647 Depth=2
                                        ; =>    This Inner Loop Header: Depth=3
	v_add_co_u32_e32 v32, vcc, v30, v4
	v_addc_co_u32_e32 v33, vcc, v31, v5, vcc
	flat_load_ubyte v37, v[32:33] glc slc
	flat_load_ubyte v38, v[32:33] offset:64 glc slc
	flat_load_ubyte v39, v[32:33] offset:128 glc slc
	flat_load_ubyte v49, v[32:33] offset:192 glc slc
	flat_load_ubyte v50, v[32:33] offset:256 glc slc
	flat_load_ubyte v51, v[32:33] offset:320 glc slc
	flat_load_ubyte v52, v[32:33] offset:384 glc slc
	flat_load_ubyte v53, v[32:33] offset:448 glc slc
	v_add_co_u32_e32 v32, vcc, v30, v8
	v_addc_co_u32_e32 v33, vcc, v31, v9, vcc
	s_waitcnt vmcnt(0)
	v_add_co_u32_e32 v4, vcc, v4, v55
	v_addc_co_u32_e32 v5, vcc, 0, v5, vcc
	v_add_co_u32_e32 v8, vcc, v8, v55
	v_sub_u32_e32 v23, v23, v54
	v_addc_co_u32_e32 v9, vcc, 0, v9, vcc
	v_cmp_gt_i32_e32 vcc, 1, v23
	s_or_b64 s[92:93], vcc, s[92:93]
	s_waitcnt lgkmcnt(0)
	flat_store_byte v[32:33], v37 glc slc
	flat_store_byte v[32:33], v38 offset:64 glc slc
	flat_store_byte v[32:33], v39 offset:128 glc slc
	;; [unrolled: 1-line block ×7, first 2 shown]
	s_andn2_b64 exec, exec, s[92:93]
	s_cbranch_execnz .LBB2_10735
; %bb.10736:                            ;   in Loop: Header=BB2_10647 Depth=2
	s_or_b64 exec, exec, s[92:93]
.LBB2_10737:                            ;   in Loop: Header=BB2_10647 Depth=2
	s_or_b64 exec, exec, s[90:91]
	v_lshlrev_b32_e32 v4, 9, v28
	buffer_load_dword v28, off, s[0:3], s33 offset:64 ; 4-byte Folded Reload
	v_cmp_ne_u32_e32 vcc, v3, v4
	s_and_b64 s[90:91], exec, vcc
	s_mov_b64 exec, s[90:91]
	s_cbranch_execz .LBB2_10741
; %bb.10738:                            ;   in Loop: Header=BB2_10647 Depth=2
	v_lshlrev_b32_e32 v5, 6, v19
	v_sub_u32_e32 v5, v18, v5
	v_lshlrev_b32_e32 v8, 6, v23
	v_sub_u32_e32 v5, v5, v8
	v_add_u32_e32 v5, v4, v5
	v_sub_u32_e32 v4, v3, v5
	v_cmp_lt_i32_e32 vcc, 0, v4
	s_and_b64 exec, exec, vcc
	s_cbranch_execz .LBB2_10741
; %bb.10739:                            ;   in Loop: Header=BB2_10647 Depth=2
	v_add_u32_e32 v5, v5, v2
	s_trap 2
	ds_read_b64 v[2:3], v0
	v_ashrrev_i32_e32 v8, 31, v5
	s_mov_b64 s[90:91], 0
.LBB2_10740:                            ;   Parent Loop BB2_47 Depth=1
                                        ;     Parent Loop BB2_10647 Depth=2
                                        ; =>    This Inner Loop Header: Depth=3
	s_waitcnt lgkmcnt(0)
	v_add_co_u32_e32 v18, vcc, v2, v5
	v_addc_co_u32_e32 v19, vcc, v3, v8, vcc
	flat_load_ubyte v9, v[18:19] glc slc
	s_waitcnt vmcnt(0)
	v_add_co_u32_e32 v5, vcc, v5, v28
	v_sub_u32_e32 v4, v4, v28
	v_addc_co_u32_e32 v8, vcc, 0, v8, vcc
	v_cmp_gt_i32_e32 vcc, 1, v4
	s_or_b64 s[90:91], vcc, s[90:91]
	s_waitcnt lgkmcnt(0)
	flat_store_byte v[18:19], v9 glc slc
	s_andn2_b64 exec, exec, s[90:91]
	s_cbranch_execnz .LBB2_10740
.LBB2_10741:                            ;   in Loop: Header=BB2_10647 Depth=2
	s_or_b64 exec, exec, s[26:27]
	v_cmp_lt_i32_e64 s[26:27], 0, v17
	s_and_saveexec_b64 s[90:91], s[12:13]
	s_cbranch_execz .LBB2_10718
.LBB2_10742:                            ;   in Loop: Header=BB2_10647 Depth=2
	s_and_saveexec_b64 s[92:93], s[58:59]
	s_xor_b64 s[92:93], exec, s[92:93]
	s_cbranch_execz .LBB2_10757
; %bb.10743:                            ;   in Loop: Header=BB2_10647 Depth=2
	s_and_saveexec_b64 s[94:95], s[6:7]
	s_cbranch_execz .LBB2_10756
; %bb.10744:                            ;   in Loop: Header=BB2_10647 Depth=2
	s_mov_b64 s[34:35], exec
	v_mbcnt_lo_u32_b32 v2, s34, 0
	v_mbcnt_hi_u32_b32 v2, s35, v2
	v_cmp_eq_u32_e32 vcc, 0, v2
	s_waitcnt vmcnt(0) lgkmcnt(0)
	buffer_wbinvl1_vol
	s_and_saveexec_b64 s[30:31], vcc
	s_cbranch_execz .LBB2_10746
; %bb.10745:                            ;   in Loop: Header=BB2_10647 Depth=2
	s_bcnt1_i32_b64 vcc_lo, s[34:35]
	v_mov_b32_e32 v2, vcc_lo
	v_mov_b32_e32 v3, v29
	ds_add_u64 v0, v[2:3]
	s_trap 2
.LBB2_10746:                            ;   in Loop: Header=BB2_10647 Depth=2
	s_or_b64 exec, exec, s[30:31]
	s_trap 2
	ds_read_b64 v[2:3], v0
	s_waitcnt lgkmcnt(0)
	v_add_co_u32_e32 v12, vcc, v12, v36
	v_addc_co_u32_e32 v13, vcc, 0, v13, vcc
	v_cmp_lt_u64_e32 vcc, v[2:3], v[12:13]
	s_and_saveexec_b64 s[30:31], vcc
	s_cbranch_execz .LBB2_10755
; %bb.10747:                            ;   in Loop: Header=BB2_10647 Depth=2
	s_mov_b32 s52, 0
	s_mov_b64 s[34:35], 0
                                        ; implicit-def: $sgpr36_sgpr37
                                        ; implicit-def: $sgpr38_sgpr39
	s_branch .LBB2_10749
.LBB2_10748:                            ;   in Loop: Header=BB2_10749 Depth=3
	s_or_b64 exec, exec, s[50:51]
	s_and_b64 vcc, exec, vcc
	s_or_b64 s[34:35], vcc, s[34:35]
	s_andn2_b64 vcc, s[36:37], exec
	s_and_b64 s[36:37], s[38:39], exec
	s_or_b64 s[36:37], vcc, s[36:37]
	s_andn2_b64 exec, exec, s[34:35]
	s_cbranch_execz .LBB2_10753
.LBB2_10749:                            ;   Parent Loop BB2_47 Depth=1
                                        ;     Parent Loop BB2_10647 Depth=2
                                        ; =>    This Inner Loop Header: Depth=3
	s_add_i32 s52, s52, 1
	s_cmpk_lg_i32 s52, 0x2710
	s_cselect_b64 s[48:49], -1, 0
	s_and_b64 vcc, exec, s[48:49]
	s_cbranch_vccz .LBB2_10751
; %bb.10750:                            ;   in Loop: Header=BB2_10749 Depth=3
	s_mov_b64 vcc, -1
	s_or_b64 s[38:39], s[38:39], exec
	s_and_saveexec_b64 s[50:51], s[48:49]
	s_cbranch_execz .LBB2_10748
	s_branch .LBB2_10752
.LBB2_10751:                            ;   in Loop: Header=BB2_10749 Depth=3
	s_trap 2
	ds_read_b64 v[2:3], v0
	s_andn2_b64 s[48:49], s[48:49], exec
	s_mov_b32 s52, 0
	s_waitcnt lgkmcnt(0)
	flat_load_dword v2, v[2:3] glc
	s_waitcnt vmcnt(0) lgkmcnt(0)
	buffer_wbinvl1_vol
	v_cmp_eq_u32_e32 vcc, 0, v2
	s_and_b64 vcc, vcc, exec
	s_or_b64 s[48:49], s[48:49], vcc
	s_mov_b64 vcc, -1
	s_or_b64 s[38:39], s[38:39], exec
	s_and_saveexec_b64 s[50:51], s[48:49]
	s_cbranch_execz .LBB2_10748
.LBB2_10752:                            ;   in Loop: Header=BB2_10749 Depth=3
	s_sleep 1
	s_trap 2
	ds_read_b64 v[2:3], v0
	s_waitcnt lgkmcnt(0)
	s_andn2_b64 s[38:39], s[38:39], exec
	v_cmp_ge_u64_e32 vcc, v[2:3], v[12:13]
	s_orn2_b64 vcc, vcc, exec
	s_branch .LBB2_10748
.LBB2_10753:                            ;   in Loop: Header=BB2_10647 Depth=2
	s_or_b64 exec, exec, s[34:35]
	s_and_saveexec_b64 vcc, s[36:37]
	s_xor_b64 vcc, exec, vcc
	s_cbranch_execz .LBB2_10755
; %bb.10754:                            ;   in Loop: Header=BB2_10647 Depth=2
	v_mov_b32_e32 v2, 1
	ds_write_b32 v0, v2
	s_trap 2
.LBB2_10755:                            ;   in Loop: Header=BB2_10647 Depth=2
	s_or_b64 exec, exec, s[30:31]
	;;#ASMSTART
	s_wakeup
	;;#ASMEND
.LBB2_10756:                            ;   in Loop: Header=BB2_10647 Depth=2
	s_or_b64 exec, exec, s[94:95]
.LBB2_10757:                            ;   in Loop: Header=BB2_10647 Depth=2
	s_andn2_saveexec_b64 s[92:93], s[92:93]
	s_cbranch_execz .LBB2_10759
; %bb.10758:                            ;   in Loop: Header=BB2_10647 Depth=2
	s_waitcnt vmcnt(0) lgkmcnt(0)
	buffer_wbinvl1_vol
	s_barrier
.LBB2_10759:                            ;   in Loop: Header=BB2_10647 Depth=2
	s_or_b64 exec, exec, s[92:93]
	s_or_b64 exec, exec, s[90:91]
	s_and_saveexec_b64 s[90:91], s[18:19]
	s_xor_b64 s[90:91], exec, s[90:91]
	s_cbranch_execnz .LBB2_10719
.LBB2_10760:                            ;   in Loop: Header=BB2_10647 Depth=2
	s_andn2_saveexec_b64 s[26:27], s[90:91]
	s_cbranch_execz .LBB2_10779
.LBB2_10761:                            ;   in Loop: Header=BB2_10647 Depth=2
	s_and_saveexec_b64 s[90:91], s[58:59]
	s_xor_b64 s[90:91], exec, s[90:91]
	s_cbranch_execz .LBB2_10776
; %bb.10762:                            ;   in Loop: Header=BB2_10647 Depth=2
	s_and_saveexec_b64 s[92:93], s[6:7]
	s_cbranch_execz .LBB2_10775
; %bb.10763:                            ;   in Loop: Header=BB2_10647 Depth=2
	s_mov_b64 s[30:31], exec
	v_mbcnt_lo_u32_b32 v2, s30, 0
	v_mbcnt_hi_u32_b32 v2, s31, v2
	v_cmp_eq_u32_e32 vcc, 0, v2
	;;#ASMSTART
	s_waitcnt lgkmcnt(0) vmcnt(0)
	;;#ASMEND
	s_and_saveexec_b64 s[94:95], vcc
	s_cbranch_execz .LBB2_10765
; %bb.10764:                            ;   in Loop: Header=BB2_10647 Depth=2
	s_bcnt1_i32_b64 vcc_lo, s[30:31]
	v_mov_b32_e32 v2, vcc_lo
	v_mov_b32_e32 v3, v29
	s_waitcnt lgkmcnt(0)
	ds_add_u64 v0, v[2:3]
	s_trap 2
.LBB2_10765:                            ;   in Loop: Header=BB2_10647 Depth=2
	s_or_b64 exec, exec, s[94:95]
	s_trap 2
	ds_read_b64 v[2:3], v0
	s_waitcnt lgkmcnt(0)
	v_add_co_u32_e32 v12, vcc, v12, v36
	v_addc_co_u32_e32 v13, vcc, 0, v13, vcc
	v_cmp_lt_u64_e32 vcc, v[2:3], v[12:13]
	s_and_saveexec_b64 s[94:95], vcc
	s_cbranch_execz .LBB2_10774
; %bb.10766:                            ;   in Loop: Header=BB2_10647 Depth=2
	s_mov_b32 s50, 0
	s_mov_b64 s[30:31], 0
                                        ; implicit-def: $sgpr34_sgpr35
                                        ; implicit-def: $sgpr36_sgpr37
	s_branch .LBB2_10768
.LBB2_10767:                            ;   in Loop: Header=BB2_10768 Depth=3
	s_or_b64 exec, exec, s[48:49]
	s_and_b64 vcc, exec, vcc
	s_or_b64 s[30:31], vcc, s[30:31]
	s_andn2_b64 vcc, s[34:35], exec
	s_and_b64 s[34:35], s[36:37], exec
	s_or_b64 s[34:35], vcc, s[34:35]
	s_andn2_b64 exec, exec, s[30:31]
	s_cbranch_execz .LBB2_10772
.LBB2_10768:                            ;   Parent Loop BB2_47 Depth=1
                                        ;     Parent Loop BB2_10647 Depth=2
                                        ; =>    This Inner Loop Header: Depth=3
	s_add_i32 s50, s50, 1
	s_cmpk_lg_i32 s50, 0x2710
	s_cselect_b64 s[38:39], -1, 0
	s_and_b64 vcc, exec, s[38:39]
	s_cbranch_vccz .LBB2_10770
; %bb.10769:                            ;   in Loop: Header=BB2_10768 Depth=3
	s_mov_b64 vcc, -1
	s_or_b64 s[36:37], s[36:37], exec
	s_and_saveexec_b64 s[48:49], s[38:39]
	s_cbranch_execz .LBB2_10767
	s_branch .LBB2_10771
.LBB2_10770:                            ;   in Loop: Header=BB2_10768 Depth=3
	s_trap 2
	ds_read_b64 v[2:3], v0
	s_andn2_b64 s[38:39], s[38:39], exec
	s_mov_b32 s50, 0
	s_waitcnt vmcnt(0) lgkmcnt(0)
	flat_load_dword v2, v[2:3] glc
	s_waitcnt vmcnt(0) lgkmcnt(0)
	buffer_wbinvl1_vol
	v_cmp_eq_u32_e32 vcc, 0, v2
	s_and_b64 vcc, vcc, exec
	s_or_b64 s[38:39], s[38:39], vcc
	s_mov_b64 vcc, -1
	s_or_b64 s[36:37], s[36:37], exec
	s_and_saveexec_b64 s[48:49], s[38:39]
	s_cbranch_execz .LBB2_10767
.LBB2_10771:                            ;   in Loop: Header=BB2_10768 Depth=3
	s_sleep 1
	s_trap 2
	ds_read_b64 v[2:3], v0
	s_waitcnt lgkmcnt(0)
	s_andn2_b64 s[36:37], s[36:37], exec
	v_cmp_ge_u64_e32 vcc, v[2:3], v[12:13]
	s_orn2_b64 vcc, vcc, exec
	s_branch .LBB2_10767
.LBB2_10772:                            ;   in Loop: Header=BB2_10647 Depth=2
	s_or_b64 exec, exec, s[30:31]
	s_and_saveexec_b64 vcc, s[34:35]
	s_xor_b64 vcc, exec, vcc
	s_cbranch_execz .LBB2_10774
; %bb.10773:                            ;   in Loop: Header=BB2_10647 Depth=2
	v_mov_b32_e32 v2, 1
	ds_write_b32 v0, v2
	s_trap 2
.LBB2_10774:                            ;   in Loop: Header=BB2_10647 Depth=2
	s_or_b64 exec, exec, s[94:95]
	;;#ASMSTART
	s_wakeup
	;;#ASMEND
.LBB2_10775:                            ;   in Loop: Header=BB2_10647 Depth=2
	s_or_b64 exec, exec, s[92:93]
.LBB2_10776:                            ;   in Loop: Header=BB2_10647 Depth=2
	s_andn2_saveexec_b64 s[90:91], s[90:91]
	s_cbranch_execz .LBB2_10778
; %bb.10777:                            ;   in Loop: Header=BB2_10647 Depth=2
	;;#ASMSTART
	s_waitcnt lgkmcnt(0) vmcnt(0)
	;;#ASMEND
	s_waitcnt vmcnt(0) lgkmcnt(0)
	s_barrier
.LBB2_10778:                            ;   in Loop: Header=BB2_10647 Depth=2
	s_or_b64 exec, exec, s[90:91]
.LBB2_10779:                            ;   in Loop: Header=BB2_10647 Depth=2
	s_or_b64 exec, exec, s[26:27]
	v_and_b32_e32 v2, 32, v34
	v_cmp_ne_u32_e32 vcc, 0, v2
	s_and_saveexec_b64 s[26:27], vcc
	s_cbranch_execz .LBB2_10646
; %bb.10780:                            ;   in Loop: Header=BB2_10647 Depth=2
	v_add_co_u32_e32 v24, vcc, 2, v24
	v_addc_co_u32_e32 v25, vcc, 0, v25, vcc
	flat_store_dwordx2 v[20:21], v[24:25]
	s_branch .LBB2_10646
.LBB2_10781:                            ;   in Loop: Header=BB2_47 Depth=1
	s_or_b64 exec, exec, s[40:41]
.LBB2_10782:                            ;   in Loop: Header=BB2_47 Depth=1
	s_or_b64 exec, exec, s[28:29]
	v_cmp_gt_i32_e32 vcc, 2, v4
	s_and_saveexec_b64 s[28:29], vcc
	s_cbranch_execnz .LBB2_10783
; %bb.10907:                            ;   in Loop: Header=BB2_47 Depth=1
	s_getpc_b64 s[98:99]
.Lpost_getpc9:
	s_add_u32 s98, s98, (.LBB2_46-.Lpost_getpc9)&4294967295
	s_addc_u32 s99, s99, (.LBB2_46-.Lpost_getpc9)>>32
	s_setpc_b64 s[98:99]
.LBB2_10783:                            ;   in Loop: Header=BB2_47 Depth=1
	v_cmp_eq_u32_e64 s[42:43], 0, v4
	s_mov_b64 s[40:41], 0
	s_branch .LBB2_10785
.LBB2_10784:                            ;   in Loop: Header=BB2_10785 Depth=2
	s_or_b64 exec, exec, s[26:27]
	v_add_u32_e32 v14, v11, v14
	s_mov_b64 s[42:43], 0
	s_andn2_b64 exec, exec, s[40:41]
	s_cbranch_execnz .LBB2_10785
; %bb.10909:                            ;   in Loop: Header=BB2_47 Depth=1
	s_getpc_b64 s[98:99]
.Lpost_getpc10:
	s_add_u32 s98, s98, (.LBB2_45-.Lpost_getpc10)&4294967295
	s_addc_u32 s99, s99, (.LBB2_45-.Lpost_getpc10)>>32
	s_setpc_b64 s[98:99]
.LBB2_10785:                            ;   Parent Loop BB2_47 Depth=1
                                        ; =>  This Loop Header: Depth=2
                                        ;       Child Loop BB2_10791 Depth 3
                                        ;       Child Loop BB2_10815 Depth 3
	;; [unrolled: 1-line block ×3, first 2 shown]
	v_and_b32_e32 v2, 4, v34
	v_cmp_ne_u32_e32 vcc, 0, v2
	s_and_saveexec_b64 s[90:91], vcc
	s_cbranch_execz .LBB2_10807
; %bb.10786:                            ;   in Loop: Header=BB2_10785 Depth=2
	v_add_co_u32_e32 v4, vcc, 2, v24
	v_addc_co_u32_e32 v5, vcc, 0, v25, vcc
	s_waitcnt lgkmcnt(0)
	v_cmp_lt_u64_e32 vcc, v[26:27], v[4:5]
	s_and_saveexec_b64 s[92:93], vcc
	s_cbranch_execz .LBB2_10798
; %bb.10787:                            ;   in Loop: Header=BB2_10785 Depth=2
	v_and_b32_e32 v2, 64, v34
	s_mov_b32 s8, 0
	v_cmp_eq_u32_e32 vcc, 0, v2
	s_mov_b64 s[94:95], 0
                                        ; implicit-def: $sgpr30_sgpr31
                                        ; implicit-def: $sgpr34_sgpr35
                                        ; implicit-def: $sgpr36_sgpr37
	s_branch .LBB2_10791
.LBB2_10788:                            ;   in Loop: Header=BB2_10791 Depth=3
	s_waitcnt vmcnt(0) lgkmcnt(0)
	v_cmp_ge_u64_e64 s[26:27], v[26:27], v[4:5]
	s_or_b64 s[50:51], s[50:51], exec
	s_orn2_b64 s[48:49], s[26:27], exec
.LBB2_10789:                            ;   in Loop: Header=BB2_10791 Depth=3
	s_or_b64 exec, exec, s[54:55]
	s_andn2_b64 s[26:27], s[36:37], exec
	s_and_b64 s[36:37], s[50:51], exec
	s_or_b64 s[36:37], s[26:27], s[36:37]
	s_andn2_b64 s[26:27], s[34:35], exec
	s_and_b64 s[34:35], s[48:49], exec
	s_or_b64 s[34:35], s[26:27], s[34:35]
.LBB2_10790:                            ;   in Loop: Header=BB2_10791 Depth=3
	s_or_b64 exec, exec, s[38:39]
	s_and_b64 s[26:27], exec, s[34:35]
	s_or_b64 s[94:95], s[26:27], s[94:95]
	s_andn2_b64 s[26:27], s[30:31], exec
	s_and_b64 s[30:31], s[36:37], exec
	s_or_b64 s[30:31], s[26:27], s[30:31]
	s_andn2_b64 exec, exec, s[94:95]
	s_cbranch_execz .LBB2_10795
.LBB2_10791:                            ;   Parent Loop BB2_47 Depth=1
                                        ;     Parent Loop BB2_10785 Depth=2
                                        ; =>    This Inner Loop Header: Depth=3
	s_sleep 1
	s_waitcnt vmcnt(0) lgkmcnt(0)
	flat_load_dwordx2 v[26:27], v[20:21] glc
	s_or_b64 s[36:37], s[36:37], exec
	s_or_b64 s[34:35], s[34:35], exec
                                        ; implicit-def: $vgpr2
	s_and_saveexec_b64 s[38:39], vcc
	s_cbranch_execz .LBB2_10790
; %bb.10792:                            ;   in Loop: Header=BB2_10791 Depth=3
	s_cmpk_lt_i32 s8, 0x270f
	s_cselect_b64 s[52:53], -1, 0
	s_cmpk_gt_i32 s8, 0x270e
	s_mov_b64 s[48:49], -1
	s_cbranch_scc0 .LBB2_10794
; %bb.10793:                            ;   in Loop: Header=BB2_10791 Depth=3
	s_trap 2
	ds_read_b64 v[2:3], v0
	s_andn2_b64 s[52:53], s[52:53], exec
	s_mov_b32 s8, 0
	s_mov_b64 s[50:51], 0
	s_waitcnt vmcnt(0) lgkmcnt(0)
	flat_load_dword v2, v[2:3] glc
	s_waitcnt vmcnt(0) lgkmcnt(0)
	buffer_wbinvl1_vol
	v_cmp_eq_u32_e64 s[26:27], 0, v2
	s_and_b64 s[26:27], s[26:27], exec
	s_or_b64 s[52:53], s[52:53], s[26:27]
	s_and_saveexec_b64 s[54:55], s[52:53]
	s_cbranch_execz .LBB2_10789
	s_branch .LBB2_10788
.LBB2_10794:                            ;   in Loop: Header=BB2_10791 Depth=3
	s_add_i32 s8, s8, 1
	s_mov_b64 s[50:51], -1
                                        ; implicit-def: $vgpr2
	s_and_saveexec_b64 s[54:55], s[52:53]
	s_cbranch_execz .LBB2_10789
	s_branch .LBB2_10788
.LBB2_10795:                            ;   in Loop: Header=BB2_10785 Depth=2
	s_or_b64 exec, exec, s[94:95]
	s_xor_b64 s[26:27], s[30:31], -1
	s_and_saveexec_b64 s[94:95], s[26:27]
	s_xor_b64 s[26:27], exec, s[94:95]
	s_cbranch_execz .LBB2_10797
; %bb.10796:                            ;   in Loop: Header=BB2_10785 Depth=2
	v_or_b32_e32 v34, 64, v34
	s_waitcnt lgkmcnt(0)
	ds_write_b32 v0, v2
	s_trap 2
.LBB2_10797:                            ;   in Loop: Header=BB2_10785 Depth=2
	s_or_b64 exec, exec, s[26:27]
.LBB2_10798:                            ;   in Loop: Header=BB2_10785 Depth=2
	s_or_b64 exec, exec, s[92:93]
	v_and_b32_e32 v2, 0x100, v34
	v_cmp_ne_u32_e32 vcc, 0, v2
	v_and_b32_e32 v15, 7, v24
	s_mov_b64 s[26:27], -1
	;;#ASMSTART
	s_wakeup
	;;#ASMEND
                                        ; implicit-def: $vgpr2_vgpr3
	s_and_saveexec_b64 s[92:93], vcc
	s_cbranch_execz .LBB2_10802
; %bb.10799:                            ;   in Loop: Header=BB2_10785 Depth=2
	buffer_load_dword v16, off, s[0:3], s33 offset:92 ; 4-byte Folded Reload
	buffer_load_dword v17, off, s[0:3], s33 offset:96 ; 4-byte Folded Reload
	;; [unrolled: 1-line block ×4, first 2 shown]
	s_waitcnt vmcnt(0)
	v_mad_u64_u32 v[8:9], s[26:27], v15, 24, v[16:17]
	flat_load_dword v2, v[8:9]
	s_waitcnt vmcnt(0) lgkmcnt(0)
	v_cmp_ne_u32_e32 vcc, 1, v2
	v_cmp_eq_u32_e64 s[26:27], 1, v2
                                        ; implicit-def: $vgpr2_vgpr3
	s_and_saveexec_b64 s[94:95], s[26:27]
	s_cbranch_execz .LBB2_10801
; %bb.10800:                            ;   in Loop: Header=BB2_10785 Depth=2
	flat_load_dword v2, v[8:9] offset:4 glc
	s_waitcnt vmcnt(0) lgkmcnt(0)
	v_ashrrev_i32_e32 v3, 31, v2
.LBB2_10801:                            ;   in Loop: Header=BB2_10785 Depth=2
	s_or_b64 exec, exec, s[94:95]
	s_orn2_b64 s[26:27], vcc, exec
.LBB2_10802:                            ;   in Loop: Header=BB2_10785 Depth=2
	s_or_b64 exec, exec, s[92:93]
	s_and_saveexec_b64 s[92:93], s[26:27]
	s_cbranch_execz .LBB2_10804
; %bb.10803:                            ;   in Loop: Header=BB2_10785 Depth=2
	buffer_load_dword v2, off, s[0:3], s33 offset:116 ; 4-byte Folded Reload
	s_waitcnt vmcnt(0)
	v_mad_i64_i32 v[2:3], s[26:27], v15, v2, 0
.LBB2_10804:                            ;   in Loop: Header=BB2_10785 Depth=2
	s_or_b64 exec, exec, s[92:93]
	buffer_load_dword v8, off, s[0:3], s33 offset:84 ; 4-byte Folded Reload
	buffer_load_dword v9, off, s[0:3], s33 offset:88 ; 4-byte Folded Reload
	s_waitcnt vmcnt(0)
	v_add_co_u32_e32 v2, vcc, v8, v2
	v_addc_co_u32_e32 v3, vcc, v9, v3, vcc
	ds_write_b64 v0, v[2:3] offset:720
	v_and_b32_e32 v2, 0x2000, v34
	v_cmp_ne_u32_e32 vcc, 0, v2
	s_and_saveexec_b64 s[26:27], vcc
	s_cbranch_execz .LBB2_10806
; %bb.10805:                            ;   in Loop: Header=BB2_10785 Depth=2
	ds_read_b64 v[2:3], v0 offset:872
	s_waitcnt lgkmcnt(0)
	v_add_co_u32_e32 v2, vcc, 1, v2
	v_addc_co_u32_e32 v3, vcc, 0, v3, vcc
	ds_write_b64 v0, v[2:3] offset:872
.LBB2_10806:                            ;   in Loop: Header=BB2_10785 Depth=2
	s_or_b64 exec, exec, s[26:27]
	v_mov_b32_e32 v25, v5
	v_mov_b32_e32 v24, v4
.LBB2_10807:                            ;   in Loop: Header=BB2_10785 Depth=2
	s_or_b64 exec, exec, s[90:91]
	s_xor_b64 s[26:27], s[42:43], -1
	s_and_b64 s[26:27], exec, s[26:27]
	s_or_b64 s[40:41], s[26:27], s[40:41]
	s_and_saveexec_b64 s[26:27], s[12:13]
	s_cbranch_execz .LBB2_10826
; %bb.10808:                            ;   in Loop: Header=BB2_10785 Depth=2
	s_and_saveexec_b64 s[42:43], s[58:59]
	s_xor_b64 s[42:43], exec, s[42:43]
	s_cbranch_execz .LBB2_10823
; %bb.10809:                            ;   in Loop: Header=BB2_10785 Depth=2
	s_and_saveexec_b64 s[90:91], s[6:7]
	s_cbranch_execz .LBB2_10822
; %bb.10810:                            ;   in Loop: Header=BB2_10785 Depth=2
	s_mov_b64 s[94:95], exec
	v_mbcnt_lo_u32_b32 v2, s94, 0
	v_mbcnt_hi_u32_b32 v2, s95, v2
	v_cmp_eq_u32_e32 vcc, 0, v2
	s_waitcnt vmcnt(0) lgkmcnt(0)
	buffer_wbinvl1_vol
	s_and_saveexec_b64 s[92:93], vcc
	s_cbranch_execz .LBB2_10812
; %bb.10811:                            ;   in Loop: Header=BB2_10785 Depth=2
	s_bcnt1_i32_b64 s8, s[94:95]
	v_mov_b32_e32 v2, s8
	v_mov_b32_e32 v3, v29
	ds_add_u64 v0, v[2:3]
	s_trap 2
.LBB2_10812:                            ;   in Loop: Header=BB2_10785 Depth=2
	s_or_b64 exec, exec, s[92:93]
	s_trap 2
	ds_read_b64 v[2:3], v0
	s_waitcnt lgkmcnt(0)
	v_add_co_u32_e32 v12, vcc, v12, v36
	v_addc_co_u32_e32 v13, vcc, 0, v13, vcc
	v_cmp_lt_u64_e32 vcc, v[2:3], v[12:13]
	s_and_saveexec_b64 s[92:93], vcc
	s_cbranch_execz .LBB2_10821
; %bb.10813:                            ;   in Loop: Header=BB2_10785 Depth=2
	s_mov_b32 s8, 0
	s_mov_b64 s[94:95], 0
                                        ; implicit-def: $sgpr30_sgpr31
                                        ; implicit-def: $sgpr34_sgpr35
	s_branch .LBB2_10815
.LBB2_10814:                            ;   in Loop: Header=BB2_10815 Depth=3
	s_or_b64 exec, exec, s[38:39]
	s_and_b64 vcc, exec, vcc
	s_or_b64 s[94:95], vcc, s[94:95]
	s_andn2_b64 vcc, s[30:31], exec
	s_and_b64 s[30:31], s[34:35], exec
	s_or_b64 s[30:31], vcc, s[30:31]
	s_andn2_b64 exec, exec, s[94:95]
	s_cbranch_execz .LBB2_10819
.LBB2_10815:                            ;   Parent Loop BB2_47 Depth=1
                                        ;     Parent Loop BB2_10785 Depth=2
                                        ; =>    This Inner Loop Header: Depth=3
	s_add_i32 s8, s8, 1
	s_cmpk_lg_i32 s8, 0x2710
	s_cselect_b64 s[36:37], -1, 0
	s_and_b64 vcc, exec, s[36:37]
	s_cbranch_vccz .LBB2_10817
; %bb.10816:                            ;   in Loop: Header=BB2_10815 Depth=3
	s_mov_b64 vcc, -1
	s_or_b64 s[34:35], s[34:35], exec
	s_and_saveexec_b64 s[38:39], s[36:37]
	s_cbranch_execz .LBB2_10814
	s_branch .LBB2_10818
.LBB2_10817:                            ;   in Loop: Header=BB2_10815 Depth=3
	s_trap 2
	ds_read_b64 v[2:3], v0
	s_andn2_b64 s[36:37], s[36:37], exec
	s_mov_b32 s8, 0
	s_waitcnt lgkmcnt(0)
	flat_load_dword v2, v[2:3] glc
	s_waitcnt vmcnt(0) lgkmcnt(0)
	buffer_wbinvl1_vol
	v_cmp_eq_u32_e32 vcc, 0, v2
	s_and_b64 vcc, vcc, exec
	s_or_b64 s[36:37], s[36:37], vcc
	s_mov_b64 vcc, -1
	s_or_b64 s[34:35], s[34:35], exec
	s_and_saveexec_b64 s[38:39], s[36:37]
	s_cbranch_execz .LBB2_10814
.LBB2_10818:                            ;   in Loop: Header=BB2_10815 Depth=3
	s_sleep 1
	s_trap 2
	ds_read_b64 v[2:3], v0
	s_waitcnt lgkmcnt(0)
	s_andn2_b64 s[34:35], s[34:35], exec
	v_cmp_ge_u64_e32 vcc, v[2:3], v[12:13]
	s_orn2_b64 vcc, vcc, exec
	s_branch .LBB2_10814
.LBB2_10819:                            ;   in Loop: Header=BB2_10785 Depth=2
	s_or_b64 exec, exec, s[94:95]
	s_and_saveexec_b64 s[94:95], s[30:31]
	s_xor_b64 s[94:95], exec, s[94:95]
	s_cbranch_execz .LBB2_10821
; %bb.10820:                            ;   in Loop: Header=BB2_10785 Depth=2
	v_mov_b32_e32 v2, 1
	ds_write_b32 v0, v2
	s_trap 2
.LBB2_10821:                            ;   in Loop: Header=BB2_10785 Depth=2
	s_or_b64 exec, exec, s[92:93]
	;;#ASMSTART
	s_wakeup
	;;#ASMEND
.LBB2_10822:                            ;   in Loop: Header=BB2_10785 Depth=2
	s_or_b64 exec, exec, s[90:91]
.LBB2_10823:                            ;   in Loop: Header=BB2_10785 Depth=2
	s_andn2_saveexec_b64 s[42:43], s[42:43]
	s_cbranch_execz .LBB2_10825
; %bb.10824:                            ;   in Loop: Header=BB2_10785 Depth=2
	s_waitcnt vmcnt(0) lgkmcnt(0)
	buffer_wbinvl1_vol
	s_barrier
.LBB2_10825:                            ;   in Loop: Header=BB2_10785 Depth=2
	s_or_b64 exec, exec, s[42:43]
.LBB2_10826:                            ;   in Loop: Header=BB2_10785 Depth=2
	s_or_b64 exec, exec, s[26:27]
	v_sub_u32_e32 v2, v10, v14
	v_min_i32_e32 v11, v11, v2
	s_and_saveexec_b64 s[26:27], s[18:19]
	s_xor_b64 s[26:27], exec, s[26:27]
	s_cbranch_execz .LBB2_10830
; %bb.10827:                            ;   in Loop: Header=BB2_10785 Depth=2
	s_trap 2
	ds_read_b32 v2, v0
	v_cmp_lt_i32_e32 vcc, 0, v11
	s_waitcnt lgkmcnt(0)
	v_readfirstlane_b32 s8, v2
	s_cmp_eq_u32 s8, 0
	s_cselect_b64 s[42:43], -1, 0
	v_and_b32_e32 v2, 16, v34
	s_and_b64 s[42:43], vcc, s[42:43]
	v_cmp_ne_u32_e32 vcc, 0, v2
	s_and_b64 s[90:91], vcc, s[42:43]
	s_and_saveexec_b64 s[42:43], s[90:91]
	s_cbranch_execz .LBB2_10829
; %bb.10828:                            ;   in Loop: Header=BB2_10785 Depth=2
	s_waitcnt vmcnt(0)
	buffer_wbinvl1_vol
.LBB2_10829:                            ;   in Loop: Header=BB2_10785 Depth=2
	s_or_b64 exec, exec, s[42:43]
.LBB2_10830:                            ;   in Loop: Header=BB2_10785 Depth=2
	s_andn2_saveexec_b64 s[26:27], s[26:27]
	s_cbranch_execz .LBB2_10849
; %bb.10831:                            ;   in Loop: Header=BB2_10785 Depth=2
	s_and_saveexec_b64 s[42:43], s[58:59]
	s_xor_b64 s[42:43], exec, s[42:43]
	s_cbranch_execz .LBB2_10846
; %bb.10832:                            ;   in Loop: Header=BB2_10785 Depth=2
	s_and_saveexec_b64 s[90:91], s[6:7]
	s_cbranch_execz .LBB2_10845
; %bb.10833:                            ;   in Loop: Header=BB2_10785 Depth=2
	s_mov_b64 s[94:95], exec
	v_mbcnt_lo_u32_b32 v2, s94, 0
	v_mbcnt_hi_u32_b32 v2, s95, v2
	v_cmp_eq_u32_e32 vcc, 0, v2
	;;#ASMSTART
	s_waitcnt lgkmcnt(0) vmcnt(0)
	;;#ASMEND
	s_and_saveexec_b64 s[92:93], vcc
	s_cbranch_execz .LBB2_10835
; %bb.10834:                            ;   in Loop: Header=BB2_10785 Depth=2
	s_bcnt1_i32_b64 s8, s[94:95]
	v_mov_b32_e32 v2, s8
	v_mov_b32_e32 v3, v29
	s_waitcnt lgkmcnt(0)
	ds_add_u64 v0, v[2:3]
	s_trap 2
.LBB2_10835:                            ;   in Loop: Header=BB2_10785 Depth=2
	s_or_b64 exec, exec, s[92:93]
	s_trap 2
	ds_read_b64 v[2:3], v0
	s_waitcnt lgkmcnt(0)
	v_add_co_u32_e32 v12, vcc, v12, v36
	v_addc_co_u32_e32 v13, vcc, 0, v13, vcc
	v_cmp_lt_u64_e32 vcc, v[2:3], v[12:13]
	s_and_saveexec_b64 s[92:93], vcc
	s_cbranch_execz .LBB2_10844
; %bb.10836:                            ;   in Loop: Header=BB2_10785 Depth=2
	s_mov_b32 s8, 0
	s_mov_b64 s[94:95], 0
                                        ; implicit-def: $sgpr30_sgpr31
                                        ; implicit-def: $sgpr34_sgpr35
	s_branch .LBB2_10838
.LBB2_10837:                            ;   in Loop: Header=BB2_10838 Depth=3
	s_or_b64 exec, exec, s[38:39]
	s_and_b64 vcc, exec, vcc
	s_or_b64 s[94:95], vcc, s[94:95]
	s_andn2_b64 vcc, s[30:31], exec
	s_and_b64 s[30:31], s[34:35], exec
	s_or_b64 s[30:31], vcc, s[30:31]
	s_andn2_b64 exec, exec, s[94:95]
	s_cbranch_execz .LBB2_10842
.LBB2_10838:                            ;   Parent Loop BB2_47 Depth=1
                                        ;     Parent Loop BB2_10785 Depth=2
                                        ; =>    This Inner Loop Header: Depth=3
	s_add_i32 s8, s8, 1
	s_cmpk_lg_i32 s8, 0x2710
	s_cselect_b64 s[36:37], -1, 0
	s_and_b64 vcc, exec, s[36:37]
	s_cbranch_vccz .LBB2_10840
; %bb.10839:                            ;   in Loop: Header=BB2_10838 Depth=3
	s_mov_b64 vcc, -1
	s_or_b64 s[34:35], s[34:35], exec
	s_and_saveexec_b64 s[38:39], s[36:37]
	s_cbranch_execz .LBB2_10837
	s_branch .LBB2_10841
.LBB2_10840:                            ;   in Loop: Header=BB2_10838 Depth=3
	s_trap 2
	ds_read_b64 v[2:3], v0
	s_andn2_b64 s[36:37], s[36:37], exec
	s_mov_b32 s8, 0
	s_waitcnt vmcnt(0) lgkmcnt(0)
	flat_load_dword v2, v[2:3] glc
	s_waitcnt vmcnt(0) lgkmcnt(0)
	buffer_wbinvl1_vol
	v_cmp_eq_u32_e32 vcc, 0, v2
	s_and_b64 vcc, vcc, exec
	s_or_b64 s[36:37], s[36:37], vcc
	s_mov_b64 vcc, -1
	s_or_b64 s[34:35], s[34:35], exec
	s_and_saveexec_b64 s[38:39], s[36:37]
	s_cbranch_execz .LBB2_10837
.LBB2_10841:                            ;   in Loop: Header=BB2_10838 Depth=3
	s_sleep 1
	s_trap 2
	ds_read_b64 v[2:3], v0
	s_waitcnt lgkmcnt(0)
	s_andn2_b64 s[34:35], s[34:35], exec
	v_cmp_ge_u64_e32 vcc, v[2:3], v[12:13]
	s_orn2_b64 vcc, vcc, exec
	s_branch .LBB2_10837
.LBB2_10842:                            ;   in Loop: Header=BB2_10785 Depth=2
	s_or_b64 exec, exec, s[94:95]
	s_and_saveexec_b64 s[94:95], s[30:31]
	s_xor_b64 s[94:95], exec, s[94:95]
	s_cbranch_execz .LBB2_10844
; %bb.10843:                            ;   in Loop: Header=BB2_10785 Depth=2
	v_mov_b32_e32 v2, 1
	ds_write_b32 v0, v2
	s_trap 2
.LBB2_10844:                            ;   in Loop: Header=BB2_10785 Depth=2
	s_or_b64 exec, exec, s[92:93]
	;;#ASMSTART
	s_wakeup
	;;#ASMEND
.LBB2_10845:                            ;   in Loop: Header=BB2_10785 Depth=2
	s_or_b64 exec, exec, s[90:91]
.LBB2_10846:                            ;   in Loop: Header=BB2_10785 Depth=2
	s_andn2_saveexec_b64 s[42:43], s[42:43]
	s_cbranch_execz .LBB2_10848
; %bb.10847:                            ;   in Loop: Header=BB2_10785 Depth=2
	;;#ASMSTART
	s_waitcnt lgkmcnt(0) vmcnt(0)
	;;#ASMEND
	s_waitcnt vmcnt(0) lgkmcnt(0)
	s_barrier
.LBB2_10848:                            ;   in Loop: Header=BB2_10785 Depth=2
	s_or_b64 exec, exec, s[42:43]
.LBB2_10849:                            ;   in Loop: Header=BB2_10785 Depth=2
	s_or_b64 exec, exec, s[26:27]
	v_and_b32_e32 v2, 32, v34
	v_cmp_ne_u32_e32 vcc, 0, v2
	s_and_saveexec_b64 s[26:27], vcc
	s_cbranch_execz .LBB2_10784
; %bb.10850:                            ;   in Loop: Header=BB2_10785 Depth=2
	v_add_co_u32_e32 v24, vcc, 2, v24
	v_addc_co_u32_e32 v25, vcc, 0, v25, vcc
	flat_store_dwordx2 v[20:21], v[24:25]
	s_branch .LBB2_10784
.LBB2_10851:
	s_or_b64 exec, exec, s[60:61]
	buffer_load_dword v18, off, s[0:3], s33 offset:324 ; 4-byte Folded Reload
	buffer_load_dword v31, off, s[0:3], s33 offset:328 ; 4-byte Folded Reload
	;; [unrolled: 1-line block ×3, first 2 shown]
	v_readlane_b32 s28, v62, 4
	v_readlane_b32 s29, v62, 5
.LBB2_10852:
	v_readlane_b32 s4, v62, 2
	v_readlane_b32 s5, v62, 3
	s_or_b64 exec, exec, s[4:5]
	v_and_b32_e32 v0, 0x800, v34
	v_cmp_eq_u32_e32 vcc, 0, v0
	s_and_saveexec_b64 s[6:7], vcc
	s_cbranch_execz .LBB2_10885
; %bb.10853:
	v_and_b32_e32 v0, 48, v34
	v_cmp_ne_u32_e32 vcc, 0, v0
	s_and_saveexec_b64 s[4:5], vcc
	s_cbranch_execz .LBB2_10855
; %bb.10854:
	buffer_load_dword v0, off, s[0:3], s33 offset:316 ; 4-byte Folded Reload
	buffer_load_dword v1, off, s[0:3], s33 offset:320 ; 4-byte Folded Reload
	s_waitcnt vmcnt(0)
	flat_store_dwordx2 v[0:1], v[24:25] offset:104
.LBB2_10855:
	s_or_b64 exec, exec, s[4:5]
	s_movk_i32 s4, 0x88
	v_and_b32_e32 v0, 0x88, v34
	v_cmp_eq_u32_e32 vcc, s4, v0
	s_and_saveexec_b64 s[10:11], vcc
	s_cbranch_execz .LBB2_10865
; %bb.10856:
	buffer_load_dword v1, off, s[0:3], s33 offset:92 ; 4-byte Folded Reload
	buffer_load_dword v2, off, s[0:3], s33 offset:96 ; 4-byte Folded Reload
	;; [unrolled: 1-line block ×4, first 2 shown]
	v_add_u32_e32 v0, 6, v24
	v_and_b32_e32 v0, 7, v0
	s_waitcnt vmcnt(0)
	v_and_b32_e32 v4, 64, v34
	s_mov_b32 s8, 0
	v_mad_u64_u32 v[2:3], s[4:5], v0, 24, v[1:2]
	v_cmp_eq_u32_e64 s[4:5], 0, v4
	flat_load_dwordx2 v[0:1], v[2:3] offset:8 glc
	s_waitcnt vmcnt(0) lgkmcnt(0)
	v_cmp_ne_u64_e32 vcc, -1, v[0:1]
	s_and_b64 s[4:5], vcc, s[4:5]
	s_and_b64 exec, exec, s[4:5]
	s_cbranch_execz .LBB2_10865
; %bb.10857:
	s_mov_b64 s[4:5], 0
                                        ; implicit-def: $sgpr12_sgpr13
                                        ; implicit-def: $sgpr14_sgpr15
	s_branch .LBB2_10860
.LBB2_10858:                            ;   in Loop: Header=BB2_10860 Depth=1
	flat_load_dwordx2 v[4:5], v[2:3] offset:8 glc
	s_waitcnt vmcnt(0)
	s_andn2_b64 s[14:15], s[14:15], exec
	s_waitcnt lgkmcnt(0)
	v_cmp_eq_u64_e32 vcc, -1, v[4:5]
	s_orn2_b64 s[18:19], vcc, exec
.LBB2_10859:                            ;   in Loop: Header=BB2_10860 Depth=1
	s_or_b64 exec, exec, s[20:21]
	s_and_b64 s[16:17], exec, s[18:19]
	s_or_b64 s[4:5], s[16:17], s[4:5]
	s_andn2_b64 s[12:13], s[12:13], exec
	s_and_b64 s[16:17], s[14:15], exec
	s_or_b64 s[12:13], s[12:13], s[16:17]
	s_andn2_b64 exec, exec, s[4:5]
	s_cbranch_execz .LBB2_10863
.LBB2_10860:                            ; =>This Inner Loop Header: Depth=1
	s_cmpk_lt_i32 s8, 0x270f
	s_cselect_b64 s[16:17], -1, 0
	s_and_b64 vcc, exec, s[16:17]
	s_cbranch_vccnz .LBB2_10862
; %bb.10861:                            ;   in Loop: Header=BB2_10860 Depth=1
	s_trap 2
	ds_read_b64 v[0:1], v0
	s_andn2_b64 s[16:17], s[16:17], exec
	s_mov_b32 s8, 0
	s_waitcnt lgkmcnt(0)
	flat_load_dword v0, v[0:1] glc
	s_waitcnt vmcnt(0) lgkmcnt(0)
	buffer_wbinvl1_vol
	v_cmp_eq_u32_e32 vcc, 0, v0
	s_and_b64 s[18:19], vcc, exec
	s_or_b64 s[16:17], s[16:17], s[18:19]
	s_mov_b64 s[18:19], -1
	s_or_b64 s[14:15], s[14:15], exec
	s_and_saveexec_b64 s[20:21], s[16:17]
	s_cbranch_execz .LBB2_10859
	s_branch .LBB2_10858
.LBB2_10862:                            ;   in Loop: Header=BB2_10860 Depth=1
	s_add_i32 s8, s8, 1
                                        ; implicit-def: $vgpr0
	s_mov_b64 s[18:19], -1
	s_or_b64 s[14:15], s[14:15], exec
	s_and_saveexec_b64 s[20:21], s[16:17]
	s_cbranch_execz .LBB2_10859
	s_branch .LBB2_10858
.LBB2_10863:
	s_or_b64 exec, exec, s[4:5]
	s_and_saveexec_b64 s[4:5], s[12:13]
	s_xor_b64 s[4:5], exec, s[4:5]
	s_cbranch_execz .LBB2_10865
; %bb.10864:
	ds_write_b32 v0, v0
	s_trap 2
.LBB2_10865:
	s_or_b64 exec, exec, s[10:11]
	v_and_b32_e32 v0, 0x2000, v34
	v_cmp_ne_u32_e32 vcc, 0, v0
	s_and_saveexec_b64 s[4:5], vcc
	s_cbranch_execz .LBB2_10867
; %bb.10866:
	s_trap 2
	ds_read_b64 v[0:1], v0
	buffer_load_dword v2, off, s[0:3], s33 offset:336 ; 4-byte Folded Reload
	buffer_load_dword v3, off, s[0:3], s33 offset:340 ; 4-byte Folded Reload
	s_waitcnt vmcnt(0) lgkmcnt(0)
	flat_store_dwordx2 v[2:3], v[0:1] offset:16
.LBB2_10867:
	s_or_b64 exec, exec, s[4:5]
	s_waitcnt vmcnt(0)
	v_cmp_ne_u32_e32 vcc, 64, v18
	s_and_b64 exec, exec, vcc
	s_cbranch_execz .LBB2_10885
; %bb.10868:
	v_cmp_ne_u32_sdwa s[4:5], v18, v19 src0_sel:DWORD src1_sel:WORD_0
	s_and_saveexec_b64 s[8:9], s[4:5]
	s_xor_b64 s[4:5], exec, s[8:9]
	s_cbranch_execz .LBB2_10883
; %bb.10869:
	v_and_b32_e32 v0, 63, v31
	v_cmp_eq_u32_e32 vcc, 0, v0
	s_and_saveexec_b64 s[10:11], vcc
	s_cbranch_execz .LBB2_10882
; %bb.10870:
	s_mov_b64 s[14:15], exec
	v_mbcnt_lo_u32_b32 v0, s14, 0
	v_mbcnt_hi_u32_b32 v0, s15, v0
	v_cmp_eq_u32_e32 vcc, 0, v0
	s_waitcnt lgkmcnt(0)
	buffer_wbinvl1_vol
	s_and_saveexec_b64 s[12:13], vcc
	s_cbranch_execz .LBB2_10872
; %bb.10871:
	s_bcnt1_i32_b64 s8, s[14:15]
	v_mov_b32_e32 v0, s8
	v_mov_b32_e32 v1, 0
	ds_add_u64 v0, v[0:1]
	s_trap 2
.LBB2_10872:
	s_or_b64 exec, exec, s[12:13]
	v_lshrrev_b32_e32 v0, 6, v18
	s_trap 2
	ds_read_b64 v[2:3], v0
	s_waitcnt lgkmcnt(0)
	v_add_co_u32_e32 v0, vcc, v12, v0
	v_addc_co_u32_e32 v1, vcc, 0, v13, vcc
	v_cmp_lt_u64_e32 vcc, v[2:3], v[0:1]
	s_and_saveexec_b64 s[12:13], vcc
	s_cbranch_execz .LBB2_10881
; %bb.10873:
	s_mov_b32 s8, 0
	s_mov_b64 s[14:15], 0
                                        ; implicit-def: $sgpr16_sgpr17
                                        ; implicit-def: $sgpr18_sgpr19
	s_branch .LBB2_10875
.LBB2_10874:                            ;   in Loop: Header=BB2_10875 Depth=1
	s_or_b64 exec, exec, s[22:23]
	s_and_b64 s[20:21], exec, s[24:25]
	s_or_b64 s[14:15], s[20:21], s[14:15]
	s_andn2_b64 s[16:17], s[16:17], exec
	s_and_b64 s[20:21], s[18:19], exec
	s_or_b64 s[16:17], s[16:17], s[20:21]
	s_andn2_b64 exec, exec, s[14:15]
	s_cbranch_execz .LBB2_10879
.LBB2_10875:                            ; =>This Inner Loop Header: Depth=1
	s_add_i32 s8, s8, 1
	s_cmpk_lg_i32 s8, 0x2710
	s_cselect_b64 s[20:21], -1, 0
	s_and_b64 vcc, exec, s[20:21]
	s_cbranch_vccz .LBB2_10877
; %bb.10876:                            ;   in Loop: Header=BB2_10875 Depth=1
	s_mov_b64 s[24:25], -1
	s_or_b64 s[18:19], s[18:19], exec
	s_and_saveexec_b64 s[22:23], s[20:21]
	s_cbranch_execz .LBB2_10874
	s_branch .LBB2_10878
.LBB2_10877:                            ;   in Loop: Header=BB2_10875 Depth=1
	s_trap 2
	ds_read_b64 v[2:3], v0
	s_andn2_b64 s[20:21], s[20:21], exec
	s_mov_b32 s8, 0
	s_waitcnt lgkmcnt(0)
	flat_load_dword v2, v[2:3] glc
	s_waitcnt vmcnt(0) lgkmcnt(0)
	buffer_wbinvl1_vol
	v_cmp_eq_u32_e32 vcc, 0, v2
	s_and_b64 s[22:23], vcc, exec
	s_or_b64 s[20:21], s[20:21], s[22:23]
	s_mov_b64 s[24:25], -1
	s_or_b64 s[18:19], s[18:19], exec
	s_and_saveexec_b64 s[22:23], s[20:21]
	s_cbranch_execz .LBB2_10874
.LBB2_10878:                            ;   in Loop: Header=BB2_10875 Depth=1
	s_sleep 1
	s_trap 2
	ds_read_b64 v[2:3], v0
	s_waitcnt lgkmcnt(0)
	s_andn2_b64 s[18:19], s[18:19], exec
	v_cmp_ge_u64_e32 vcc, v[2:3], v[0:1]
	s_orn2_b64 s[24:25], vcc, exec
	s_branch .LBB2_10874
.LBB2_10879:
	s_or_b64 exec, exec, s[14:15]
	s_and_saveexec_b64 s[8:9], s[16:17]
	s_xor_b64 s[8:9], exec, s[8:9]
	s_cbranch_execz .LBB2_10881
; %bb.10880:
	v_mov_b32_e32 v0, 1
	ds_write_b32 v0, v0
	s_trap 2
.LBB2_10881:
	s_or_b64 exec, exec, s[12:13]
	;;#ASMSTART
	s_wakeup
	;;#ASMEND
.LBB2_10882:
	s_or_b64 exec, exec, s[10:11]
.LBB2_10883:
	s_andn2_saveexec_b64 s[4:5], s[4:5]
	s_cbranch_execz .LBB2_10885
; %bb.10884:
	s_waitcnt lgkmcnt(0)
	buffer_wbinvl1_vol
	s_barrier
.LBB2_10885:
	s_or_b64 exec, exec, s[6:7]
.LBB2_10886:
	v_readlane_b32 s4, v62, 0
	v_readlane_b32 s5, v62, 1
	s_andn2_saveexec_b64 s[26:27], s[4:5]
	s_cbranch_execz .LBB2_10888
; %bb.10887:
	s_getpc_b64 s[4:5]
	s_add_u32 s4, s4, __PRETTY_FUNCTION__._ZN10PrimitivesI14__hip_fp8_e5m213FuncPreMulSumIS0_E12FanSymmetricILi1EELi0E11ProtoSimpleILi2ELi2ELi0ELi1ELi0ELi0EELi0ELb0ELi0ELi0ELi0EEC2EiiPKiS9_PKvPvmhhhP15ncclDevWorkCollP14ncclDevWorkP2pii@rel32@lo+4
	s_addc_u32 s5, s5, __PRETTY_FUNCTION__._ZN10PrimitivesI14__hip_fp8_e5m213FuncPreMulSumIS0_E12FanSymmetricILi1EELi0E11ProtoSimpleILi2ELi2ELi0ELi1ELi0ELi0EELi0ELb0ELi0ELi0ELi0EEC2EiiPKiS9_PKvPvmhhhP15ncclDevWorkCollP14ncclDevWorkP2pii@rel32@hi+12
	s_getpc_b64 s[6:7]
	s_add_u32 s6, s6, __assert_fail@rel32@lo+4
	s_addc_u32 s7, s7, __assert_fail@rel32@hi+12
	s_mov_b64 s[8:9], s[28:29]
	v_mov_b32_e32 v0, s4
	v_mov_b32_e32 v1, s5
	s_swappc_b64 s[30:31], s[6:7]
	; divergent unreachable
.LBB2_10888:
	s_or_b64 exec, exec, s[26:27]
	buffer_load_dword v61, off, s[0:3], s33 ; 4-byte Folded Reload
	buffer_load_dword v60, off, s[0:3], s33 offset:4 ; 4-byte Folded Reload
	buffer_load_dword v59, off, s[0:3], s33 offset:8 ; 4-byte Folded Reload
	;; [unrolled: 1-line block ×13, first 2 shown]
	v_readlane_b32 s30, v63, 32
	v_readlane_b32 s31, v63, 33
	v_readlane_b32 s97, v63, 31
	v_readlane_b32 s96, v63, 30
	v_readlane_b32 s87, v63, 29
	v_readlane_b32 s86, v63, 28
	v_readlane_b32 s85, v63, 27
	v_readlane_b32 s84, v63, 26
	v_readlane_b32 s83, v63, 25
	v_readlane_b32 s82, v63, 24
	v_readlane_b32 s81, v63, 23
	v_readlane_b32 s80, v63, 22
	v_readlane_b32 s71, v63, 21
	v_readlane_b32 s70, v63, 20
	v_readlane_b32 s69, v63, 19
	v_readlane_b32 s68, v63, 18
	v_readlane_b32 s67, v63, 17
	v_readlane_b32 s66, v63, 16
	v_readlane_b32 s65, v63, 15
	v_readlane_b32 s64, v63, 14
	v_readlane_b32 s55, v63, 13
	v_readlane_b32 s54, v63, 12
	v_readlane_b32 s53, v63, 11
	v_readlane_b32 s52, v63, 10
	v_readlane_b32 s51, v63, 9
	v_readlane_b32 s50, v63, 8
	v_readlane_b32 s49, v63, 7
	v_readlane_b32 s48, v63, 6
	v_readlane_b32 s39, v63, 5
	v_readlane_b32 s38, v63, 4
	v_readlane_b32 s37, v63, 3
	v_readlane_b32 s36, v63, 2
	v_readlane_b32 s35, v63, 1
	v_readlane_b32 s34, v63, 0
	s_mov_b32 s32, s33
	v_readlane_b32 s4, v63, 34
	s_or_saveexec_b64 s[6:7], -1
	buffer_load_dword v63, off, s[0:3], s33 offset:344 ; 4-byte Folded Reload
	buffer_load_dword v62, off, s[0:3], s33 offset:348 ; 4-byte Folded Reload
	s_mov_b64 exec, s[6:7]
	s_mov_b32 s33, s4
	s_waitcnt vmcnt(0) lgkmcnt(0)
	s_setpc_b64 s[30:31]
.Lfunc_end2:
	.size	_ZN12_GLOBAL__N_17runRingI14__hip_fp8_e5m213FuncPreMulSumIS1_E11ProtoSimpleILi2ELi2ELi0ELi1ELi0ELi0EELi0ELi0ELi1ELi0EEEviiP15ncclDevWorkColl, .Lfunc_end2-_ZN12_GLOBAL__N_17runRingI14__hip_fp8_e5m213FuncPreMulSumIS1_E11ProtoSimpleILi2ELi2ELi0ELi1ELi0ELi0EELi0ELi0ELi1ELi0EEEviiP15ncclDevWorkColl
                                        ; -- End function
	.set .L_ZN12_GLOBAL__N_17runRingI14__hip_fp8_e5m213FuncPreMulSumIS1_E11ProtoSimpleILi2ELi2ELi0ELi1ELi0ELi0EELi0ELi0ELi1ELi0EEEviiP15ncclDevWorkColl.num_vgpr, max(64, .L__assert_fail.num_vgpr)
	.set .L_ZN12_GLOBAL__N_17runRingI14__hip_fp8_e5m213FuncPreMulSumIS1_E11ProtoSimpleILi2ELi2ELi0ELi1ELi0ELi0EELi0ELi0ELi1ELi0EEEviiP15ncclDevWorkColl.num_agpr, max(0, .L__assert_fail.num_agpr)
	.set .L_ZN12_GLOBAL__N_17runRingI14__hip_fp8_e5m213FuncPreMulSumIS1_E11ProtoSimpleILi2ELi2ELi0ELi1ELi0ELi0EELi0ELi0ELi1ELi0EEEviiP15ncclDevWorkColl.numbered_sgpr, max(100, .L__assert_fail.numbered_sgpr)
	.set .L_ZN12_GLOBAL__N_17runRingI14__hip_fp8_e5m213FuncPreMulSumIS1_E11ProtoSimpleILi2ELi2ELi0ELi1ELi0ELi0EELi0ELi0ELi1ELi0EEEviiP15ncclDevWorkColl.num_named_barrier, max(0, .L__assert_fail.num_named_barrier)
	.set .L_ZN12_GLOBAL__N_17runRingI14__hip_fp8_e5m213FuncPreMulSumIS1_E11ProtoSimpleILi2ELi2ELi0ELi1ELi0ELi0EELi0ELi0ELi1ELi0EEEviiP15ncclDevWorkColl.private_seg_size, 368+max(.L__assert_fail.private_seg_size)
	.set .L_ZN12_GLOBAL__N_17runRingI14__hip_fp8_e5m213FuncPreMulSumIS1_E11ProtoSimpleILi2ELi2ELi0ELi1ELi0ELi0EELi0ELi0ELi1ELi0EEEviiP15ncclDevWorkColl.uses_vcc, or(1, .L__assert_fail.uses_vcc)
	.set .L_ZN12_GLOBAL__N_17runRingI14__hip_fp8_e5m213FuncPreMulSumIS1_E11ProtoSimpleILi2ELi2ELi0ELi1ELi0ELi0EELi0ELi0ELi1ELi0EEEviiP15ncclDevWorkColl.uses_flat_scratch, or(0, .L__assert_fail.uses_flat_scratch)
	.set .L_ZN12_GLOBAL__N_17runRingI14__hip_fp8_e5m213FuncPreMulSumIS1_E11ProtoSimpleILi2ELi2ELi0ELi1ELi0ELi0EELi0ELi0ELi1ELi0EEEviiP15ncclDevWorkColl.has_dyn_sized_stack, or(0, .L__assert_fail.has_dyn_sized_stack)
	.set .L_ZN12_GLOBAL__N_17runRingI14__hip_fp8_e5m213FuncPreMulSumIS1_E11ProtoSimpleILi2ELi2ELi0ELi1ELi0ELi0EELi0ELi0ELi1ELi0EEEviiP15ncclDevWorkColl.has_recursion, or(1, .L__assert_fail.has_recursion)
	.set .L_ZN12_GLOBAL__N_17runRingI14__hip_fp8_e5m213FuncPreMulSumIS1_E11ProtoSimpleILi2ELi2ELi0ELi1ELi0ELi0EELi0ELi0ELi1ELi0EEEviiP15ncclDevWorkColl.has_indirect_call, or(0, .L__assert_fail.has_indirect_call)
	.section	.AMDGPU.csdata,"",@progbits
; Function info:
; codeLenInByte = 284104
; TotalNumSgprs: 104
; NumVgprs: 64
; ScratchSize: 432
; MemoryBound: 1
	.text
	.p2align	2                               ; -- Begin function _Z56ncclDevFunc_AllReduce_RING_SIMPLE_PreMulSum_f8e5m2_0_0_1v
	.type	_Z56ncclDevFunc_AllReduce_RING_SIMPLE_PreMulSum_f8e5m2_0_0_1v,@function
_Z56ncclDevFunc_AllReduce_RING_SIMPLE_PreMulSum_f8e5m2_0_0_1v: ; @_Z56ncclDevFunc_AllReduce_RING_SIMPLE_PreMulSum_f8e5m2_0_0_1v
; %bb.0:
	s_waitcnt vmcnt(0) expcnt(0) lgkmcnt(0)
	s_mov_b32 s4, s33
	s_mov_b32 s33, s32
	s_or_saveexec_b64 s[6:7], -1
	buffer_store_dword v43, off, s[0:3], s33 offset:20 ; 4-byte Folded Spill
	buffer_store_dword v44, off, s[0:3], s33 offset:24 ; 4-byte Folded Spill
	s_mov_b64 exec, s[6:7]
	v_writelane_b32 v44, s4, 38
	v_writelane_b32 v44, s100, 36
	;; [unrolled: 1-line block ×3, first 2 shown]
	s_addk_i32 s32, 0x800
	buffer_store_dword v40, off, s[0:3], s33 offset:12 ; 4-byte Folded Spill
	buffer_store_dword v41, off, s[0:3], s33 offset:8 ; 4-byte Folded Spill
	;; [unrolled: 1-line block ×3, first 2 shown]
	buffer_store_dword v62, off, s[0:3], s33 ; 4-byte Folded Spill
	v_writelane_b32 v44, s34, 0
	v_writelane_b32 v44, s35, 1
	;; [unrolled: 1-line block ×36, first 2 shown]
	s_trap 2
	ds_read_b32 v0, v0
	v_mov_b32_e32 v40, v31
                                        ; implicit-def: $vgpr43 : SGPR spill to VGPR lane
	v_and_b32_e32 v41, 0x3ff, v40
	v_writelane_b32 v43, s12, 0
	v_writelane_b32 v43, s8, 1
	s_waitcnt lgkmcnt(0)
	v_cmp_lt_i32_e32 vcc, v41, v0
	v_writelane_b32 v43, s9, 2
	s_and_saveexec_b64 s[4:5], vcc
	s_cbranch_execz .LBB3_5
; %bb.1:
	v_readlane_b32 s8, v43, 1
	v_readlane_b32 s9, v43, 2
	s_load_dword s6, s[8:9], 0x0
	v_readlane_b32 s7, v43, 0
	v_mov_b32_e32 v1, 0
	s_mov_b32 s10, 0
	v_mov_b32_e32 v4, v41
	s_waitcnt lgkmcnt(0)
	s_cmp_lt_u32 s7, s6
	s_cselect_b32 s6, 12, 18
	s_add_u32 s6, s8, s6
	s_addc_u32 s7, s9, 0
	global_load_ushort v1, v1, s[6:7]
	s_trap 2
	ds_read_b32 v2, v0
	s_mov_b64 s[6:7], 0
                                        ; implicit-def: $vgpr3
	s_waitcnt vmcnt(0) lgkmcnt(0)
	v_mul_lo_u32 v2, v2, v1
	s_branch .LBB3_3
.LBB3_2:                                ;   in Loop: Header=BB3_3 Depth=1
	s_or_b64 exec, exec, s[8:9]
	v_add_u32_e32 v4, v4, v1
	v_cmp_ge_i32_e32 vcc, v4, v0
	s_or_b64 s[6:7], vcc, s[6:7]
	v_add_u32_e32 v3, v3, v2
	s_andn2_b64 exec, exec, s[6:7]
	s_cbranch_execz .LBB3_5
.LBB3_3:                                ; =>This Inner Loop Header: Depth=1
	ds_read_b32 v5, v3
	s_waitcnt lgkmcnt(0)
	v_and_b32_e32 v5, 0x1000000, v5
	v_cmp_ne_u32_e32 vcc, 0, v5
	s_and_saveexec_b64 s[8:9], vcc
	s_cbranch_execz .LBB3_2
; %bb.4:                                ;   in Loop: Header=BB3_3 Depth=1
	ds_read_b64 v[5:6], v3 offset:104
	s_waitcnt lgkmcnt(0)
	flat_load_ubyte v5, v[5:6]
	v_mov_b32_e32 v6, s10
	s_waitcnt vmcnt(0) lgkmcnt(0)
	v_and_b32_e32 v5, 0xffff, v5
	ds_write_b64 v3, v[5:6] offset:104
	s_branch .LBB3_2
.LBB3_5:
	s_or_b64 exec, exec, s[4:5]
	s_waitcnt vmcnt(0) lgkmcnt(0)
	s_barrier
	s_trap 2
	ds_read_b32 v0, v0
	s_waitcnt lgkmcnt(0)
	v_cmp_gt_i32_e32 vcc, 1, v0
	s_cbranch_vccnz .LBB3_13
; %bb.6:
	s_mov_b32 s6, 0
	v_mov_b32_e32 v42, 6
	s_branch .LBB3_8
.LBB3_7:                                ;   in Loop: Header=BB3_8 Depth=1
	s_or_b64 exec, exec, s[8:9]
	s_trap 2
	ds_read_b32 v0, v0
	s_add_i32 s6, s6, 1
	s_waitcnt lgkmcnt(0)
	v_cmp_lt_i32_e32 vcc, s6, v0
	s_cbranch_vccz .LBB3_13
.LBB3_8:                                ; =>This Inner Loop Header: Depth=1
	s_trap 2
	ds_read_b32 v0, v0
	s_cmp_eq_u32 s6, 0
	s_cbranch_scc1 .LBB3_11
; %bb.9:                                ;   in Loop: Header=BB3_8 Depth=1
	s_trap 2
	s_waitcnt lgkmcnt(0)
	ds_read_b32 v1, v0
	s_waitcnt lgkmcnt(0)
	v_xor_b32_e32 v1, v1, v0
	v_and_b32_e32 v1, 0xff0000, v1
	v_cmp_eq_u32_e32 vcc, 0, v1
	s_cbranch_vccnz .LBB3_11
; %bb.10:                               ;   in Loop: Header=BB3_8 Depth=1
	s_barrier
	ds_read_b32 v0, v0
.LBB3_11:                               ;   in Loop: Header=BB3_8 Depth=1
	s_waitcnt lgkmcnt(0)
	v_lshlrev_b32_sdwa v1, v42, v0 dst_sel:DWORD dst_unused:UNUSED_PAD src0_sel:DWORD src1_sel:BYTE_2
	v_cmp_lt_u32_e32 vcc, v41, v1
	s_and_saveexec_b64 s[8:9], vcc
	s_cbranch_execz .LBB3_7
; %bb.12:                               ;   in Loop: Header=BB3_8 Depth=1
	v_writelane_b32 v43, s6, 3
	v_writelane_b32 v43, s8, 4
	s_mov_b64 s[4:5], src_shared_base
	s_getpc_b64 s[6:7]
	s_add_u32 s6, s6, _ZN12_GLOBAL__N_17runRingI14__hip_fp8_e5m213FuncPreMulSumIS1_E11ProtoSimpleILi2ELi2ELi0ELi1ELi0ELi0EELi0ELi0ELi1ELi0EEEviiP15ncclDevWorkColl@rel32@lo+4
	s_addc_u32 s7, s7, _ZN12_GLOBAL__N_17runRingI14__hip_fp8_e5m213FuncPreMulSumIS1_E11ProtoSimpleILi2ELi2ELi0ELi1ELi0ELi0EELi0ELi0ELi1ELi0EEEviiP15ncclDevWorkColl@rel32@hi+12
	v_writelane_b32 v43, s9, 5
	s_or_saveexec_b64 s[100:101], -1
	buffer_store_dword v43, off, s[0:3], s33 offset:16 ; 4-byte Folded Spill
	s_mov_b64 exec, s[100:101]
	v_readlane_b32 s8, v43, 1
	v_readlane_b32 s9, v43, 2
	;; [unrolled: 1-line block ×3, first 2 shown]
	v_mov_b32_e32 v31, v40
	v_mov_b32_e32 v0, v41
	;; [unrolled: 1-line block ×3, first 2 shown]
	s_swappc_b64 s[30:31], s[6:7]
	s_or_saveexec_b64 s[100:101], -1
	buffer_load_dword v43, off, s[0:3], s33 offset:16 ; 4-byte Folded Reload
	s_mov_b64 exec, s[100:101]
	s_waitcnt vmcnt(0)
	v_readlane_b32 s8, v43, 4
	v_readlane_b32 s9, v43, 5
	v_readlane_b32 s6, v43, 3
	s_branch .LBB3_7
.LBB3_13:
	buffer_load_dword v62, off, s[0:3], s33 ; 4-byte Folded Reload
	buffer_load_dword v42, off, s[0:3], s33 offset:4 ; 4-byte Folded Reload
	buffer_load_dword v41, off, s[0:3], s33 offset:8 ; 4-byte Folded Reload
	;; [unrolled: 1-line block ×3, first 2 shown]
	v_readlane_b32 s30, v44, 34
	v_readlane_b32 s31, v44, 35
	v_readlane_b32 s99, v44, 33
	v_readlane_b32 s98, v44, 32
	v_readlane_b32 s97, v44, 31
	v_readlane_b32 s96, v44, 30
	v_readlane_b32 s87, v44, 29
	v_readlane_b32 s86, v44, 28
	v_readlane_b32 s85, v44, 27
	v_readlane_b32 s84, v44, 26
	v_readlane_b32 s83, v44, 25
	v_readlane_b32 s82, v44, 24
	v_readlane_b32 s81, v44, 23
	v_readlane_b32 s80, v44, 22
	v_readlane_b32 s71, v44, 21
	v_readlane_b32 s70, v44, 20
	v_readlane_b32 s69, v44, 19
	v_readlane_b32 s68, v44, 18
	v_readlane_b32 s67, v44, 17
	v_readlane_b32 s66, v44, 16
	v_readlane_b32 s65, v44, 15
	v_readlane_b32 s64, v44, 14
	v_readlane_b32 s55, v44, 13
	v_readlane_b32 s54, v44, 12
	v_readlane_b32 s53, v44, 11
	v_readlane_b32 s52, v44, 10
	v_readlane_b32 s51, v44, 9
	v_readlane_b32 s50, v44, 8
	v_readlane_b32 s49, v44, 7
	v_readlane_b32 s48, v44, 6
	v_readlane_b32 s39, v44, 5
	v_readlane_b32 s38, v44, 4
	v_readlane_b32 s37, v44, 3
	v_readlane_b32 s36, v44, 2
	v_readlane_b32 s35, v44, 1
	v_readlane_b32 s34, v44, 0
	s_mov_b32 s32, s33
	v_readlane_b32 s4, v44, 38
	v_readlane_b32 s100, v44, 36
	;; [unrolled: 1-line block ×3, first 2 shown]
	s_or_saveexec_b64 s[6:7], -1
	buffer_load_dword v43, off, s[0:3], s33 offset:20 ; 4-byte Folded Reload
	buffer_load_dword v44, off, s[0:3], s33 offset:24 ; 4-byte Folded Reload
	s_mov_b64 exec, s[6:7]
	s_mov_b32 s33, s4
	s_waitcnt vmcnt(0)
	s_setpc_b64 s[30:31]
.Lfunc_end3:
	.size	_Z56ncclDevFunc_AllReduce_RING_SIMPLE_PreMulSum_f8e5m2_0_0_1v, .Lfunc_end3-_Z56ncclDevFunc_AllReduce_RING_SIMPLE_PreMulSum_f8e5m2_0_0_1v
                                        ; -- End function
	.set .L_Z56ncclDevFunc_AllReduce_RING_SIMPLE_PreMulSum_f8e5m2_0_0_1v.num_vgpr, max(63, .L_ZN12_GLOBAL__N_17runRingI14__hip_fp8_e5m213FuncPreMulSumIS1_E11ProtoSimpleILi2ELi2ELi0ELi1ELi0ELi0EELi0ELi0ELi1ELi0EEEviiP15ncclDevWorkColl.num_vgpr)
	.set .L_Z56ncclDevFunc_AllReduce_RING_SIMPLE_PreMulSum_f8e5m2_0_0_1v.num_agpr, max(0, .L_ZN12_GLOBAL__N_17runRingI14__hip_fp8_e5m213FuncPreMulSumIS1_E11ProtoSimpleILi2ELi2ELi0ELi1ELi0ELi0EELi0ELi0ELi1ELi0EEEviiP15ncclDevWorkColl.num_agpr)
	.set .L_Z56ncclDevFunc_AllReduce_RING_SIMPLE_PreMulSum_f8e5m2_0_0_1v.numbered_sgpr, max(102, .L_ZN12_GLOBAL__N_17runRingI14__hip_fp8_e5m213FuncPreMulSumIS1_E11ProtoSimpleILi2ELi2ELi0ELi1ELi0ELi0EELi0ELi0ELi1ELi0EEEviiP15ncclDevWorkColl.numbered_sgpr)
	.set .L_Z56ncclDevFunc_AllReduce_RING_SIMPLE_PreMulSum_f8e5m2_0_0_1v.num_named_barrier, max(0, .L_ZN12_GLOBAL__N_17runRingI14__hip_fp8_e5m213FuncPreMulSumIS1_E11ProtoSimpleILi2ELi2ELi0ELi1ELi0ELi0EELi0ELi0ELi1ELi0EEEviiP15ncclDevWorkColl.num_named_barrier)
	.set .L_Z56ncclDevFunc_AllReduce_RING_SIMPLE_PreMulSum_f8e5m2_0_0_1v.private_seg_size, 32+max(.L_ZN12_GLOBAL__N_17runRingI14__hip_fp8_e5m213FuncPreMulSumIS1_E11ProtoSimpleILi2ELi2ELi0ELi1ELi0ELi0EELi0ELi0ELi1ELi0EEEviiP15ncclDevWorkColl.private_seg_size)
	.set .L_Z56ncclDevFunc_AllReduce_RING_SIMPLE_PreMulSum_f8e5m2_0_0_1v.uses_vcc, or(1, .L_ZN12_GLOBAL__N_17runRingI14__hip_fp8_e5m213FuncPreMulSumIS1_E11ProtoSimpleILi2ELi2ELi0ELi1ELi0ELi0EELi0ELi0ELi1ELi0EEEviiP15ncclDevWorkColl.uses_vcc)
	.set .L_Z56ncclDevFunc_AllReduce_RING_SIMPLE_PreMulSum_f8e5m2_0_0_1v.uses_flat_scratch, or(0, .L_ZN12_GLOBAL__N_17runRingI14__hip_fp8_e5m213FuncPreMulSumIS1_E11ProtoSimpleILi2ELi2ELi0ELi1ELi0ELi0EELi0ELi0ELi1ELi0EEEviiP15ncclDevWorkColl.uses_flat_scratch)
	.set .L_Z56ncclDevFunc_AllReduce_RING_SIMPLE_PreMulSum_f8e5m2_0_0_1v.has_dyn_sized_stack, or(0, .L_ZN12_GLOBAL__N_17runRingI14__hip_fp8_e5m213FuncPreMulSumIS1_E11ProtoSimpleILi2ELi2ELi0ELi1ELi0ELi0EELi0ELi0ELi1ELi0EEEviiP15ncclDevWorkColl.has_dyn_sized_stack)
	.set .L_Z56ncclDevFunc_AllReduce_RING_SIMPLE_PreMulSum_f8e5m2_0_0_1v.has_recursion, or(1, .L_ZN12_GLOBAL__N_17runRingI14__hip_fp8_e5m213FuncPreMulSumIS1_E11ProtoSimpleILi2ELi2ELi0ELi1ELi0ELi0EELi0ELi0ELi1ELi0EEEviiP15ncclDevWorkColl.has_recursion)
	.set .L_Z56ncclDevFunc_AllReduce_RING_SIMPLE_PreMulSum_f8e5m2_0_0_1v.has_indirect_call, or(0, .L_ZN12_GLOBAL__N_17runRingI14__hip_fp8_e5m213FuncPreMulSumIS1_E11ProtoSimpleILi2ELi2ELi0ELi1ELi0ELi0EELi0ELi0ELi1ELi0EEEviiP15ncclDevWorkColl.has_indirect_call)
	.section	.AMDGPU.csdata,"",@progbits
; Function info:
; codeLenInByte = 1372
; TotalNumSgprs: 106
; NumVgprs: 64
; ScratchSize: 464
; MemoryBound: 0
	.text
	.p2align	2                               ; -- Begin function _ZN12_GLOBAL__N_17runRingI14__hip_fp8_e5m213FuncPreMulSumIS1_E11ProtoSimpleILi2ELi2ELi0ELi2ELi0ELi0EELi0ELi0ELi2ELi0EEEviiP15ncclDevWorkColl
	.type	_ZN12_GLOBAL__N_17runRingI14__hip_fp8_e5m213FuncPreMulSumIS1_E11ProtoSimpleILi2ELi2ELi0ELi2ELi0ELi0EELi0ELi0ELi2ELi0EEEviiP15ncclDevWorkColl,@function
_ZN12_GLOBAL__N_17runRingI14__hip_fp8_e5m213FuncPreMulSumIS1_E11ProtoSimpleILi2ELi2ELi0ELi2ELi0ELi0EELi0ELi0ELi2ELi0EEEviiP15ncclDevWorkColl: ; @_ZN12_GLOBAL__N_17runRingI14__hip_fp8_e5m213FuncPreMulSumIS1_E11ProtoSimpleILi2ELi2ELi0ELi2ELi0ELi0EELi0ELi0ELi2ELi0EEEviiP15ncclDevWorkColl
; %bb.0:
	s_waitcnt vmcnt(0) expcnt(0) lgkmcnt(0)
	s_mov_b32 s4, s33
	s_mov_b32 s33, s32
	s_or_saveexec_b64 s[6:7], -1
	buffer_store_dword v63, off, s[0:3], s33 offset:460 ; 4-byte Folded Spill
	buffer_store_dword v62, off, s[0:3], s33 offset:464 ; 4-byte Folded Spill
	s_mov_b64 exec, s[6:7]
	v_writelane_b32 v63, s4, 34
	s_addk_i32 s32, 0x7800
	buffer_store_dword v40, off, s[0:3], s33 offset:52 ; 4-byte Folded Spill
	buffer_store_dword v41, off, s[0:3], s33 offset:48 ; 4-byte Folded Spill
	;; [unrolled: 1-line block ×13, first 2 shown]
	buffer_store_dword v61, off, s[0:3], s33 ; 4-byte Folded Spill
	v_writelane_b32 v63, s34, 0
	v_writelane_b32 v63, s35, 1
	v_writelane_b32 v63, s36, 2
	v_writelane_b32 v63, s37, 3
	v_writelane_b32 v63, s38, 4
	v_writelane_b32 v63, s39, 5
	v_writelane_b32 v63, s48, 6
	v_writelane_b32 v63, s49, 7
	v_writelane_b32 v63, s50, 8
	v_writelane_b32 v63, s51, 9
	v_writelane_b32 v63, s52, 10
	v_writelane_b32 v63, s53, 11
	v_writelane_b32 v63, s54, 12
	v_writelane_b32 v63, s55, 13
	v_writelane_b32 v63, s64, 14
	v_writelane_b32 v63, s65, 15
	v_writelane_b32 v63, s66, 16
	v_writelane_b32 v63, s67, 17
	v_writelane_b32 v63, s68, 18
	v_writelane_b32 v63, s69, 19
	v_writelane_b32 v63, s70, 20
	v_writelane_b32 v63, s71, 21
	v_writelane_b32 v63, s80, 22
	v_writelane_b32 v63, s81, 23
	v_writelane_b32 v63, s82, 24
	v_writelane_b32 v63, s83, 25
	v_writelane_b32 v63, s84, 26
	v_writelane_b32 v63, s85, 27
	v_writelane_b32 v63, s86, 28
	v_writelane_b32 v63, s87, 29
	v_writelane_b32 v63, s96, 30
	v_writelane_b32 v63, s97, 31
	v_writelane_b32 v63, s30, 32
	v_writelane_b32 v63, s31, 33
	buffer_store_dword v0, off, s[0:3], s33 offset:176 ; 4-byte Folded Spill
	s_trap 2
	flat_load_dword v5, v[2:3]
	ds_read_b32 v6, v0
                                        ; implicit-def: $vgpr7_vgpr8
	s_mov_b64 s[28:29], s[8:9]
                                        ; kill: killed $vgpr7_vgpr8
                                        ; implicit-def: $vgpr7_vgpr8
                                        ; implicit-def: $vgpr17_vgpr18
	buffer_store_dword v7, off, s[0:3], s33 offset:400 ; 4-byte Folded Spill
	s_nop 0
	buffer_store_dword v8, off, s[0:3], s33 offset:404 ; 4-byte Folded Spill
	buffer_store_dword v9, off, s[0:3], s33 offset:408 ; 4-byte Folded Spill
	;; [unrolled: 1-line block ×3, first 2 shown]
	s_waitcnt lgkmcnt(0)
	v_readfirstlane_b32 s66, v6
	s_waitcnt vmcnt(0)
	v_cmp_ne_u32_sdwa s[4:5], v6, v5 src0_sel:DWORD src1_sel:BYTE_0
	s_and_saveexec_b64 s[6:7], s[4:5]
	s_xor_b64 s[4:5], exec, s[6:7]
	s_cbranch_execz .LBB4_6
; %bb.1:
                                        ; implicit-def: $vgpr7_vgpr8
	v_not_b32_sdwa v4, v5 dst_sel:DWORD dst_unused:UNUSED_PAD src0_sel:BYTE_0
	v_cmp_ne_u32_sdwa s[6:7], v6, v5 src0_sel:DWORD src1_sel:BYTE_1
                                        ; kill: killed $vgpr7_vgpr8
                                        ; implicit-def: $vgpr7_vgpr8
                                        ; implicit-def: $vgpr17_vgpr18
	buffer_store_dword v7, off, s[0:3], s33 offset:400 ; 4-byte Folded Spill
	s_nop 0
	buffer_store_dword v8, off, s[0:3], s33 offset:404 ; 4-byte Folded Spill
	buffer_store_dword v9, off, s[0:3], s33 offset:408 ; 4-byte Folded Spill
	;; [unrolled: 1-line block ×3, first 2 shown]
	s_and_saveexec_b64 s[8:9], s[6:7]
	s_xor_b64 s[6:7], exec, s[8:9]
	s_cbranch_execz .LBB4_3
; %bb.2:
	flat_load_dwordx4 v[7:10], v[2:3] offset:72
	flat_load_dwordx2 v[11:12], v[2:3] offset:96
	v_add_u32_e32 v4, v6, v4
	v_ashrrev_i32_e32 v5, 31, v4
	s_waitcnt vmcnt(0) lgkmcnt(0)
	v_mul_lo_u32 v5, v9, v5
	v_mad_u64_u32 v[6:7], s[8:9], v9, v4, v[7:8]
	v_mul_lo_u32 v4, v10, v4
	v_lshrrev_b64 v[17:18], 12, v[11:12]
	v_add3_u32 v7, v4, v7, v5
	buffer_store_dword v6, off, s[0:3], s33 offset:416 ; 4-byte Folded Spill
	s_nop 0
	buffer_store_dword v7, off, s[0:3], s33 offset:420 ; 4-byte Folded Spill
	v_mov_b32_e32 v4, v9
	v_mov_b32_e32 v5, v10
	buffer_store_dword v4, off, s[0:3], s33 offset:400 ; 4-byte Folded Spill
	s_nop 0
	buffer_store_dword v5, off, s[0:3], s33 offset:404 ; 4-byte Folded Spill
	buffer_store_dword v6, off, s[0:3], s33 offset:408 ; 4-byte Folded Spill
	;; [unrolled: 1-line block ×3, first 2 shown]
                                        ; implicit-def: $vgpr5
                                        ; implicit-def: $vgpr4
.LBB4_3:
	s_andn2_saveexec_b64 s[6:7], s[6:7]
	s_cbranch_execz .LBB4_5
; %bb.4:
	flat_load_dwordx4 v[6:9], v[2:3] offset:72
	flat_load_dwordx4 v[10:13], v[2:3] offset:88
	v_add_u32_sdwa v0, v5, v4 dst_sel:DWORD dst_unused:UNUSED_PAD src0_sel:BYTE_1 src1_sel:DWORD
	v_ashrrev_i32_e32 v4, 31, v0
	s_waitcnt vmcnt(0) lgkmcnt(0)
	v_mul_lo_u32 v4, v8, v4
	v_mad_u64_u32 v[5:6], s[8:9], v8, v0, v[6:7]
	v_mul_lo_u32 v0, v9, v0
	v_lshrrev_b32_e32 v17, 1, v13
	v_add3_u32 v6, v0, v6, v4
	buffer_store_dword v5, off, s[0:3], s33 offset:416 ; 4-byte Folded Spill
	s_nop 0
	buffer_store_dword v6, off, s[0:3], s33 offset:420 ; 4-byte Folded Spill
	v_mov_b32_e32 v4, v10
	v_mov_b32_e32 v5, v11
	buffer_store_dword v4, off, s[0:3], s33 offset:400 ; 4-byte Folded Spill
	s_nop 0
	buffer_store_dword v5, off, s[0:3], s33 offset:404 ; 4-byte Folded Spill
	buffer_store_dword v6, off, s[0:3], s33 offset:408 ; 4-byte Folded Spill
	;; [unrolled: 1-line block ×3, first 2 shown]
.LBB4_5:
	s_or_b64 exec, exec, s[6:7]
.LBB4_6:
	s_andn2_saveexec_b64 s[4:5], s[4:5]
	s_cbranch_execz .LBB4_8
; %bb.7:
	flat_load_dwordx2 v[4:5], v[2:3] offset:96
	flat_load_dwordx2 v[6:7], v[2:3] offset:72
	s_waitcnt vmcnt(0) lgkmcnt(0)
	buffer_store_dword v6, off, s[0:3], s33 offset:400 ; 4-byte Folded Spill
	s_nop 0
	buffer_store_dword v7, off, s[0:3], s33 offset:404 ; 4-byte Folded Spill
	buffer_store_dword v8, off, s[0:3], s33 offset:408 ; 4-byte Folded Spill
	;; [unrolled: 1-line block ×3, first 2 shown]
	v_lshlrev_b64 v[17:18], 9, v[4:5]
	v_mov_b32_e32 v4, 0
	v_mov_b32_e32 v5, 0
	buffer_store_dword v4, off, s[0:3], s33 offset:416 ; 4-byte Folded Spill
	s_nop 0
	buffer_store_dword v5, off, s[0:3], s33 offset:420 ; 4-byte Folded Spill
.LBB4_8:
	s_or_b64 exec, exec, s[4:5]
	s_trap 2
	ds_read_b64 v[4:5], v0
	s_waitcnt lgkmcnt(0)
	v_cmp_ne_u32_e32 vcc, -1, v4
	v_cndmask_b32_e64 v18, 0, 1, vcc
	v_cmp_ne_u32_e32 vcc, -1, v5
	v_addc_co_u32_e64 v6, s[4:5], 0, v18, vcc
	v_lshlrev_b32_e32 v4, 1, v6
	v_cmp_le_u32_e64 s[4:5], v4, v1
	s_and_saveexec_b64 s[6:7], s[4:5]
	s_xor_b64 s[6:7], exec, s[6:7]
                                        ; implicit-def: $vgpr62 : SGPR spill to VGPR lane
	v_writelane_b32 v62, s6, 0
	v_writelane_b32 v62, s7, 1
	s_cbranch_execnz .LBB4_9
; %bb.16937:
	s_getpc_b64 s[98:99]
.Lpost_getpc14:
	s_add_u32 s98, s98, (.LBB4_16928-.Lpost_getpc14)&4294967295
	s_addc_u32 s99, s99, (.LBB4_16928-.Lpost_getpc14)>>32
	s_setpc_b64 s[98:99]
.LBB4_9:
	flat_load_dwordx4 v[10:13], v[2:3] offset:16
	flat_load_dwordx2 v[4:5], v[2:3] offset:104
	flat_load_ushort v8, v[2:3] offset:8
	flat_load_dword v7, v[2:3] offset:4
	s_trap 2
	s_load_dword s4, s[28:29], 0x0
	v_mov_b32_e32 v9, 0
	s_waitcnt lgkmcnt(0)
	s_cmp_lt_u32 s12, s4
	s_cselect_b32 s4, 12, 18
	s_add_u32 s4, s28, s4
	s_addc_u32 s5, s29, 0
	global_load_ushort v19, v9, s[4:5]
	ds_read_b32 v9, v0
	buffer_load_dword v0, off, s[0:3], s33 offset:176 ; 4-byte Folded Reload
	s_waitcnt lgkmcnt(0)
	v_readfirstlane_b32 s8, v9
	s_waitcnt vmcnt(0)
	v_cmp_ge_u32_e64 s[4:5], v0, v18
	v_mov_b32_e32 v0, 4
	s_and_saveexec_b64 s[6:7], s[4:5]
	s_cbranch_execz .LBB4_19
; %bb.10:
	buffer_load_dword v0, off, s[0:3], s33 offset:176 ; 4-byte Folded Reload
	s_waitcnt vmcnt(0)
	v_cmp_ge_u32_e64 s[4:5], v0, v6
                                        ; implicit-def: $vgpr0
	s_and_saveexec_b64 s[10:11], s[4:5]
	s_xor_b64 s[4:5], exec, s[10:11]
	s_cbranch_execz .LBB4_16
; %bb.11:
	buffer_load_dword v0, off, s[0:3], s33 offset:176 ; 4-byte Folded Reload
	v_cndmask_b32_e64 v9, 0, 1, vcc
	v_sub_u32_e32 v9, v1, v9
	s_waitcnt vmcnt(0)
	v_cmp_ge_u32_e32 vcc, v0, v9
	s_and_saveexec_b64 s[10:11], vcc
	s_xor_b64 s[10:11], exec, s[10:11]
; %bb.12:
                                        ; implicit-def: $vgpr6
; %bb.13:
	s_or_saveexec_b64 s[10:11], s[10:11]
	v_mov_b32_e32 v0, 16
	s_xor_b64 exec, exec, s[10:11]
	s_cbranch_execz .LBB4_15
; %bb.14:
	buffer_load_dword v0, off, s[0:3], s33 offset:176 ; 4-byte Folded Reload
	v_sub_u32_e32 v6, v1, v6
	s_waitcnt vmcnt(0)
	v_cmp_lt_i32_e32 vcc, v0, v6
	v_cndmask_b32_e64 v0, 32, 0, vcc
.LBB4_15:
	s_or_b64 exec, exec, s[10:11]
.LBB4_16:
	s_andn2_saveexec_b64 s[4:5], s[4:5]
; %bb.17:
	v_mov_b32_e32 v0, 8
; %bb.18:
	s_or_b64 exec, exec, s[4:5]
.LBB4_19:
	s_or_b64 exec, exec, s[6:7]
	v_and_b32_e32 v6, 36, v0
	v_cmp_ne_u32_e32 vcc, 0, v6
	v_mov_b32_e32 v6, -1
	buffer_store_dword v0, off, s[0:3], s33 offset:72 ; 4-byte Folded Spill
	s_and_saveexec_b64 s[4:5], vcc
	s_cbranch_execz .LBB4_21
; %bb.20:
	s_trap 2
	ds_read_b32 v6, v0
.LBB4_21:
	s_or_b64 exec, exec, s[4:5]
	buffer_load_dword v0, off, s[0:3], s33 offset:72 ; 4-byte Folded Reload
	s_waitcnt vmcnt(0)
	v_and_b32_e32 v9, 24, v0
	v_cmp_ne_u32_e64 s[4:5], 0, v9
	s_and_saveexec_b64 s[6:7], s[4:5]
	s_cbranch_execz .LBB4_23
; %bb.22:
	s_trap 2
	s_waitcnt lgkmcnt(0)
	ds_read_b32 v6, v0
.LBB4_23:
	s_or_b64 exec, exec, s[6:7]
	v_lshrrev_b64 v[7:8], 31, v[7:8]
	v_mov_b32_e32 v8, 0
	v_mov_b32_e32 v9, 0
	buffer_store_dword v8, off, s[0:3], s33 offset:432 ; 4-byte Folded Spill
	s_nop 0
	buffer_store_dword v9, off, s[0:3], s33 offset:436 ; 4-byte Folded Spill
	v_mov_b32_e32 v8, 0
	v_mov_b32_e32 v9, 0
	buffer_store_dword v8, off, s[0:3], s33 offset:124 ; 4-byte Folded Spill
	s_nop 0
	buffer_store_dword v9, off, s[0:3], s33 offset:128 ; 4-byte Folded Spill
	buffer_store_dword v10, off, s[0:3], s33 offset:132 ; 4-byte Folded Spill
	buffer_store_dword v11, off, s[0:3], s33 offset:136 ; 4-byte Folded Spill
	v_and_b32_e32 v9, 3, v7
                                        ; implicit-def: $vgpr7_vgpr8
                                        ; kill: killed $vgpr7_vgpr8
                                        ; implicit-def: $vgpr7_vgpr8
                                        ; kill: killed $vgpr7_vgpr8
	;; [unrolled: 2-line block ×3, first 2 shown]
                                        ; implicit-def: $vgpr7_vgpr8
                                        ; implicit-def: $vgpr0
                                        ; kill: killed $vgpr0
                                        ; kill: killed $vgpr7_vgpr8
                                        ; implicit-def: $vgpr7_vgpr8
                                        ; kill: killed $vgpr7_vgpr8
	s_and_saveexec_b64 s[4:5], vcc
	s_cbranch_execz .LBB4_33
; %bb.24:
	s_trap 2
	ds_read_b64 v[14:15], v0
	s_waitcnt lgkmcnt(1)
	v_ashrrev_i32_e32 v7, 31, v6
	v_lshlrev_b64 v[7:8], 3, v[6:7]
	s_movk_i32 s6, 0xa8
	s_waitcnt lgkmcnt(0)
	v_add_co_u32_e32 v7, vcc, v14, v7
	v_addc_co_u32_e32 v8, vcc, v15, v8, vcc
	flat_load_dwordx2 v[7:8], v[7:8]
	v_and_b32_e32 v14, 0xffff, v9
	s_waitcnt vmcnt(0) lgkmcnt(0)
	v_mad_u64_u32 v[7:8], s[6:7], v14, s6, v[7:8]
	flat_load_dword v14, v[7:8] offset:640
	s_waitcnt vmcnt(0) lgkmcnt(0)
	v_cmp_eq_u32_e32 vcc, 1, v14
                                        ; implicit-def: $vgpr14_vgpr15
                                        ; kill: killed $vgpr14_vgpr15
	s_and_saveexec_b64 s[6:7], vcc
	s_cbranch_execz .LBB4_26
; %bb.25:
	flat_load_dwordx2 v[20:21], v[7:8] offset:648
	s_waitcnt vmcnt(0) lgkmcnt(0)
	flat_load_dwordx2 v[14:15], v[20:21]
	s_trap 2
	s_waitcnt vmcnt(0) lgkmcnt(0)
	ds_write_b64 v0, v[14:15]
	flat_load_dwordx2 v[14:15], v[20:21] offset:8
	s_waitcnt vmcnt(0) lgkmcnt(0)
	ds_write_b64 v0, v[14:15]
	buffer_store_dword v20, off, s[0:3], s33 offset:452 ; 4-byte Folded Spill
	s_nop 0
	buffer_store_dword v21, off, s[0:3], s33 offset:456 ; 4-byte Folded Spill
	flat_load_dwordx2 v[14:15], v[20:21] offset:16
	s_waitcnt vmcnt(0) lgkmcnt(0)
	ds_write_b64 v0, v[14:15]
	buffer_load_dword v0, off, s[0:3], s33 offset:72 ; 4-byte Folded Reload
	s_waitcnt vmcnt(0)
	v_or_b32_e32 v0, 0x2000, v0
	buffer_store_dword v0, off, s[0:3], s33 offset:72 ; 4-byte Folded Spill
.LBB4_26:
	s_or_b64 exec, exec, s[6:7]
	flat_load_dwordx2 v[14:15], v[7:8] offset:608
	buffer_load_dword v0, off, s[0:3], s33 offset:72 ; 4-byte Folded Reload
	s_waitcnt vmcnt(0) lgkmcnt(0)
	v_add_co_u32_e32 v14, vcc, 3, v14
	v_and_b32_e32 v16, 32, v0
	v_addc_co_u32_e32 v15, vcc, 0, v15, vcc
	v_and_b32_e32 v14, -4, v14
	buffer_store_dword v14, off, s[0:3], s33 offset:84 ; 4-byte Folded Spill
	s_nop 0
	buffer_store_dword v15, off, s[0:3], s33 offset:88 ; 4-byte Folded Spill
	v_cmp_ne_u32_e32 vcc, 0, v16
                                        ; implicit-def: $vgpr14_vgpr15
                                        ; kill: killed $vgpr14_vgpr15
	s_and_saveexec_b64 s[6:7], vcc
	s_cbranch_execz .LBB4_28
; %bb.27:
	flat_load_dwordx2 v[14:15], v[7:8] offset:560
	s_waitcnt vmcnt(0) lgkmcnt(0)
	buffer_store_dword v14, off, s[0:3], s33 offset:64 ; 4-byte Folded Spill
	s_nop 0
	buffer_store_dword v15, off, s[0:3], s33 offset:68 ; 4-byte Folded Spill
	buffer_load_dword v20, off, s[0:3], s33 offset:84 ; 4-byte Folded Reload
	buffer_load_dword v21, off, s[0:3], s33 offset:88 ; 4-byte Folded Reload
	s_waitcnt vmcnt(0)
	flat_store_dwordx2 v[14:15], v[20:21]
.LBB4_28:
	s_or_b64 exec, exec, s[6:7]
	v_add_co_u32_e32 v14, vcc, 0x1f8, v7
	v_addc_co_u32_e32 v15, vcc, 0, v8, vcc
	buffer_store_dword v14, off, s[0:3], s33 offset:432 ; 4-byte Folded Spill
	s_nop 0
	buffer_store_dword v15, off, s[0:3], s33 offset:436 ; 4-byte Folded Spill
	buffer_load_dword v0, off, s[0:3], s33 offset:72 ; 4-byte Folded Reload
	v_mov_b32_e32 v15, 0
	v_mov_b32_e32 v16, 0
	buffer_store_dword v15, off, s[0:3], s33 offset:124 ; 4-byte Folded Spill
	s_nop 0
	buffer_store_dword v16, off, s[0:3], s33 offset:128 ; 4-byte Folded Spill
	buffer_store_dword v17, off, s[0:3], s33 offset:132 ; 4-byte Folded Spill
	;; [unrolled: 1-line block ×3, first 2 shown]
	s_waitcnt vmcnt(0)
	v_and_b32_e32 v14, 4, v0
	v_cmp_ne_u32_e32 vcc, 0, v14
                                        ; implicit-def: $vgpr14_vgpr15
                                        ; implicit-def: $vgpr0
                                        ; kill: killed $vgpr0
                                        ; kill: killed $vgpr14_vgpr15
                                        ; implicit-def: $vgpr14_vgpr15
                                        ; kill: killed $vgpr14_vgpr15
	s_and_saveexec_b64 s[6:7], vcc
	s_cbranch_execz .LBB4_32
; %bb.29:
	buffer_load_dword v0, off, s[0:3], s33 offset:72 ; 4-byte Folded Reload
	s_waitcnt vmcnt(0)
	v_and_b32_e32 v14, 0x800, v0
	v_cmp_eq_u32_e32 vcc, 0, v14
	s_and_saveexec_b64 s[10:11], vcc
	s_cbranch_execz .LBB4_31
; %bb.30:
	s_trap 2
	buffer_load_dword v14, off, s[0:3], s33 offset:432 ; 4-byte Folded Reload
	buffer_load_dword v15, off, s[0:3], s33 offset:436 ; 4-byte Folded Reload
	s_waitcnt vmcnt(0)
	ds_write_b64 v0, v[14:15]
.LBB4_31:
	s_or_b64 exec, exec, s[10:11]
	flat_load_dwordx2 v[14:15], v[7:8] offset:552
	s_waitcnt vmcnt(0) lgkmcnt(0)
	buffer_store_dword v14, off, s[0:3], s33 offset:64 ; 4-byte Folded Spill
	s_nop 0
	buffer_store_dword v15, off, s[0:3], s33 offset:68 ; 4-byte Folded Spill
	flat_load_dwordx2 v[14:15], v[14:15] glc
	s_waitcnt vmcnt(0) lgkmcnt(0)
	buffer_store_dword v14, off, s[0:3], s33 offset:56 ; 4-byte Folded Spill
	s_nop 0
	buffer_store_dword v15, off, s[0:3], s33 offset:60 ; 4-byte Folded Spill
	flat_load_dwordx2 v[20:21], v[7:8] offset:600
	flat_load_dword v0, v[7:8] offset:576
	s_waitcnt vmcnt(0) lgkmcnt(0)
	v_cmp_eq_u64_e32 vcc, 0, v[20:21]
	flat_load_dwordx2 v[7:8], v[7:8] offset:520
	v_mov_b32_e32 v14, v20
	buffer_store_dword v0, off, s[0:3], s33 offset:152 ; 4-byte Folded Spill
	s_waitcnt vmcnt(0) lgkmcnt(0)
	buffer_store_dword v7, off, s[0:3], s33 offset:116 ; 4-byte Folded Spill
	s_nop 0
	buffer_store_dword v8, off, s[0:3], s33 offset:120 ; 4-byte Folded Spill
	buffer_load_dword v0, off, s[0:3], s33 offset:72 ; 4-byte Folded Reload
	v_mov_b32_e32 v15, v21
	buffer_store_dword v14, off, s[0:3], s33 offset:124 ; 4-byte Folded Spill
	s_nop 0
	buffer_store_dword v15, off, s[0:3], s33 offset:128 ; 4-byte Folded Spill
	buffer_store_dword v16, off, s[0:3], s33 offset:132 ; 4-byte Folded Spill
	;; [unrolled: 1-line block ×3, first 2 shown]
	s_waitcnt vmcnt(4)
	v_or_b32_e32 v7, 0x100, v0
	v_cndmask_b32_e32 v0, v7, v0, vcc
	buffer_store_dword v0, off, s[0:3], s33 offset:72 ; 4-byte Folded Spill
.LBB4_32:
	s_or_b64 exec, exec, s[6:7]
.LBB4_33:
	s_or_b64 exec, exec, s[4:5]
	buffer_load_dword v0, off, s[0:3], s33 offset:72 ; 4-byte Folded Reload
	s_waitcnt vmcnt(0)
	v_and_b32_e32 v7, 24, v0
	v_cmp_ne_u32_e32 vcc, 0, v7
                                        ; implicit-def: $vgpr7_vgpr8
                                        ; kill: killed $vgpr7_vgpr8
	s_and_saveexec_b64 s[4:5], vcc
	s_cbranch_execz .LBB4_41
; %bb.34:
	s_trap 2
	ds_read_b64 v[14:15], v0
	s_waitcnt lgkmcnt(0)
	v_ashrrev_i32_e32 v7, 31, v6
	v_lshlrev_b64 v[6:7], 3, v[6:7]
	v_and_b32_e32 v8, 0xffff, v9
	s_movk_i32 s6, 0xa8
	v_add_co_u32_e32 v6, vcc, v14, v6
	v_addc_co_u32_e32 v7, vcc, v15, v7, vcc
	flat_load_dwordx2 v[6:7], v[6:7]
	s_waitcnt vmcnt(0) lgkmcnt(0)
	v_mad_u64_u32 v[6:7], s[6:7], v8, s6, v[6:7]
	buffer_store_dword v6, off, s[0:3], s33 offset:432 ; 4-byte Folded Spill
	s_nop 0
	buffer_store_dword v7, off, s[0:3], s33 offset:436 ; 4-byte Folded Spill
	buffer_load_dword v0, off, s[0:3], s33 offset:72 ; 4-byte Folded Reload
	flat_load_dwordx4 v[20:23], v[6:7] offset:96
	s_waitcnt vmcnt(0) lgkmcnt(0)
	buffer_store_dword v20, off, s[0:3], s33 offset:124 ; 4-byte Folded Spill
	s_nop 0
	buffer_store_dword v21, off, s[0:3], s33 offset:128 ; 4-byte Folded Spill
	buffer_store_dword v22, off, s[0:3], s33 offset:132 ; 4-byte Folded Spill
	;; [unrolled: 1-line block ×3, first 2 shown]
	v_or_b32_e32 v6, 0x100, v0
	v_cmp_eq_u64_e32 vcc, 0, v[20:21]
	v_cndmask_b32_e32 v0, v6, v0, vcc
	v_and_b32_e32 v6, 16, v0
	v_cmp_ne_u32_e32 vcc, 0, v6
	buffer_store_dword v0, off, s[0:3], s33 offset:72 ; 4-byte Folded Spill
                                        ; implicit-def: $vgpr6_vgpr7
                                        ; kill: killed $vgpr6_vgpr7
	s_and_saveexec_b64 s[6:7], vcc
	s_cbranch_execz .LBB4_36
; %bb.35:
	buffer_load_dword v6, off, s[0:3], s33 offset:432 ; 4-byte Folded Reload
	buffer_load_dword v7, off, s[0:3], s33 offset:436 ; 4-byte Folded Reload
	s_waitcnt vmcnt(0)
	flat_load_dwordx2 v[8:9], v[6:7] offset:48
	s_waitcnt vmcnt(0) lgkmcnt(0)
	buffer_store_dword v8, off, s[0:3], s33 offset:64 ; 4-byte Folded Spill
	s_nop 0
	buffer_store_dword v9, off, s[0:3], s33 offset:68 ; 4-byte Folded Spill
	flat_load_dwordx2 v[8:9], v[6:7] offset:120
	s_waitcnt vmcnt(0) lgkmcnt(0)
	buffer_store_dword v8, off, s[0:3], s33 offset:140 ; 4-byte Folded Spill
	s_nop 0
	buffer_store_dword v9, off, s[0:3], s33 offset:144 ; 4-byte Folded Spill
	;; [unrolled: 5-line block ×3, first 2 shown]
.LBB4_36:
	s_or_b64 exec, exec, s[6:7]
	buffer_load_dword v6, off, s[0:3], s33 offset:124 ; 4-byte Folded Reload
	buffer_load_dword v7, off, s[0:3], s33 offset:128 ; 4-byte Folded Reload
	;; [unrolled: 1-line block ×4, first 2 shown]
	s_waitcnt vmcnt(1)
	v_add_co_u32_e32 v6, vcc, 3, v8
	s_waitcnt vmcnt(0)
	v_addc_co_u32_e32 v7, vcc, 0, v9, vcc
	v_and_b32_e32 v6, -4, v6
	buffer_store_dword v6, off, s[0:3], s33 offset:84 ; 4-byte Folded Spill
	s_nop 0
	buffer_store_dword v7, off, s[0:3], s33 offset:88 ; 4-byte Folded Spill
	buffer_load_dword v0, off, s[0:3], s33 offset:72 ; 4-byte Folded Reload
	s_waitcnt vmcnt(0)
	v_and_b32_e32 v6, 8, v0
	v_cmp_ne_u32_e32 vcc, 0, v6
	s_and_saveexec_b64 s[6:7], vcc
	s_cbranch_execz .LBB4_40
; %bb.37:
	buffer_load_dword v0, off, s[0:3], s33 offset:72 ; 4-byte Folded Reload
	s_waitcnt vmcnt(0)
	v_and_b32_e32 v6, 0x800, v0
	v_cmp_eq_u32_e32 vcc, 0, v6
	s_and_saveexec_b64 s[10:11], vcc
	s_cbranch_execz .LBB4_39
; %bb.38:
	s_trap 2
	buffer_load_dword v6, off, s[0:3], s33 offset:432 ; 4-byte Folded Reload
	buffer_load_dword v7, off, s[0:3], s33 offset:436 ; 4-byte Folded Reload
	s_waitcnt vmcnt(0)
	ds_write_b64 v0, v[6:7]
.LBB4_39:
	s_or_b64 exec, exec, s[10:11]
	buffer_load_dword v6, off, s[0:3], s33 offset:432 ; 4-byte Folded Reload
	buffer_load_dword v7, off, s[0:3], s33 offset:436 ; 4-byte Folded Reload
	s_waitcnt vmcnt(0)
	flat_load_dwordx2 v[8:9], v[6:7] offset:56
	s_waitcnt vmcnt(0) lgkmcnt(0)
	buffer_store_dword v8, off, s[0:3], s33 offset:64 ; 4-byte Folded Spill
	s_nop 0
	buffer_store_dword v9, off, s[0:3], s33 offset:68 ; 4-byte Folded Spill
	flat_load_dwordx2 v[8:9], v[8:9] glc
	s_waitcnt vmcnt(0) lgkmcnt(0)
	buffer_store_dword v8, off, s[0:3], s33 offset:56 ; 4-byte Folded Spill
	s_nop 0
	buffer_store_dword v9, off, s[0:3], s33 offset:60 ; 4-byte Folded Spill
	flat_load_dword v0, v[6:7] offset:72
	s_nop 0
	flat_load_dwordx2 v[6:7], v[6:7] offset:16
	s_waitcnt vmcnt(0) lgkmcnt(0)
	buffer_store_dword v0, off, s[0:3], s33 offset:152 ; 4-byte Folded Spill
	buffer_store_dword v6, off, s[0:3], s33 offset:116 ; 4-byte Folded Spill
	s_nop 0
	buffer_store_dword v7, off, s[0:3], s33 offset:120 ; 4-byte Folded Spill
.LBB4_40:
	s_or_b64 exec, exec, s[6:7]
.LBB4_41:
	s_or_b64 exec, exec, s[4:5]
	buffer_load_dword v0, off, s[0:3], s33 offset:176 ; 4-byte Folded Reload
	s_waitcnt vmcnt(0)
	v_cmp_eq_u32_e64 s[4:5], 0, v0
	s_and_saveexec_b64 s[6:7], s[4:5]
	s_cbranch_execz .LBB4_43
; %bb.42:
	s_waitcnt lgkmcnt(0)
	flat_load_dwordx2 v[6:7], v[2:3] offset:32
	v_mov_b32_e32 v8, v12
	v_mov_b32_e32 v9, v13
	ds_write2_b64 v0, v[8:9], v[10:11] offset1:1
	s_trap 2
	s_waitcnt vmcnt(0) lgkmcnt(0)
	ds_write_b64 v0, v[6:7]
	ds_write_b64 v0, v[4:5]
.LBB4_43:
	s_or_b64 exec, exec, s[6:7]
	v_mov_b32_e32 v4, 0
	v_mov_b32_e32 v5, 0
	buffer_store_dword v4, off, s[0:3], s33 offset:76 ; 4-byte Folded Spill
	s_nop 0
	buffer_store_dword v5, off, s[0:3], s33 offset:80 ; 4-byte Folded Spill
	buffer_load_dword v4, off, s[0:3], s33 offset:400 ; 4-byte Folded Reload
	s_nop 0
	buffer_load_dword v5, off, s[0:3], s33 offset:404 ; 4-byte Folded Reload
	s_waitcnt lgkmcnt(0)
	buffer_load_dword v6, off, s[0:3], s33 offset:408 ; 4-byte Folded Reload
	buffer_load_dword v7, off, s[0:3], s33 offset:412 ; 4-byte Folded Reload
	s_waitcnt vmcnt(2)
	v_cmp_lt_i64_e32 vcc, 0, v[4:5]
	s_mov_b64 s[6:7], exec
	v_writelane_b32 v62, s6, 2
	v_writelane_b32 v62, s7, 3
	s_and_b64 s[6:7], s[6:7], vcc
	s_mov_b64 exec, s[6:7]
	s_cbranch_execnz .LBB4_44
; %bb.16939:
	s_getpc_b64 s[98:99]
.Lpost_getpc15:
	s_add_u32 s98, s98, (.LBB4_16894-.Lpost_getpc15)&4294967295
	s_addc_u32 s99, s99, (.LBB4_16894-.Lpost_getpc15)>>32
	s_setpc_b64 s[98:99]
.LBB4_44:
	v_and_b32_e32 v4, 0x3ffffe00, v17
	v_mov_b32_e32 v17, 0
	v_mov_b32_e32 v5, v17
	buffer_store_dword v4, off, s[0:3], s33 offset:352 ; 4-byte Folded Spill
	s_nop 0
	buffer_store_dword v5, off, s[0:3], s33 offset:356 ; 4-byte Folded Spill
	v_writelane_b32 v62, s28, 4
	s_ashr_i32 s67, s66, 31
	v_writelane_b32 v62, s29, 5
	flat_load_dword v0, v[2:3] offset:4
	v_and_b32_e32 v2, 63, v31
	buffer_load_dword v3, off, s[0:3], s33 offset:176 ; 4-byte Folded Reload
	s_waitcnt vmcnt(0)
	v_lshrrev_b32_e32 v6, 6, v1
	v_lshlrev_b32_e32 v8, 12, v6
	buffer_store_dword v31, off, s[0:3], s33 offset:444 ; 4-byte Folded Spill
	v_cmp_eq_u32_e64 s[10:11], 64, v1
	v_cmp_ne_u32_e64 s[12:13], 64, v1
	v_cmp_ne_u32_sdwa s[58:59], v1, v19 src0_sel:DWORD src1_sel:WORD_0
	v_and_b32_e32 v9, 0x3fc0, v1
	s_mov_b32 s56, -1
	s_mov_b32 s57, 0xffffff
	s_mov_b64 s[60:61], 0
	s_movk_i32 s85, 0x7c
	s_brev_b32 s86, 1
	s_movk_i32 s87, 0xff
	s_movk_i32 s96, 0x80
	;; [unrolled: 1-line block ×3, first 2 shown]
	s_mov_b64 s[76:77], 0x7f800000
	s_mov_b64 s[78:79], 0x47600001
	s_movk_i32 s46, 0x72
	s_mov_b64 s[88:89], 0xffffff
	s_movk_i32 s47, 0x7f
	s_mov_b32 s44, 0x7c0000
	s_brev_b32 s45, 62
	s_movk_i32 s68, 0xffc0
	v_mov_b32_e32 v52, 0x7c
	v_mad_i64_i32 v[4:5], s[6:7], v4, s66, 0
	s_add_u32 s6, s66, -1
	v_writelane_b32 v62, s6, 6
	s_addc_u32 s6, s67, -1
	v_writelane_b32 v62, s6, 7
	s_add_i32 s70, s66, s66
	s_not_b32 s6, s66
	s_cmp_gt_i32 s66, 0
	s_cselect_b32 s6, s6, -1
	s_add_i32 s71, s6, s70
	s_ashr_i32 s6, s71, 31
	v_writelane_b32 v62, s6, 8
	s_ashr_i32 s6, s8, 31
	s_lshr_b32 s6, s6, 25
	s_add_i32 s8, s8, s6
	v_cmp_eq_u32_e64 s[6:7], 0, v2
	buffer_load_dword v2, off, s[0:3], s33 offset:152 ; 4-byte Folded Reload
	s_waitcnt lgkmcnt(0)
	v_and_b32_e32 v0, 1, v0
	v_cmp_ge_u32_e32 vcc, v3, v1
	v_cmp_eq_u32_e64 s[18:19], 1, v0
	v_and_b32_e32 v7, 63, v3
	v_lshrrev_b32_e32 v3, 6, v3
	s_ashr_i32 s81, s8, 7
	s_movk_i32 s8, 0x400
	s_cmp_gt_i32 s66, 2
	s_cselect_b64 s[62:63], -1, 0
	s_xor_b64 s[72:73], s[18:19], -1
	v_cmp_eq_u32_e64 s[14:15], 0, v7
	v_cmp_lt_u32_e64 s[16:17], v7, v18
	v_cmp_le_u32_e64 s[24:25], v7, v18
	s_waitcnt vmcnt(0)
	v_ashrrev_i32_e32 v2, 31, v2
	buffer_store_dword v2, off, s[0:3], s33 offset:172 ; 4-byte Folded Spill
	s_trap 2
	buffer_store_dword v19, off, s[0:3], s33 offset:448 ; 4-byte Folded Spill
	buffer_store_dword v8, off, s[0:3], s33 offset:336 ; 4-byte Folded Spill
	;; [unrolled: 1-line block ×3, first 2 shown]
	buffer_load_dword v0, off, s[0:3], s33 offset:140 ; 4-byte Folded Reload
	s_nop 0
	buffer_load_dword v1, off, s[0:3], s33 offset:144 ; 4-byte Folded Reload
	v_lshlrev_b32_e32 v2, 4, v7
	v_lshlrev_b32_e32 v8, 10, v6
	buffer_store_dword v7, off, s[0:3], s33 offset:340 ; 4-byte Folded Spill
	s_waitcnt vmcnt(1)
	v_cmp_eq_u64_e64 s[20:21], 0, v[0:1]
	v_cmp_ne_u64_e64 s[22:23], 0, v[0:1]
	v_lshl_or_b32 v0, v3, 11, v2
	buffer_store_dword v0, off, s[0:3], s33 offset:360 ; 4-byte Folded Spill
	buffer_store_dword v6, off, s[0:3], s33 offset:92 ; 4-byte Folded Spill
	v_lshlrev_b32_e32 v0, 11, v6
	buffer_store_dword v0, off, s[0:3], s33 offset:112 ; 4-byte Folded Spill
	v_add_u32_e32 v0, 0xfffffc00, v8
	v_ashrrev_i32_e32 v1, 31, v0
	buffer_store_dword v0, off, s[0:3], s33 offset:180 ; 4-byte Folded Spill
	v_add_co_u32_e64 v0, s[26:27], s8, v0
	buffer_store_dword v8, off, s[0:3], s33 offset:96 ; 4-byte Folded Spill
	buffer_store_dword v0, off, s[0:3], s33 offset:188 ; 4-byte Folded Spill
	;; [unrolled: 1-line block ×3, first 2 shown]
	v_addc_co_u32_e64 v0, s[26:27], 0, v1, s[26:27]
	buffer_store_dword v0, off, s[0:3], s33 offset:192 ; 4-byte Folded Spill
	buffer_store_dword v9, off, s[0:3], s33 offset:108 ; 4-byte Folded Spill
	v_subrev_u32_e32 v0, 64, v9
	v_ashrrev_i32_e32 v1, 31, v0
	buffer_store_dword v0, off, s[0:3], s33 offset:156 ; 4-byte Folded Spill
	v_add_co_u32_e64 v0, s[26:27], 64, v0
	buffer_store_dword v0, off, s[0:3], s33 offset:164 ; 4-byte Folded Spill
	buffer_store_dword v1, off, s[0:3], s33 offset:160 ; 4-byte Folded Spill
	v_addc_co_u32_e64 v0, s[26:27], 0, v1, s[26:27]
	buffer_store_dword v0, off, s[0:3], s33 offset:168 ; 4-byte Folded Spill
	v_lshl_or_b32 v0, v3, 12, v2
	buffer_store_dword v0, off, s[0:3], s33 offset:224 ; 4-byte Folded Spill
	v_mov_b32_e32 v0, 0
	v_mov_b32_e32 v1, 0
	buffer_store_dword v3, off, s[0:3], s33 offset:220 ; 4-byte Folded Spill
	buffer_store_dword v0, off, s[0:3], s33 offset:76 ; 4-byte Folded Spill
	s_nop 0
	buffer_store_dword v1, off, s[0:3], s33 offset:80 ; 4-byte Folded Spill
	buffer_load_dword v0, off, s[0:3], s33 offset:400 ; 4-byte Folded Reload
	s_nop 0
	buffer_load_dword v1, off, s[0:3], s33 offset:404 ; 4-byte Folded Reload
	buffer_load_dword v2, off, s[0:3], s33 offset:408 ; 4-byte Folded Reload
	;; [unrolled: 1-line block ×3, first 2 shown]
	s_add_i32 s8, s66, 1
	s_cmp_ge_i32 s8, s66
	s_cselect_b32 s9, s66, 0
	s_sub_i32 s82, s8, s9
	v_mov_b32_e32 v6, 0
	s_ashr_i32 s83, s82, 31
	s_add_i32 s84, s66, -2
	v_mov_b32_e32 v7, 0
	s_xor_b64 s[74:75], vcc, -1
	s_movk_i32 s9, 0x108
	buffer_store_dword v4, off, s[0:3], s33 offset:424 ; 4-byte Folded Spill
	s_nop 0
	buffer_store_dword v5, off, s[0:3], s33 offset:428 ; 4-byte Folded Spill
	s_branch .LBB4_47
.LBB4_45:                               ;   in Loop: Header=BB4_47 Depth=1
	s_or_b64 exec, exec, s[40:41]
.LBB4_46:                               ;   in Loop: Header=BB4_47 Depth=1
	s_or_b64 exec, exec, s[28:29]
	buffer_load_dword v4, off, s[0:3], s33 offset:424 ; 4-byte Folded Reload
	buffer_load_dword v5, off, s[0:3], s33 offset:428 ; 4-byte Folded Reload
	;; [unrolled: 1-line block ×8, first 2 shown]
	s_waitcnt vmcnt(0)
	v_add_co_u32_e32 v6, vcc, v6, v4
	v_addc_co_u32_e32 v7, vcc, v7, v5, vcc
	v_cmp_ge_i64_e32 vcc, v[6:7], v[0:1]
	s_or_b64 s[60:61], vcc, s[60:61]
	s_andn2_b64 exec, exec, s[60:61]
	s_cbranch_execnz .LBB4_47
; %bb.16941:
	s_getpc_b64 s[98:99]
.Lpost_getpc16:
	s_add_u32 s98, s98, (.LBB4_16893-.Lpost_getpc16)&4294967295
	s_addc_u32 s99, s99, (.LBB4_16893-.Lpost_getpc16)>>32
	s_setpc_b64 s[98:99]
.LBB4_47:                               ; =>This Loop Header: Depth=1
                                        ;     Child Loop BB4_57 Depth 2
                                        ;       Child Loop BB4_65 Depth 3
                                        ;       Child Loop BB4_89 Depth 3
	;; [unrolled: 1-line block ×9, first 2 shown]
                                        ;     Child Loop BB4_3009 Depth 2
                                        ;       Child Loop BB4_3015 Depth 3
                                        ;       Child Loop BB4_3039 Depth 3
                                        ;       Child Loop BB4_3063 Depth 3
                                        ;     Child Loop BB4_3081 Depth 2
                                        ;       Child Loop BB4_3084 Depth 3
                                        ;         Child Loop BB4_3092 Depth 4
                                        ;         Child Loop BB4_3120 Depth 4
	;; [unrolled: 1-line block ×9, first 2 shown]
                                        ;       Child Loop BB4_7520 Depth 3
                                        ;         Child Loop BB4_7526 Depth 4
                                        ;         Child Loop BB4_7554 Depth 4
	;; [unrolled: 1-line block ×3, first 2 shown]
                                        ;     Child Loop BB4_7595 Depth 2
                                        ;       Child Loop BB4_7603 Depth 3
                                        ;       Child Loop BB4_7631 Depth 3
	;; [unrolled: 1-line block ×9, first 2 shown]
                                        ;         Child Loop BB4_10720 Depth 4
                                        ;       Child Loop BB4_10749 Depth 3
                                        ;       Child Loop BB4_11910 Depth 3
                                        ;         Child Loop BB4_11989 Depth 4
                                        ;       Child Loop BB4_16318 Depth 3
                                        ;       Child Loop BB4_16337 Depth 3
                                        ;     Child Loop BB4_16355 Depth 2
                                        ;       Child Loop BB4_16361 Depth 3
                                        ;       Child Loop BB4_16389 Depth 3
	;; [unrolled: 1-line block ×3, first 2 shown]
                                        ;     Child Loop BB4_16431 Depth 2
                                        ;       Child Loop BB4_16434 Depth 3
                                        ;         Child Loop BB4_16442 Depth 4
                                        ;         Child Loop BB4_16470 Depth 4
	;; [unrolled: 1-line block ×9, first 2 shown]
                                        ;           Child Loop BB4_16524 Depth 5
                                        ;         Child Loop BB4_16531 Depth 4
                                        ;         Child Loop BB4_16536 Depth 4
                                        ;           Child Loop BB4_16537 Depth 5
                                        ;         Child Loop BB4_16573 Depth 4
                                        ;         Child Loop BB4_16592 Depth 4
                                        ;       Child Loop BB4_16610 Depth 3
                                        ;         Child Loop BB4_16616 Depth 4
                                        ;         Child Loop BB4_16644 Depth 4
	;; [unrolled: 1-line block ×3, first 2 shown]
                                        ;     Child Loop BB4_16689 Depth 2
                                        ;       Child Loop BB4_16697 Depth 3
                                        ;       Child Loop BB4_16721 Depth 3
	;; [unrolled: 1-line block ×9, first 2 shown]
                                        ;     Child Loop BB4_16827 Depth 2
                                        ;       Child Loop BB4_16833 Depth 3
                                        ;       Child Loop BB4_16857 Depth 3
	;; [unrolled: 1-line block ×3, first 2 shown]
	s_waitcnt vmcnt(0)
	v_sub_co_u32_e32 v0, vcc, v0, v6
	buffer_store_dword v6, off, s[0:3], s33 offset:364 ; 4-byte Folded Spill
	s_nop 0
	buffer_store_dword v7, off, s[0:3], s33 offset:368 ; 4-byte Folded Spill
	s_waitcnt vmcnt(6)
	v_subb_co_u32_e32 v1, vcc, v1, v7, vcc
	buffer_store_dword v0, off, s[0:3], s33 offset:344 ; 4-byte Folded Spill
	s_nop 0
	buffer_store_dword v1, off, s[0:3], s33 offset:348 ; 4-byte Folded Spill
	v_cmp_lt_i64_e32 vcc, v[0:1], v[4:5]
	s_and_saveexec_b64 s[28:29], vcc
	s_cbranch_execz .LBB4_53
; %bb.48:                               ;   in Loop: Header=BB4_47 Depth=1
	buffer_load_dword v2, off, s[0:3], s33 offset:344 ; 4-byte Folded Reload
	buffer_load_dword v3, off, s[0:3], s33 offset:348 ; 4-byte Folded Reload
	v_readlane_b32 s8, v62, 7
	v_mov_b32_e32 v0, s8
	v_readlane_b32 s8, v62, 6
	s_waitcnt vmcnt(0)
	v_add_co_u32_e32 v2, vcc, s8, v2
	s_waitcnt vmcnt(0)
	v_addc_co_u32_e32 v3, vcc, v0, v3, vcc
	v_or_b32_e32 v1, s67, v3
	v_mov_b32_e32 v0, v17
	v_cmp_ne_u64_e32 vcc, 0, v[0:1]
                                        ; implicit-def: $vgpr0_vgpr1
	s_and_saveexec_b64 s[26:27], vcc
	s_xor_b64 s[40:41], exec, s[26:27]
	s_cbranch_execz .LBB4_50
; %bb.49:                               ;   in Loop: Header=BB4_47 Depth=1
	s_ashr_i32 s42, s67, 31
	s_add_u32 s26, s66, s42
	s_mov_b32 s43, s42
	s_addc_u32 s27, s67, s42
	s_xor_b64 s[90:91], s[26:27], s[42:43]
	v_cvt_f32_u32_e32 v0, s90
	v_cvt_f32_u32_e32 v1, s91
	s_sub_u32 s8, 0, s90
	s_subb_u32 s43, 0, s91
	v_ashrrev_i32_e32 v4, 31, v3
	v_mac_f32_e32 v0, 0x4f800000, v1
	v_rcp_f32_e32 v0, v0
	v_mul_f32_e32 v0, 0x5f7ffffc, v0
	v_mul_f32_e32 v1, 0x2f800000, v0
	v_trunc_f32_e32 v1, v1
	v_mac_f32_e32 v0, 0xcf800000, v1
	v_cvt_u32_f32_e32 v1, v1
	v_cvt_u32_f32_e32 v0, v0
	v_readfirstlane_b32 s92, v1
	v_readfirstlane_b32 s26, v0
	s_mul_i32 s27, s8, s92
	s_mul_hi_u32 s94, s8, s26
	s_mul_i32 s93, s43, s26
	s_add_i32 s27, s94, s27
	s_add_i32 s27, s27, s93
	s_mul_i32 s95, s8, s26
	s_mul_i32 s94, s26, s27
	s_mul_hi_u32 vcc_lo, s26, s95
	s_mul_hi_u32 s93, s26, s27
	s_add_u32 s94, vcc_lo, s94
	s_addc_u32 s93, 0, s93
	s_mul_hi_u32 vcc_hi, s92, s95
	s_mul_i32 s95, s92, s95
	s_add_u32 s94, s94, s95
	s_mul_hi_u32 vcc_lo, s92, s27
	s_addc_u32 s93, s93, vcc_hi
	s_addc_u32 s94, vcc_lo, 0
	s_mul_i32 s27, s92, s27
	s_add_u32 s27, s93, s27
	s_addc_u32 s93, 0, s94
	s_add_u32 s94, s26, s27
	s_cselect_b64 s[26:27], -1, 0
	s_cmp_lg_u64 s[26:27], 0
	s_addc_u32 s92, s92, s93
	s_mul_i32 s26, s8, s92
	s_mul_hi_u32 s27, s8, s94
	s_add_i32 s26, s27, s26
	s_mul_i32 s43, s43, s94
	s_add_i32 s26, s26, s43
	s_mul_i32 s8, s8, s94
	s_mul_hi_u32 s43, s92, s8
	s_mul_i32 s93, s92, s8
	s_mul_i32 vcc_lo, s94, s26
	s_mul_hi_u32 s8, s94, s8
	s_mul_hi_u32 s95, s94, s26
	s_add_u32 s8, s8, vcc_lo
	s_addc_u32 s95, 0, s95
	s_add_u32 s8, s8, s93
	s_mul_hi_u32 s27, s92, s26
	s_addc_u32 s8, s95, s43
	s_addc_u32 s27, s27, 0
	s_mul_i32 s26, s92, s26
	s_add_u32 s8, s8, s26
	s_addc_u32 s43, 0, s27
	s_add_u32 s8, s94, s8
	s_cselect_b64 s[26:27], -1, 0
	s_cmp_lg_u64 s[26:27], 0
	v_add_co_u32_e32 v0, vcc, v2, v4
	s_addc_u32 s43, s92, s43
	v_xor_b32_e32 v5, v0, v4
	v_addc_co_u32_e32 v2, vcc, v3, v4, vcc
	v_mad_u64_u32 v[0:1], s[26:27], v5, s43, 0
	v_mul_hi_u32 v3, v5, s8
	v_xor_b32_e32 v6, v2, v4
	v_add_co_u32_e32 v7, vcc, v3, v0
	v_addc_co_u32_e32 v8, vcc, 0, v1, vcc
	v_mad_u64_u32 v[0:1], s[26:27], v6, s8, 0
	v_mad_u64_u32 v[2:3], s[26:27], v6, s43, 0
	v_add_co_u32_e32 v0, vcc, v7, v0
	v_addc_co_u32_e32 v0, vcc, v8, v1, vcc
	v_addc_co_u32_e32 v1, vcc, 0, v3, vcc
	v_add_co_u32_e32 v2, vcc, v0, v2
	v_addc_co_u32_e32 v3, vcc, 0, v1, vcc
	v_mul_lo_u32 v7, s91, v2
	v_mul_lo_u32 v8, s90, v3
	v_mad_u64_u32 v[0:1], s[26:27], s90, v2, 0
	v_add3_u32 v1, v1, v8, v7
	v_sub_u32_e32 v7, v6, v1
	v_mov_b32_e32 v8, s91
	v_sub_co_u32_e32 v0, vcc, v5, v0
	v_subb_co_u32_e64 v5, s[26:27], v7, v8, vcc
	v_subrev_co_u32_e64 v7, s[26:27], s90, v0
	v_subbrev_co_u32_e64 v5, s[26:27], 0, v5, s[26:27]
	v_cmp_le_u32_e64 s[26:27], s91, v5
	v_cndmask_b32_e64 v8, 0, -1, s[26:27]
	v_cmp_le_u32_e64 s[26:27], s90, v7
	v_cndmask_b32_e64 v7, 0, -1, s[26:27]
	v_cmp_eq_u32_e64 s[26:27], s91, v5
	v_cndmask_b32_e64 v5, v8, v7, s[26:27]
	v_add_co_u32_e64 v7, s[26:27], 2, v2
	v_subb_co_u32_e32 v1, vcc, v6, v1, vcc
	v_addc_co_u32_e64 v8, s[26:27], 0, v3, s[26:27]
	v_cmp_le_u32_e32 vcc, s91, v1
	v_add_co_u32_e64 v9, s[26:27], 1, v2
	v_cndmask_b32_e64 v6, 0, -1, vcc
	v_cmp_le_u32_e32 vcc, s90, v0
	v_addc_co_u32_e64 v10, s[26:27], 0, v3, s[26:27]
	v_cndmask_b32_e64 v0, 0, -1, vcc
	v_cmp_eq_u32_e32 vcc, s91, v1
	v_cmp_ne_u32_e64 s[26:27], 0, v5
	v_cndmask_b32_e32 v0, v6, v0, vcc
	v_cndmask_b32_e64 v5, v10, v8, s[26:27]
	v_cmp_ne_u32_e32 vcc, 0, v0
	v_cndmask_b32_e64 v1, v9, v7, s[26:27]
	v_cndmask_b32_e32 v0, v3, v5, vcc
	v_cndmask_b32_e32 v1, v2, v1, vcc
	v_xor_b32_e32 v2, s42, v4
	v_xor_b32_e32 v3, v0, v2
	;; [unrolled: 1-line block ×3, first 2 shown]
	v_sub_co_u32_e32 v0, vcc, v0, v2
	v_subb_co_u32_e32 v1, vcc, v3, v2, vcc
                                        ; implicit-def: $vgpr2
.LBB4_50:                               ;   in Loop: Header=BB4_47 Depth=1
	s_andn2_saveexec_b64 s[40:41], s[40:41]
	s_cbranch_execz .LBB4_52
; %bb.51:                               ;   in Loop: Header=BB4_47 Depth=1
	v_cvt_f32_u32_e32 v0, s66
	s_sub_i32 s8, 0, s66
	v_rcp_iflag_f32_e32 v0, v0
	v_mul_f32_e32 v0, 0x4f7ffffe, v0
	v_cvt_u32_f32_e32 v0, v0
	v_mul_lo_u32 v1, s8, v0
	v_mul_hi_u32 v1, v0, v1
	v_add_u32_e32 v0, v0, v1
	v_mul_hi_u32 v0, v2, v0
	v_mul_lo_u32 v1, v0, s66
	v_sub_u32_e32 v1, v2, v1
	v_cmp_le_u32_e32 vcc, s66, v1
	v_subrev_u32_e32 v2, s66, v1
	v_cndmask_b32_e32 v1, v1, v2, vcc
	v_cmp_le_u32_e64 s[26:27], s66, v1
	v_add_u32_e32 v1, 1, v0
	v_cndmask_b32_e32 v0, v0, v1, vcc
	v_add_u32_e32 v1, 1, v0
	v_cndmask_b32_e64 v0, v0, v1, s[26:27]
	v_mov_b32_e32 v1, v17
.LBB4_52:                               ;   in Loop: Header=BB4_47 Depth=1
	s_or_b64 exec, exec, s[40:41]
	v_add_co_u32_e32 v0, vcc, 15, v0
	v_addc_co_u32_e32 v1, vcc, 0, v1, vcc
	v_and_b32_e32 v0, -16, v0
	buffer_store_dword v0, off, s[0:3], s33 offset:352 ; 4-byte Folded Spill
	s_nop 0
	buffer_store_dword v1, off, s[0:3], s33 offset:356 ; 4-byte Folded Spill
.LBB4_53:                               ;   in Loop: Header=BB4_47 Depth=1
	s_or_b64 exec, exec, s[28:29]
	buffer_load_dword v4, off, s[0:3], s33 offset:352 ; 4-byte Folded Reload
	buffer_load_dword v5, off, s[0:3], s33 offset:356 ; 4-byte Folded Reload
	v_readlane_b32 s8, v62, 8
	v_mov_b32_e32 v18, 0
	s_waitcnt vmcnt(0)
	v_mul_lo_u32 v1, v4, s8
	s_waitcnt vmcnt(0)
	v_mul_lo_u32 v0, v5, s71
	v_mad_u64_u32 v[40:41], s[26:27], v4, s71, 0
	v_add3_u32 v41, v41, v1, v0
	buffer_load_dword v0, off, s[0:3], s33 offset:416 ; 4-byte Folded Reload
	buffer_load_dword v1, off, s[0:3], s33 offset:420 ; 4-byte Folded Reload
	;; [unrolled: 1-line block ×4, first 2 shown]
	s_waitcnt vmcnt(0)
	v_add_co_u32_e32 v0, vcc, v2, v0
	buffer_store_dword v0, off, s[0:3], s33 offset:196 ; 4-byte Folded Spill
	s_waitcnt vmcnt(1)
	v_addc_co_u32_e32 v0, vcc, v3, v1, vcc
	buffer_store_dword v0, off, s[0:3], s33 offset:200 ; 4-byte Folded Spill
	buffer_load_dword v0, off, s[0:3], s33 offset:344 ; 4-byte Folded Reload
	s_nop 0
	buffer_load_dword v1, off, s[0:3], s33 offset:348 ; 4-byte Folded Reload
	s_waitcnt vmcnt(0)
	v_sub_co_u32_e32 v0, vcc, v0, v40
	s_waitcnt vmcnt(0)
	v_subb_co_u32_e32 v1, vcc, v1, v41, vcc
	v_cmp_lt_i64_e32 vcc, v[4:5], v[0:1]
	v_cndmask_b32_e32 v1, v0, v4, vcc
	v_max_i32_e32 v50, 0, v1
	v_add_u32_e32 v2, 31, v50
	v_lshrrev_b32_e32 v2, 1, v2
	v_and_b32_e32 v2, 0x3ffffff0, v2
	v_cmp_lt_i32_e32 vcc, 0, v1
	v_mov_b32_e32 v0, 0
	v_max_i32_e32 v53, s81, v2
	s_and_b64 s[26:27], s[74:75], vcc
	s_and_saveexec_b64 s[42:43], s[26:27]
	s_cbranch_execz .LBB4_3005
; %bb.54:                               ;   in Loop: Header=BB4_47 Depth=1
	s_mov_b32 s8, 1
	s_mov_b64 s[92:93], -1
	v_mov_b32_e32 v18, 0
	s_mov_b64 s[90:91], 0
	buffer_store_dword v50, off, s[0:3], s33 offset:388 ; 4-byte Folded Spill
	buffer_store_dword v40, off, s[0:3], s33 offset:392 ; 4-byte Folded Spill
	s_nop 0
	buffer_store_dword v41, off, s[0:3], s33 offset:396 ; 4-byte Folded Spill
	s_branch .LBB4_57
.LBB4_55:                               ;   in Loop: Header=BB4_57 Depth=2
	s_or_b64 exec, exec, s[28:29]
	buffer_load_dword v2, off, s[0:3], s33 offset:84 ; 4-byte Folded Reload
	buffer_load_dword v3, off, s[0:3], s33 offset:88 ; 4-byte Folded Reload
	;; [unrolled: 1-line block ×4, first 2 shown]
	s_waitcnt vmcnt(0)
	v_add_co_u32_e32 v2, vcc, 2, v2
	v_addc_co_u32_e32 v3, vcc, 0, v3, vcc
	buffer_store_dword v2, off, s[0:3], s33 offset:84 ; 4-byte Folded Spill
	s_nop 0
	buffer_store_dword v3, off, s[0:3], s33 offset:88 ; 4-byte Folded Spill
	flat_store_dwordx2 v[0:1], v[2:3]
.LBB4_56:                               ;   in Loop: Header=BB4_57 Depth=2
	s_or_b64 exec, exec, s[26:27]
	v_add_u32_e32 v18, v53, v18
	v_cmp_ge_i32_e32 vcc, v18, v50
	s_xor_b64 s[26:27], s[92:93], -1
	s_or_b64 s[26:27], s[26:27], vcc
	s_and_b64 s[26:27], exec, s[26:27]
	s_or_b64 s[90:91], s[26:27], s[90:91]
	s_mov_b64 s[92:93], 0
	v_mov_b32_e32 v0, s8
	s_mov_b32 s8, 2
	s_andn2_b64 exec, exec, s[90:91]
	s_cbranch_execz .LBB4_3004
.LBB4_57:                               ;   Parent Loop BB4_47 Depth=1
                                        ; =>  This Loop Header: Depth=2
                                        ;       Child Loop BB4_65 Depth 3
                                        ;       Child Loop BB4_89 Depth 3
                                        ;       Child Loop BB4_108 Depth 3
                                        ;       Child Loop BB4_137 Depth 3
                                        ;       Child Loop BB4_1942 Depth 3
                                        ;       Child Loop BB4_2404 Depth 3
                                        ;       Child Loop BB4_2927 Depth 3
                                        ;       Child Loop BB4_2972 Depth 3
                                        ;       Child Loop BB4_2991 Depth 3
	s_and_saveexec_b64 s[26:27], s[4:5]
	s_cbranch_execz .LBB4_59
; %bb.58:                               ;   in Loop: Header=BB4_57 Depth=2
	s_trap 2
	buffer_load_dword v2, off, s[0:3], s33 offset:196 ; 4-byte Folded Reload
	ds_read_b64 v[0:1], v0
	s_waitcnt vmcnt(0) lgkmcnt(0)
	v_add_co_u32_e32 v0, vcc, v0, v2
	buffer_load_dword v2, off, s[0:3], s33 offset:200 ; 4-byte Folded Reload
	s_waitcnt vmcnt(0)
	v_addc_co_u32_e32 v1, vcc, v1, v2, vcc
	v_add_co_u32_e32 v0, vcc, v0, v40
	v_addc_co_u32_e32 v1, vcc, v1, v41, vcc
	v_ashrrev_i32_e32 v2, 31, v18
	v_add_co_u32_e32 v0, vcc, v0, v18
	v_addc_co_u32_e32 v1, vcc, v1, v2, vcc
	ds_write_b64 v0, v[0:1]
	v_mov_b32_e32 v0, v17
	v_mov_b32_e32 v1, v17
	ds_write_b64 v0, v[0:1]
.LBB4_59:                               ;   in Loop: Header=BB4_57 Depth=2
	s_or_b64 exec, exec, s[26:27]
	v_sub_u32_e32 v0, v50, v18
	v_min_i32_e32 v53, v53, v0
	buffer_load_dword v0, off, s[0:3], s33 offset:72 ; 4-byte Folded Reload
	s_waitcnt vmcnt(0)
	v_and_b32_e32 v0, 8, v0
	v_cmp_ne_u32_e32 vcc, 0, v0
	s_and_saveexec_b64 s[28:29], vcc
	s_cbranch_execz .LBB4_81
; %bb.60:                               ;   in Loop: Header=BB4_57 Depth=2
	buffer_load_dword v0, off, s[0:3], s33 offset:56 ; 4-byte Folded Reload
	buffer_load_dword v1, off, s[0:3], s33 offset:60 ; 4-byte Folded Reload
	s_waitcnt vmcnt(0)
	v_add_co_u32_e32 v2, vcc, 8, v0
	s_waitcnt vmcnt(0)
	v_addc_co_u32_e32 v3, vcc, 0, v1, vcc
	buffer_load_dword v0, off, s[0:3], s33 offset:84 ; 4-byte Folded Reload
	buffer_load_dword v1, off, s[0:3], s33 offset:88 ; 4-byte Folded Reload
	s_waitcnt vmcnt(0)
	v_add_co_u32_e32 v0, vcc, 2, v0
	s_waitcnt vmcnt(0)
	v_addc_co_u32_e32 v1, vcc, 0, v1, vcc
	v_cmp_lt_u64_e32 vcc, v[2:3], v[0:1]
	s_and_saveexec_b64 s[40:41], vcc
	s_cbranch_execz .LBB4_72
; %bb.61:                               ;   in Loop: Header=BB4_57 Depth=2
	buffer_load_dword v2, off, s[0:3], s33 offset:72 ; 4-byte Folded Reload
	s_mov_b32 s64, 0
	s_mov_b64 s[94:95], 0
                                        ; implicit-def: $sgpr30_sgpr31
                                        ; implicit-def: $sgpr34_sgpr35
                                        ; implicit-def: $sgpr36_sgpr37
	s_waitcnt vmcnt(0)
	v_and_b32_e32 v2, 64, v2
	v_cmp_eq_u32_e32 vcc, 0, v2
	s_branch .LBB4_65
.LBB4_62:                               ;   in Loop: Header=BB4_65 Depth=3
	buffer_load_dword v3, off, s[0:3], s33 offset:56 ; 4-byte Folded Reload
	buffer_load_dword v4, off, s[0:3], s33 offset:60 ; 4-byte Folded Reload
	s_or_b64 s[50:51], s[50:51], exec
	s_waitcnt vmcnt(1)
	v_add_co_u32_e64 v3, s[26:27], 8, v3
	s_waitcnt vmcnt(0)
	v_addc_co_u32_e64 v4, s[26:27], 0, v4, s[26:27]
	v_cmp_ge_u64_e64 s[26:27], v[3:4], v[0:1]
	s_orn2_b64 s[48:49], s[26:27], exec
.LBB4_63:                               ;   in Loop: Header=BB4_65 Depth=3
	s_or_b64 exec, exec, s[54:55]
	s_andn2_b64 s[26:27], s[36:37], exec
	s_and_b64 s[36:37], s[50:51], exec
	s_or_b64 s[36:37], s[26:27], s[36:37]
	s_andn2_b64 s[26:27], s[34:35], exec
	s_and_b64 s[34:35], s[48:49], exec
	s_or_b64 s[34:35], s[26:27], s[34:35]
.LBB4_64:                               ;   in Loop: Header=BB4_65 Depth=3
	s_or_b64 exec, exec, s[38:39]
	s_and_b64 s[26:27], exec, s[34:35]
	s_or_b64 s[94:95], s[26:27], s[94:95]
	s_andn2_b64 s[26:27], s[30:31], exec
	s_and_b64 s[30:31], s[36:37], exec
	s_or_b64 s[30:31], s[26:27], s[30:31]
	s_andn2_b64 exec, exec, s[94:95]
	s_cbranch_execz .LBB4_69
.LBB4_65:                               ;   Parent Loop BB4_47 Depth=1
                                        ;     Parent Loop BB4_57 Depth=2
                                        ; =>    This Inner Loop Header: Depth=3
	s_sleep 1
	buffer_load_dword v2, off, s[0:3], s33 offset:64 ; 4-byte Folded Reload
	buffer_load_dword v3, off, s[0:3], s33 offset:68 ; 4-byte Folded Reload
	s_or_b64 s[36:37], s[36:37], exec
	s_or_b64 s[34:35], s[34:35], exec
	s_waitcnt vmcnt(0)
	flat_load_dwordx2 v[2:3], v[2:3] glc
	s_waitcnt vmcnt(0) lgkmcnt(0)
	buffer_store_dword v2, off, s[0:3], s33 offset:56 ; 4-byte Folded Spill
	s_nop 0
	buffer_store_dword v3, off, s[0:3], s33 offset:60 ; 4-byte Folded Spill
                                        ; implicit-def: $vgpr2
	s_and_saveexec_b64 s[38:39], vcc
	s_cbranch_execz .LBB4_64
; %bb.66:                               ;   in Loop: Header=BB4_65 Depth=3
	s_cmpk_lt_i32 s64, 0x270f
	s_cselect_b64 s[52:53], -1, 0
	s_cmpk_gt_i32 s64, 0x270e
	s_mov_b64 s[48:49], -1
	s_cbranch_scc0 .LBB4_68
; %bb.67:                               ;   in Loop: Header=BB4_65 Depth=3
	s_trap 2
	ds_read_b64 v[2:3], v0
	s_andn2_b64 s[52:53], s[52:53], exec
	s_mov_b32 s64, 0
	s_mov_b64 s[50:51], 0
	s_waitcnt vmcnt(0) lgkmcnt(0)
	flat_load_dword v2, v[2:3] glc
	s_waitcnt vmcnt(0) lgkmcnt(0)
	buffer_wbinvl1_vol
	v_cmp_eq_u32_e64 s[26:27], 0, v2
	s_and_b64 s[26:27], s[26:27], exec
	s_or_b64 s[52:53], s[52:53], s[26:27]
	s_and_saveexec_b64 s[54:55], s[52:53]
	s_cbranch_execz .LBB4_63
	s_branch .LBB4_62
.LBB4_68:                               ;   in Loop: Header=BB4_65 Depth=3
	s_add_i32 s64, s64, 1
	s_mov_b64 s[50:51], -1
                                        ; implicit-def: $vgpr2
	s_and_saveexec_b64 s[54:55], s[52:53]
	s_cbranch_execz .LBB4_63
	s_branch .LBB4_62
.LBB4_69:                               ;   in Loop: Header=BB4_57 Depth=2
	s_or_b64 exec, exec, s[94:95]
	s_xor_b64 s[26:27], s[30:31], -1
	s_and_saveexec_b64 s[94:95], s[26:27]
	s_xor_b64 s[26:27], exec, s[94:95]
	s_cbranch_execz .LBB4_71
; %bb.70:                               ;   in Loop: Header=BB4_57 Depth=2
	ds_write_b32 v0, v2
	s_trap 2
	buffer_load_dword v2, off, s[0:3], s33 offset:72 ; 4-byte Folded Reload
	s_waitcnt vmcnt(0)
	v_or_b32_e32 v2, 64, v2
	buffer_store_dword v2, off, s[0:3], s33 offset:72 ; 4-byte Folded Spill
.LBB4_71:                               ;   in Loop: Header=BB4_57 Depth=2
	s_or_b64 exec, exec, s[26:27]
.LBB4_72:                               ;   in Loop: Header=BB4_57 Depth=2
	s_or_b64 exec, exec, s[40:41]
	;;#ASMSTART
	s_wakeup
	;;#ASMEND
	buffer_load_dword v2, off, s[0:3], s33 offset:72 ; 4-byte Folded Reload
	s_mov_b64 s[26:27], -1
	s_waitcnt vmcnt(0)
	v_and_b32_e32 v2, 0x100, v2
	v_cmp_ne_u32_e32 vcc, 0, v2
	buffer_load_dword v2, off, s[0:3], s33 offset:84 ; 4-byte Folded Reload
	buffer_load_dword v3, off, s[0:3], s33 offset:88 ; 4-byte Folded Reload
	s_waitcnt vmcnt(0)
	v_and_b32_e32 v6, 7, v2
                                        ; implicit-def: $vgpr2_vgpr3
	s_and_saveexec_b64 s[40:41], vcc
	s_cbranch_execz .LBB4_76
; %bb.73:                               ;   in Loop: Header=BB4_57 Depth=2
	buffer_load_dword v2, off, s[0:3], s33 offset:124 ; 4-byte Folded Reload
	buffer_load_dword v3, off, s[0:3], s33 offset:128 ; 4-byte Folded Reload
	;; [unrolled: 1-line block ×4, first 2 shown]
	v_ashrrev_i32_e32 v54, 31, v53
	s_waitcnt vmcnt(0)
	v_mad_u64_u32 v[4:5], s[26:27], v6, 24, v[2:3]
	flat_load_dword v2, v[4:5]
	s_nop 0
	flat_store_dwordx2 v[4:5], v[53:54] offset:8
	s_waitcnt vmcnt(0) lgkmcnt(0)
	v_cmp_ne_u32_e32 vcc, 1, v2
	v_cmp_eq_u32_e64 s[26:27], 1, v2
                                        ; implicit-def: $vgpr2_vgpr3
	s_and_saveexec_b64 s[94:95], s[26:27]
	s_cbranch_execz .LBB4_75
; %bb.74:                               ;   in Loop: Header=BB4_57 Depth=2
	flat_load_dword v2, v[4:5] offset:4 glc
	s_waitcnt vmcnt(0) lgkmcnt(0)
	v_ashrrev_i32_e32 v3, 31, v2
.LBB4_75:                               ;   in Loop: Header=BB4_57 Depth=2
	s_or_b64 exec, exec, s[94:95]
	s_orn2_b64 s[26:27], vcc, exec
.LBB4_76:                               ;   in Loop: Header=BB4_57 Depth=2
	s_or_b64 exec, exec, s[40:41]
	s_and_saveexec_b64 s[40:41], s[26:27]
	s_cbranch_execz .LBB4_78
; %bb.77:                               ;   in Loop: Header=BB4_57 Depth=2
	buffer_load_dword v2, off, s[0:3], s33 offset:152 ; 4-byte Folded Reload
	s_waitcnt vmcnt(0)
	v_mad_i64_i32 v[2:3], s[26:27], v6, v2, 0
.LBB4_78:                               ;   in Loop: Header=BB4_57 Depth=2
	s_or_b64 exec, exec, s[40:41]
	buffer_load_dword v4, off, s[0:3], s33 offset:116 ; 4-byte Folded Reload
	buffer_load_dword v5, off, s[0:3], s33 offset:120 ; 4-byte Folded Reload
	s_waitcnt vmcnt(0)
	v_add_co_u32_e32 v2, vcc, v4, v2
	s_waitcnt vmcnt(0)
	v_addc_co_u32_e32 v3, vcc, v5, v3, vcc
	ds_write_b64 v0, v[2:3] offset:784
	buffer_load_dword v2, off, s[0:3], s33 offset:72 ; 4-byte Folded Reload
	s_waitcnt vmcnt(0)
	v_and_b32_e32 v2, 0x2000, v2
	v_cmp_ne_u32_e32 vcc, 0, v2
	s_and_saveexec_b64 s[26:27], vcc
	s_cbranch_execz .LBB4_80
; %bb.79:                               ;   in Loop: Header=BB4_57 Depth=2
	ds_read_b64 v[2:3], v0 offset:872
	s_waitcnt lgkmcnt(0)
	v_add_co_u32_e32 v2, vcc, 1, v2
	v_addc_co_u32_e32 v3, vcc, 0, v3, vcc
	ds_write_b64 v0, v[2:3] offset:872
.LBB4_80:                               ;   in Loop: Header=BB4_57 Depth=2
	s_or_b64 exec, exec, s[26:27]
	buffer_store_dword v0, off, s[0:3], s33 offset:84 ; 4-byte Folded Spill
	s_nop 0
	buffer_store_dword v1, off, s[0:3], s33 offset:88 ; 4-byte Folded Spill
.LBB4_81:                               ;   in Loop: Header=BB4_57 Depth=2
	s_or_b64 exec, exec, s[28:29]
	s_and_saveexec_b64 s[26:27], s[12:13]
	s_cbranch_execz .LBB4_100
; %bb.82:                               ;   in Loop: Header=BB4_57 Depth=2
	s_and_saveexec_b64 s[28:29], s[58:59]
	s_xor_b64 s[28:29], exec, s[28:29]
	s_cbranch_execz .LBB4_97
; %bb.83:                               ;   in Loop: Header=BB4_57 Depth=2
	s_and_saveexec_b64 s[40:41], s[6:7]
	s_cbranch_execz .LBB4_96
; %bb.84:                               ;   in Loop: Header=BB4_57 Depth=2
	s_mov_b64 s[30:31], exec
	v_mbcnt_lo_u32_b32 v0, s30, 0
	v_mbcnt_hi_u32_b32 v0, s31, v0
	v_cmp_eq_u32_e32 vcc, 0, v0
	s_waitcnt vmcnt(0) lgkmcnt(0)
	buffer_wbinvl1_vol
	s_and_saveexec_b64 s[94:95], vcc
	s_cbranch_execz .LBB4_86
; %bb.85:                               ;   in Loop: Header=BB4_57 Depth=2
	s_bcnt1_i32_b64 vcc_lo, s[30:31]
	v_mov_b32_e32 v0, vcc_lo
	v_mov_b32_e32 v1, v17
	ds_add_u64 v0, v[0:1]
	s_trap 2
.LBB4_86:                               ;   in Loop: Header=BB4_57 Depth=2
	s_or_b64 exec, exec, s[94:95]
	s_trap 2
	ds_read_b64 v[0:1], v0
	s_waitcnt lgkmcnt(0)
	buffer_load_dword v2, off, s[0:3], s33 offset:76 ; 4-byte Folded Reload
	buffer_load_dword v3, off, s[0:3], s33 offset:80 ; 4-byte Folded Reload
	;; [unrolled: 1-line block ×3, first 2 shown]
	s_waitcnt vmcnt(0)
	v_add_co_u32_e32 v2, vcc, v2, v4
	v_addc_co_u32_e32 v3, vcc, 0, v3, vcc
	buffer_store_dword v2, off, s[0:3], s33 offset:76 ; 4-byte Folded Spill
	s_nop 0
	buffer_store_dword v3, off, s[0:3], s33 offset:80 ; 4-byte Folded Spill
	v_cmp_lt_u64_e32 vcc, v[0:1], v[2:3]
	s_and_saveexec_b64 s[94:95], vcc
	s_cbranch_execz .LBB4_95
; %bb.87:                               ;   in Loop: Header=BB4_57 Depth=2
	s_mov_b32 s50, 0
	s_mov_b64 s[30:31], 0
                                        ; implicit-def: $sgpr34_sgpr35
                                        ; implicit-def: $sgpr36_sgpr37
	s_branch .LBB4_89
.LBB4_88:                               ;   in Loop: Header=BB4_89 Depth=3
	s_or_b64 exec, exec, s[48:49]
	s_and_b64 vcc, exec, vcc
	s_or_b64 s[30:31], vcc, s[30:31]
	s_andn2_b64 vcc, s[34:35], exec
	s_and_b64 s[34:35], s[36:37], exec
	s_or_b64 s[34:35], vcc, s[34:35]
	s_andn2_b64 exec, exec, s[30:31]
	s_cbranch_execz .LBB4_93
.LBB4_89:                               ;   Parent Loop BB4_47 Depth=1
                                        ;     Parent Loop BB4_57 Depth=2
                                        ; =>    This Inner Loop Header: Depth=3
	s_add_i32 s50, s50, 1
	s_cmpk_lg_i32 s50, 0x2710
	s_cselect_b64 s[38:39], -1, 0
	s_and_b64 vcc, exec, s[38:39]
	s_cbranch_vccz .LBB4_91
; %bb.90:                               ;   in Loop: Header=BB4_89 Depth=3
	s_mov_b64 vcc, -1
	s_or_b64 s[36:37], s[36:37], exec
	s_and_saveexec_b64 s[48:49], s[38:39]
	s_cbranch_execz .LBB4_88
	s_branch .LBB4_92
.LBB4_91:                               ;   in Loop: Header=BB4_89 Depth=3
	s_trap 2
	ds_read_b64 v[0:1], v0
	s_andn2_b64 s[38:39], s[38:39], exec
	s_mov_b32 s50, 0
	s_waitcnt vmcnt(0) lgkmcnt(0)
	flat_load_dword v0, v[0:1] glc
	s_waitcnt vmcnt(0) lgkmcnt(0)
	buffer_wbinvl1_vol
	v_cmp_eq_u32_e32 vcc, 0, v0
	s_and_b64 vcc, vcc, exec
	s_or_b64 s[38:39], s[38:39], vcc
	s_mov_b64 vcc, -1
	s_or_b64 s[36:37], s[36:37], exec
	s_and_saveexec_b64 s[48:49], s[38:39]
	s_cbranch_execz .LBB4_88
.LBB4_92:                               ;   in Loop: Header=BB4_89 Depth=3
	s_sleep 1
	s_trap 2
	ds_read_b64 v[0:1], v0
	s_waitcnt lgkmcnt(0)
	buffer_load_dword v2, off, s[0:3], s33 offset:76 ; 4-byte Folded Reload
	buffer_load_dword v3, off, s[0:3], s33 offset:80 ; 4-byte Folded Reload
	s_andn2_b64 s[36:37], s[36:37], exec
	s_waitcnt vmcnt(0)
	v_cmp_ge_u64_e32 vcc, v[0:1], v[2:3]
	s_orn2_b64 vcc, vcc, exec
	s_branch .LBB4_88
.LBB4_93:                               ;   in Loop: Header=BB4_57 Depth=2
	s_or_b64 exec, exec, s[30:31]
	s_and_saveexec_b64 vcc, s[34:35]
	s_xor_b64 vcc, exec, vcc
	s_cbranch_execz .LBB4_95
; %bb.94:                               ;   in Loop: Header=BB4_57 Depth=2
	v_mov_b32_e32 v0, 1
	ds_write_b32 v0, v0
	s_trap 2
.LBB4_95:                               ;   in Loop: Header=BB4_57 Depth=2
	s_or_b64 exec, exec, s[94:95]
	;;#ASMSTART
	s_wakeup
	;;#ASMEND
.LBB4_96:                               ;   in Loop: Header=BB4_57 Depth=2
	s_or_b64 exec, exec, s[40:41]
.LBB4_97:                               ;   in Loop: Header=BB4_57 Depth=2
	s_andn2_saveexec_b64 s[28:29], s[28:29]
	s_cbranch_execz .LBB4_99
; %bb.98:                               ;   in Loop: Header=BB4_57 Depth=2
	s_waitcnt vmcnt(0) lgkmcnt(0)
	buffer_wbinvl1_vol
	s_barrier
.LBB4_99:                               ;   in Loop: Header=BB4_57 Depth=2
	s_or_b64 exec, exec, s[28:29]
.LBB4_100:                              ;   in Loop: Header=BB4_57 Depth=2
	s_or_b64 exec, exec, s[26:27]
	s_trap 2
	buffer_load_dword v1, off, s[0:3], s33 offset:72 ; 4-byte Folded Reload
	ds_read_b32 v0, v0
	s_xor_b64 s[26:27], s[10:11], -1
	s_waitcnt vmcnt(0)
	v_and_b32_e32 v1, 0x4000, v1
	v_cmp_ne_u32_e32 vcc, 0, v1
	s_and_b64 s[28:29], s[26:27], vcc
	s_and_saveexec_b64 s[26:27], s[28:29]
	s_cbranch_execz .LBB4_119
; %bb.101:                              ;   in Loop: Header=BB4_57 Depth=2
	s_and_saveexec_b64 s[28:29], s[58:59]
	s_xor_b64 s[28:29], exec, s[28:29]
	s_cbranch_execz .LBB4_116
; %bb.102:                              ;   in Loop: Header=BB4_57 Depth=2
	s_and_saveexec_b64 s[40:41], s[6:7]
	s_cbranch_execz .LBB4_115
; %bb.103:                              ;   in Loop: Header=BB4_57 Depth=2
	s_mov_b64 s[30:31], exec
	v_mbcnt_lo_u32_b32 v1, s30, 0
	v_mbcnt_hi_u32_b32 v1, s31, v1
	v_cmp_eq_u32_e32 vcc, 0, v1
	s_waitcnt lgkmcnt(0)
	buffer_wbinvl1_vol
	s_and_saveexec_b64 s[94:95], vcc
	s_cbranch_execz .LBB4_105
; %bb.104:                              ;   in Loop: Header=BB4_57 Depth=2
	s_bcnt1_i32_b64 vcc_lo, s[30:31]
	v_mov_b32_e32 v1, vcc_lo
	v_mov_b32_e32 v2, v17
	ds_add_u64 v0, v[1:2]
	s_trap 2
.LBB4_105:                              ;   in Loop: Header=BB4_57 Depth=2
	s_or_b64 exec, exec, s[94:95]
	s_trap 2
	ds_read_b64 v[1:2], v0
	s_waitcnt lgkmcnt(0)
	buffer_load_dword v3, off, s[0:3], s33 offset:76 ; 4-byte Folded Reload
	buffer_load_dword v4, off, s[0:3], s33 offset:80 ; 4-byte Folded Reload
	;; [unrolled: 1-line block ×3, first 2 shown]
	s_waitcnt vmcnt(0)
	v_add_co_u32_e32 v3, vcc, v3, v5
	v_addc_co_u32_e32 v4, vcc, 0, v4, vcc
	buffer_store_dword v3, off, s[0:3], s33 offset:76 ; 4-byte Folded Spill
	s_nop 0
	buffer_store_dword v4, off, s[0:3], s33 offset:80 ; 4-byte Folded Spill
	v_cmp_lt_u64_e32 vcc, v[1:2], v[3:4]
	s_and_saveexec_b64 s[94:95], vcc
	s_cbranch_execz .LBB4_114
; %bb.106:                              ;   in Loop: Header=BB4_57 Depth=2
	s_mov_b32 s50, 0
	s_mov_b64 s[30:31], 0
                                        ; implicit-def: $sgpr34_sgpr35
                                        ; implicit-def: $sgpr36_sgpr37
	s_branch .LBB4_108
.LBB4_107:                              ;   in Loop: Header=BB4_108 Depth=3
	s_or_b64 exec, exec, s[48:49]
	s_and_b64 vcc, exec, vcc
	s_or_b64 s[30:31], vcc, s[30:31]
	s_andn2_b64 vcc, s[34:35], exec
	s_and_b64 s[34:35], s[36:37], exec
	s_or_b64 s[34:35], vcc, s[34:35]
	s_andn2_b64 exec, exec, s[30:31]
	s_cbranch_execz .LBB4_112
.LBB4_108:                              ;   Parent Loop BB4_47 Depth=1
                                        ;     Parent Loop BB4_57 Depth=2
                                        ; =>    This Inner Loop Header: Depth=3
	s_add_i32 s50, s50, 1
	s_cmpk_lg_i32 s50, 0x2710
	s_cselect_b64 s[38:39], -1, 0
	s_and_b64 vcc, exec, s[38:39]
	s_cbranch_vccz .LBB4_110
; %bb.109:                              ;   in Loop: Header=BB4_108 Depth=3
	s_mov_b64 vcc, -1
	s_or_b64 s[36:37], s[36:37], exec
	s_and_saveexec_b64 s[48:49], s[38:39]
	s_cbranch_execz .LBB4_107
	s_branch .LBB4_111
.LBB4_110:                              ;   in Loop: Header=BB4_108 Depth=3
	s_trap 2
	ds_read_b64 v[1:2], v0
	s_andn2_b64 s[38:39], s[38:39], exec
	s_mov_b32 s50, 0
	s_waitcnt vmcnt(0) lgkmcnt(0)
	flat_load_dword v1, v[1:2] glc
	s_waitcnt vmcnt(0) lgkmcnt(0)
	buffer_wbinvl1_vol
	v_cmp_eq_u32_e32 vcc, 0, v1
	s_and_b64 vcc, vcc, exec
	s_or_b64 s[38:39], s[38:39], vcc
	s_mov_b64 vcc, -1
	s_or_b64 s[36:37], s[36:37], exec
	s_and_saveexec_b64 s[48:49], s[38:39]
	s_cbranch_execz .LBB4_107
.LBB4_111:                              ;   in Loop: Header=BB4_108 Depth=3
	s_sleep 1
	s_trap 2
	ds_read_b64 v[1:2], v0
	s_waitcnt lgkmcnt(0)
	buffer_load_dword v3, off, s[0:3], s33 offset:76 ; 4-byte Folded Reload
	buffer_load_dword v4, off, s[0:3], s33 offset:80 ; 4-byte Folded Reload
	s_andn2_b64 s[36:37], s[36:37], exec
	s_waitcnt vmcnt(0)
	v_cmp_ge_u64_e32 vcc, v[1:2], v[3:4]
	s_orn2_b64 vcc, vcc, exec
	s_branch .LBB4_107
.LBB4_112:                              ;   in Loop: Header=BB4_57 Depth=2
	s_or_b64 exec, exec, s[30:31]
	s_and_saveexec_b64 vcc, s[34:35]
	s_xor_b64 vcc, exec, vcc
	s_cbranch_execz .LBB4_114
; %bb.113:                              ;   in Loop: Header=BB4_57 Depth=2
	v_mov_b32_e32 v1, 1
	ds_write_b32 v0, v1
	s_trap 2
.LBB4_114:                              ;   in Loop: Header=BB4_57 Depth=2
	s_or_b64 exec, exec, s[94:95]
	;;#ASMSTART
	s_wakeup
	;;#ASMEND
.LBB4_115:                              ;   in Loop: Header=BB4_57 Depth=2
	s_or_b64 exec, exec, s[40:41]
.LBB4_116:                              ;   in Loop: Header=BB4_57 Depth=2
	s_andn2_saveexec_b64 s[28:29], s[28:29]
	s_cbranch_execz .LBB4_118
; %bb.117:                              ;   in Loop: Header=BB4_57 Depth=2
	s_waitcnt vmcnt(0) lgkmcnt(0)
	buffer_wbinvl1_vol
	s_barrier
.LBB4_118:                              ;   in Loop: Header=BB4_57 Depth=2
	s_or_b64 exec, exec, s[28:29]
.LBB4_119:                              ;   in Loop: Header=BB4_57 Depth=2
	s_or_b64 exec, exec, s[26:27]
	s_trap 2
	s_waitcnt lgkmcnt(0)
	ds_read_b64 v[6:7], v0
	s_waitcnt lgkmcnt(0)
	v_cmp_eq_u64_e32 vcc, 0, v[6:7]
	s_cbranch_vccnz .LBB4_127
; %bb.120:                              ;   in Loop: Header=BB4_57 Depth=2
	s_trap 2
	ds_read_b64 v[54:55], v0
	s_waitcnt lgkmcnt(0)
	v_cmp_eq_u64_e32 vcc, 0, v[54:55]
	s_cbranch_vccnz .LBB4_127
; %bb.121:                              ;   in Loop: Header=BB4_57 Depth=2
	s_mov_b64 s[28:29], -1
	s_and_saveexec_b64 s[26:27], s[14:15]
	s_cbranch_execz .LBB4_123
; %bb.122:                              ;   in Loop: Header=BB4_57 Depth=2
	ds_read_b32 v1, v0 offset:720
	s_waitcnt lgkmcnt(0)
	v_and_b32_e32 v1, 15, v1
	v_cmp_eq_u32_e32 vcc, 0, v1
	s_orn2_b64 s[28:29], vcc, exec
.LBB4_123:                              ;   in Loop: Header=BB4_57 Depth=2
	s_or_b64 exec, exec, s[26:27]
	s_and_saveexec_b64 s[26:27], s[16:17]
	s_cbranch_execz .LBB4_125
; %bb.124:                              ;   in Loop: Header=BB4_57 Depth=2
	ds_read_b32 v1, v0 offset:784
	s_waitcnt lgkmcnt(0)
	v_and_b32_e32 v1, 15, v1
	v_cmp_eq_u32_e32 vcc, 0, v1
	s_and_b64 s[40:41], s[28:29], vcc
	s_andn2_b64 s[28:29], s[28:29], exec
	s_and_b64 s[40:41], s[40:41], exec
	s_or_b64 s[28:29], s[28:29], s[40:41]
.LBB4_125:                              ;   in Loop: Header=BB4_57 Depth=2
	s_or_b64 exec, exec, s[26:27]
	buffer_load_dword v10, off, s[0:3], s33 offset:176 ; 4-byte Folded Reload
	v_cmp_eq_u32_e32 vcc, 0, v0
	s_xor_b64 s[28:29], s[28:29], -1
	v_cndmask_b32_e32 v51, 0, v53, vcc
	v_cndmask_b32_e64 v0, 0, 1, s[28:29]
	s_mov_b64 s[26:27], -1
	v_cmp_ne_u32_e32 vcc, 0, v0
	v_mov_b32_e32 v8, 0
	v_mov_b32_e32 v9, v51
	s_cbranch_vccz .LBB4_133
; %bb.126:                              ;   in Loop: Header=BB4_57 Depth=2
	s_and_saveexec_b64 s[28:29], s[26:27]
	s_cbranch_execnz .LBB4_2400
	s_branch .LBB4_2964
.LBB4_127:                              ;   in Loop: Header=BB4_57 Depth=2
	s_mov_b64 s[26:27], 0
	s_and_saveexec_b64 s[28:29], s[12:13]
	s_cbranch_execnz .LBB4_2965
.LBB4_128:                              ;   in Loop: Header=BB4_57 Depth=2
	s_or_b64 exec, exec, s[28:29]
                                        ; implicit-def: $vgpr0
	s_and_saveexec_b64 s[28:29], s[18:19]
	s_xor_b64 s[28:29], exec, s[28:29]
	s_cbranch_execz .LBB4_2983
.LBB4_129:                              ;   in Loop: Header=BB4_57 Depth=2
	buffer_load_dword v1, off, s[0:3], s33 offset:72 ; 4-byte Folded Reload
	s_waitcnt vmcnt(0)
	v_and_b32_e32 v0, 16, v1
	v_and_b32_e32 v1, 16, v1
	v_cmp_ne_u32_e32 vcc, 0, v1
	s_and_b64 s[40:41], vcc, s[26:27]
	s_and_saveexec_b64 s[26:27], s[40:41]
	s_cbranch_execz .LBB4_131
; %bb.130:                              ;   in Loop: Header=BB4_57 Depth=2
	v_mov_b32_e32 v0, 1
	s_waitcnt lgkmcnt(0)
	buffer_wbinvl1_vol
.LBB4_131:                              ;   in Loop: Header=BB4_57 Depth=2
	s_or_b64 exec, exec, s[26:27]
	s_andn2_saveexec_b64 s[26:27], s[28:29]
	s_cbranch_execnz .LBB4_2984
.LBB4_132:                              ;   in Loop: Header=BB4_57 Depth=2
	s_or_b64 exec, exec, s[26:27]
	v_cmp_ne_u32_e32 vcc, 0, v0
	s_and_saveexec_b64 s[26:27], vcc
	s_cbranch_execz .LBB4_56
	s_branch .LBB4_3002
.LBB4_133:                              ;   in Loop: Header=BB4_57 Depth=2
	v_ashrrev_i32_e32 v0, 31, v51
	v_lshrrev_b32_e32 v0, 20, v0
	v_add_u32_e32 v0, v51, v0
	v_ashrrev_i32_e32 v1, 12, v0
	buffer_load_dword v0, off, s[0:3], s33 offset:220 ; 4-byte Folded Reload
	s_waitcnt vmcnt(0)
	v_sub_u32_e32 v4, v1, v0
	v_cmp_lt_i32_e32 vcc, 0, v4
	s_and_saveexec_b64 s[40:41], vcc
	s_cbranch_execz .LBB4_1937
; %bb.134:                              ;   in Loop: Header=BB4_57 Depth=2
	buffer_store_dword v1, off, s[0:3], s33 offset:384 ; 4-byte Folded Spill
	buffer_store_dword v51, off, s[0:3], s33 offset:380 ; 4-byte Folded Spill
	;; [unrolled: 1-line block ×3, first 2 shown]
	s_nop 0
	buffer_store_dword v54, off, s[0:3], s33 offset:376 ; 4-byte Folded Spill
	s_trap 2
	ds_read_b64 v[0:1], v0
	v_mov_b32_e32 v2, 0x7f800000
	v_mov_b32_e32 v43, v7
	;; [unrolled: 1-line block ×3, first 2 shown]
	s_waitcnt lgkmcnt(0)
	v_readfirstlane_b32 s28, v0
	s_bfe_i32 s94, s28, 0x80000
	s_and_b32 s29, s28, 3
	s_bfe_u32 s26, s28, 0x50002
	s_and_b32 s27, s28, 0x7c
	s_cmpk_eq_i32 s27, 0x7c
	s_flbit_i32_b32 s27, s29
	s_cselect_b64 vcc, -1, 0
	s_min_u32 s27, s27, 32
	s_sub_i32 s95, s27, 29
	v_lshlrev_b64 v[0:1], s95, v[0:1]
	s_sub_i32 s27, 30, s27
	s_cmp_eq_u32 s26, 0
	v_and_b32_e32 v0, 3, v0
	s_cselect_b32 s95, s27, s26
	v_mov_b32_e32 v1, s29
	s_cselect_b64 s[26:27], -1, 0
	v_cndmask_b32_e64 v0, v1, v0, s[26:27]
	s_lshl_b32 s26, s28, 24
	s_and_b32 s26, s26, 0x80000000
	s_lshl_b32 s27, s95, 23
	s_add_i32 s27, s27, s26
	v_lshlrev_b32_e32 v0, 21, v0
	s_cmp_eq_u32 s29, 0
	s_sext_i32_i8 s28, s28
	v_or_b32_e32 v0, s27, v0
	s_cselect_b64 s[26:27], -1, 0
	s_cmp_gt_i32 s28, -1
	s_cselect_b64 s[28:29], -1, 0
	v_mov_b32_e32 v1, 0xff800000
	v_cndmask_b32_e64 v1, v1, v2, s[28:29]
	v_mov_b32_e32 v2, 0x7f800001
	v_add_u32_e32 v0, 0x38000000, v0
	v_cndmask_b32_e64 v1, v2, v1, s[26:27]
	v_cndmask_b32_e32 v58, v0, v1, vcc
	s_mov_b64 s[28:29], 0
	s_and_b32 s38, s94, 0xff
	v_mov_b32_e32 v40, v54
	v_mov_b32_e32 v41, v55
	s_branch .LBB4_137
.LBB4_135:                              ;   in Loop: Header=BB4_137 Depth=3
	s_or_b64 exec, exec, s[94:95]
.LBB4_136:                              ;   in Loop: Header=BB4_137 Depth=3
	s_or_b64 exec, exec, s[26:27]
	v_lshl_or_b32 v0, v12, 8, v20
	v_lshl_or_b32 v1, v13, 8, v15
	v_lshlrev_b32_e32 v10, 16, v22
	v_lshlrev_b32_e32 v11, 24, v23
	;; [unrolled: 1-line block ×4, first 2 shown]
	v_or3_b32 v11, v0, v10, v11
	v_or3_b32 v10, v1, v12, v13
	v_lshl_or_b32 v0, v25, 8, v24
	v_lshlrev_b32_e32 v1, 16, v26
	v_lshlrev_b32_e32 v12, 24, v27
	v_or3_b32 v12, v0, v1, v12
	v_lshl_or_b32 v0, v31, 8, v30
	v_lshlrev_b32_e32 v1, 24, v33
	v_lshlrev_b32_e32 v13, 16, v32
	v_or3_b32 v13, v0, v13, v1
	buffer_load_dword v0, off, s[0:3], s33 offset:292 ; 4-byte Folded Reload
	buffer_load_dword v1, off, s[0:3], s33 offset:296 ; 4-byte Folded Reload
	v_lshlrev_b32_e32 v8, 24, v8
	v_lshlrev_b32_e32 v2, 24, v2
	v_lshl_or_b32 v3, v50, 8, v3
	buffer_load_dword v5, off, s[0:3], s33 offset:304 ; 4-byte Folded Reload
	s_waitcnt vmcnt(1)
	v_lshl_or_b32 v0, v1, 8, v0
	buffer_load_dword v1, off, s[0:3], s33 offset:300 ; 4-byte Folded Reload
	s_waitcnt vmcnt(1)
	v_lshlrev_b32_e32 v15, 24, v5
	s_waitcnt vmcnt(0)
	v_lshlrev_b32_e32 v1, 16, v1
	v_or3_b32 v20, v0, v1, v15
	buffer_load_dword v0, off, s[0:3], s33 offset:276 ; 4-byte Folded Reload
	buffer_load_dword v1, off, s[0:3], s33 offset:280 ; 4-byte Folded Reload
	;; [unrolled: 1-line block ×3, first 2 shown]
	s_waitcnt vmcnt(1)
	v_lshl_or_b32 v0, v1, 8, v0
	buffer_load_dword v1, off, s[0:3], s33 offset:284 ; 4-byte Folded Reload
	s_waitcnt vmcnt(1)
	v_lshlrev_b32_e32 v15, 24, v5
	s_waitcnt vmcnt(0)
	v_lshlrev_b32_e32 v1, 16, v1
	v_or3_b32 v19, v0, v1, v15
	buffer_load_dword v0, off, s[0:3], s33 offset:308 ; 4-byte Folded Reload
	buffer_load_dword v1, off, s[0:3], s33 offset:312 ; 4-byte Folded Reload
	;; [unrolled: 1-line block ×3, first 2 shown]
	s_waitcnt vmcnt(1)
	v_lshl_or_b32 v0, v1, 8, v0
	buffer_load_dword v1, off, s[0:3], s33 offset:316 ; 4-byte Folded Reload
	s_waitcnt vmcnt(1)
	v_lshlrev_b32_e32 v15, 24, v5
	s_waitcnt vmcnt(0)
	v_lshlrev_b32_e32 v1, 16, v1
	v_or3_b32 v21, v0, v1, v15
	v_lshlrev_b32_e32 v0, 24, v14
	buffer_load_dword v1, off, s[0:3], s33 offset:332 ; 4-byte Folded Reload
	buffer_load_dword v5, off, s[0:3], s33 offset:324 ; 4-byte Folded Reload
	;; [unrolled: 1-line block ×3, first 2 shown]
	s_waitcnt vmcnt(2)
	v_lshlrev_b32_e32 v1, 16, v1
	s_waitcnt vmcnt(0)
	v_lshl_or_b32 v5, v14, 8, v5
	v_or3_b32 v22, v5, v1, v0
	buffer_load_dword v0, off, s[0:3], s33 offset:148 ; 4-byte Folded Reload
	buffer_load_dword v1, off, s[0:3], s33 offset:204 ; 4-byte Folded Reload
	;; [unrolled: 1-line block ×3, first 2 shown]
	s_waitcnt vmcnt(1)
	v_lshl_or_b32 v0, v1, 8, v0
	buffer_load_dword v1, off, s[0:3], s33 offset:212 ; 4-byte Folded Reload
	s_waitcnt vmcnt(1)
	v_lshlrev_b32_e32 v5, 24, v5
	s_waitcnt vmcnt(0)
	v_lshlrev_b32_e32 v1, 16, v1
	v_or3_b32 v24, v0, v1, v5
	buffer_load_dword v5, off, s[0:3], s33 offset:100 ; 4-byte Folded Reload
	v_lshl_or_b32 v0, v61, 8, v59
	v_lshlrev_b32_e32 v1, 16, v57
	s_waitcnt vmcnt(0)
	v_lshlrev_b32_e32 v5, 24, v5
	v_or3_b32 v23, v0, v1, v5
	buffer_load_dword v0, off, s[0:3], s33 offset:236 ; 4-byte Folded Reload
	buffer_load_dword v1, off, s[0:3], s33 offset:244 ; 4-byte Folded Reload
	;; [unrolled: 1-line block ×3, first 2 shown]
	s_waitcnt vmcnt(1)
	v_lshl_or_b32 v0, v1, 8, v0
	buffer_load_dword v1, off, s[0:3], s33 offset:248 ; 4-byte Folded Reload
	s_waitcnt vmcnt(1)
	v_lshlrev_b32_e32 v5, 24, v5
	s_waitcnt vmcnt(0)
	v_lshlrev_b32_e32 v1, 16, v1
	v_or3_b32 v25, v0, v1, v5
	buffer_load_dword v0, off, s[0:3], s33 offset:272 ; 4-byte Folded Reload
	buffer_load_dword v1, off, s[0:3], s33 offset:268 ; 4-byte Folded Reload
	;; [unrolled: 1-line block ×4, first 2 shown]
	s_waitcnt vmcnt(3)
	v_lshlrev_b32_e32 v0, 24, v0
	s_waitcnt vmcnt(2)
	v_lshlrev_b32_e32 v1, 16, v1
	s_waitcnt vmcnt(0)
	v_lshl_or_b32 v5, v14, 8, v5
	v_or3_b32 v26, v5, v1, v0
	buffer_load_dword v0, off, s[0:3], s33 offset:224 ; 4-byte Folded Reload
	v_lshl_or_b32 v5, v37, 8, v36
	v_lshlrev_b32_e32 v14, 16, v38
	v_or3_b32 v31, v5, v14, v8
	v_lshl_or_b32 v5, v45, 8, v44
	v_lshlrev_b32_e32 v8, 16, v34
	v_lshlrev_b32_e32 v14, 24, v35
	v_or3_b32 v30, v5, v8, v14
	v_lshl_or_b32 v5, v39, 8, v9
	v_lshlrev_b32_e32 v8, 16, v48
	v_lshlrev_b32_e32 v9, 24, v49
	v_or3_b32 v32, v5, v8, v9
	v_lshlrev_b32_e32 v5, 16, v51
	v_or3_b32 v33, v3, v5, v2
	s_waitcnt vmcnt(0)
	v_add_co_u32_e32 v0, vcc, v0, v40
	v_addc_co_u32_e32 v1, vcc, 0, v41, vcc
	global_store_dwordx4 v[0:1], v[23:26], off glc slc
	global_store_dwordx4 v[0:1], v[19:22], off offset:1024 glc slc
	global_store_dwordx4 v[0:1], v[10:13], off offset:2048 glc slc
	;; [unrolled: 1-line block ×3, first 2 shown]
	buffer_load_dword v0, off, s[0:3], s33 offset:92 ; 4-byte Folded Reload
	s_waitcnt vmcnt(0)
	v_sub_u32_e32 v4, v4, v0
	buffer_load_dword v0, off, s[0:3], s33 offset:336 ; 4-byte Folded Reload
	s_waitcnt vmcnt(0)
	v_add_co_u32_e32 v42, vcc, v42, v0
	v_addc_co_u32_e32 v43, vcc, 0, v43, vcc
	v_cmp_gt_i32_e32 vcc, 1, v4
	s_or_b64 s[28:29], vcc, s[28:29]
	v_add_co_u32_e32 v40, vcc, v40, v0
	v_addc_co_u32_e32 v41, vcc, 0, v41, vcc
	s_andn2_b64 exec, exec, s[28:29]
	s_cbranch_execz .LBB4_1936
.LBB4_137:                              ;   Parent Loop BB4_47 Depth=1
                                        ;     Parent Loop BB4_57 Depth=2
                                        ; =>    This Inner Loop Header: Depth=3
	buffer_load_dword v0, off, s[0:3], s33 offset:224 ; 4-byte Folded Reload
	s_cmpk_lt_i32 s38, 0x80
	s_cbranch_scc1 .LBB4_141
; %bb.138:                              ;   in Loop: Header=BB4_137 Depth=3
	s_and_b32 s94, 0xffff, s38
	s_mov_b64 s[26:27], -1
	s_cmpk_eq_i32 s94, 0x80
	s_cbranch_scc0 .LBB4_140
; %bb.139:                              ;   in Loop: Header=BB4_137 Depth=3
	s_mov_b64 s[26:27], 0
.LBB4_140:                              ;   in Loop: Header=BB4_137 Depth=3
	s_brev_b32 s30, 1
	s_branch .LBB4_143
.LBB4_141:                              ;   in Loop: Header=BB4_137 Depth=3
	s_mov_b64 s[26:27], 0
	s_brev_b32 s30, 1
	s_cbranch_execz .LBB4_143
; %bb.142:                              ;   in Loop: Header=BB4_137 Depth=3
	s_and_b32 s26, 0xffff, s38
	s_cmp_lg_u32 s26, 0
	s_mov_b32 s30, 0
	s_cselect_b64 s[26:27], -1, 0
.LBB4_143:                              ;   in Loop: Header=BB4_137 Depth=3
	s_andn2_b64 vcc, exec, s[26:27]
	v_mov_b32_e32 v21, s30
	s_cbranch_vccnz .LBB4_145
; %bb.144:                              ;   in Loop: Header=BB4_137 Depth=3
	v_mov_b32_e32 v21, v58
.LBB4_145:                              ;   in Loop: Header=BB4_137 Depth=3
	s_waitcnt vmcnt(0)
	v_add_co_u32_e32 v44, vcc, v0, v42
	v_addc_co_u32_e32 v45, vcc, 0, v43, vcc
	global_load_dwordx4 v[8:11], v[44:45], off glc slc
	v_mov_b32_e32 v0, 0
	s_waitcnt vmcnt(0)
	v_cmp_ne_u16_sdwa s[94:95], v8, v17 src0_sel:BYTE_0 src1_sel:DWORD
	s_and_saveexec_b64 s[26:27], s[94:95]
	s_cbranch_execz .LBB4_153
; %bb.146:                              ;   in Loop: Header=BB4_137 Depth=3
	v_cmp_ne_u16_sdwa vcc, sext(v8), s97 src0_sel:BYTE_0 src1_sel:DWORD
	v_bfrev_b32_e32 v0, 1
	s_and_saveexec_b64 s[94:95], vcc
	s_cbranch_execz .LBB4_152
; %bb.147:                              ;   in Loop: Header=BB4_137 Depth=3
	v_and_b32_e32 v0, 0x7c, v8
	v_and_b32_e32 v1, 3, v8
	v_cmp_ne_u32_e32 vcc, s85, v0
                                        ; implicit-def: $vgpr0
	s_and_saveexec_b64 s[30:31], vcc
	s_xor_b64 s[30:31], exec, s[30:31]
	s_cbranch_execz .LBB4_149
; %bb.148:                              ;   in Loop: Header=BB4_137 Depth=3
	v_ffbh_u32_e32 v2, v1
	v_min_u32_e32 v5, 32, v2
	v_subrev_u32_e32 v2, 29, v5
	v_lshlrev_b64 v[2:3], v2, v[8:9]
	v_bfe_u32 v0, v8, 2, 5
	v_and_b32_e32 v2, 3, v2
	v_cmp_eq_u32_e32 vcc, 0, v0
	v_sub_u32_e32 v3, 30, v5
	v_cndmask_b32_e32 v1, v1, v2, vcc
	v_lshlrev_b32_e32 v2, 24, v8
	v_cndmask_b32_e32 v0, v0, v3, vcc
	v_and_b32_e32 v2, 0x80000000, v2
	v_lshl_add_u32 v0, v0, 23, v2
	v_lshl_or_b32 v0, v1, 21, v0
	v_add_u32_e32 v0, 0x38000000, v0
                                        ; implicit-def: $vgpr1
.LBB4_149:                              ;   in Loop: Header=BB4_137 Depth=3
	s_andn2_saveexec_b64 s[30:31], s[30:31]
; %bb.150:                              ;   in Loop: Header=BB4_137 Depth=3
	v_mov_b32_e32 v0, -1
	v_cmp_gt_i16_sdwa vcc, sext(v8), v0 src0_sel:BYTE_0 src1_sel:DWORD
	v_mov_b32_e32 v0, 0xff800000
	v_mov_b32_e32 v2, 0x7f800000
	v_cndmask_b32_e32 v0, v0, v2, vcc
	v_cmp_eq_u32_e32 vcc, 0, v1
	v_mov_b32_e32 v1, 0x7f800001
	v_cndmask_b32_e32 v0, v1, v0, vcc
; %bb.151:                              ;   in Loop: Header=BB4_137 Depth=3
	s_or_b64 exec, exec, s[30:31]
.LBB4_152:                              ;   in Loop: Header=BB4_137 Depth=3
	s_or_b64 exec, exec, s[94:95]
.LBB4_153:                              ;   in Loop: Header=BB4_137 Depth=3
	s_or_b64 exec, exec, s[26:27]
	v_mul_f32_e32 v2, v21, v0
	v_and_b32_e32 v12, 0x7f800000, v2
	v_mov_b32_e32 v13, v17
	v_cmp_ne_u64_e32 vcc, s[76:77], v[12:13]
	v_and_b32_e32 v0, 0x7fffff, v2
	v_mov_b32_e32 v1, v17
                                        ; implicit-def: $vgpr59
	s_and_saveexec_b64 s[26:27], vcc
	s_xor_b64 s[94:95], exec, s[26:27]
	s_cbranch_execz .LBB4_167
; %bb.154:                              ;   in Loop: Header=BB4_137 Depth=3
	v_and_b32_e32 v12, 0x7fffffff, v2
	v_mov_b32_e32 v13, v17
	v_cmp_gt_u64_e32 vcc, s[78:79], v[12:13]
	v_and_b32_sdwa v3, v2, s96 dst_sel:DWORD dst_unused:UNUSED_PAD src0_sel:BYTE_3 src1_sel:DWORD
                                        ; implicit-def: $vgpr59
	s_and_saveexec_b64 s[26:27], vcc
	s_xor_b64 s[30:31], exec, s[26:27]
	s_cbranch_execz .LBB4_164
; %bb.155:                              ;   in Loop: Header=BB4_137 Depth=3
	v_mov_b32_e32 v59, 0
	v_cmp_ne_u32_e32 vcc, 0, v2
	s_and_saveexec_b64 s[34:35], vcc
	s_cbranch_execz .LBB4_163
; %bb.156:                              ;   in Loop: Header=BB4_137 Depth=3
	v_bfe_u32 v5, v2, 23, 8
	v_cmp_gt_u32_e64 s[26:27], s46, v5
	v_sub_u32_e32 v2, 0x71, v5
	v_cmp_eq_u32_e32 vcc, 0, v5
	v_cndmask_b32_e64 v2, 0, v2, s[26:27]
	v_mov_b32_e32 v12, 0x70
	v_cndmask_b32_e32 v12, v2, v12, vcc
	v_or_b32_e32 v13, 0x800000, v0
	v_add_u32_e32 v2, 21, v12
	v_cndmask_b32_e32 v0, v13, v0, vcc
	v_lshlrev_b64 v[13:14], v2, -1
	v_add_u32_e32 v2, 20, v12
	v_bfi_b32 v13, v13, 0, v0
	v_lshlrev_b64 v[15:16], v2, 1
	v_lshrrev_b64 v[0:1], v12, v[0:1]
	v_bfi_b32 v14, v14, 0, 0
	v_cmp_eq_u64_e64 s[26:27], v[13:14], v[15:16]
	v_mov_b32_e32 v2, v1
	v_mov_b32_e32 v1, v0
	s_and_saveexec_b64 s[36:37], s[26:27]
; %bb.157:                              ;   in Loop: Header=BB4_137 Depth=3
	v_bfe_u32 v1, v0, 21, 1
	v_add_co_u32_e64 v1, s[26:27], v0, v1
	v_add_co_u32_e64 v1, s[26:27], -1, v1
; %bb.158:                              ;   in Loop: Header=BB4_137 Depth=3
	s_or_b64 exec, exec, s[36:37]
	v_add_u32_e32 v2, 0xffffff81, v5
	v_mov_b32_e32 v5, 0xffffff82
	v_cndmask_b32_e32 v2, v2, v5, vcc
	v_lshrrev_b32_e32 v5, 23, v0
	v_add3_u32 v12, v12, v2, v5
	v_add_u32_e32 v5, 14, v12
	v_and_b32_e32 v1, 0x1fffff, v1
	v_add_u32_e32 v0, v1, v0
	v_mov_b32_e32 v1, v17
	v_cmp_ne_u32_e32 vcc, 0, v5
                                        ; implicit-def: $vgpr2
	s_and_saveexec_b64 s[26:27], vcc
	s_xor_b64 s[26:27], exec, s[26:27]
; %bb.159:                              ;   in Loop: Header=BB4_137 Depth=3
	v_cmp_lt_u64_e32 vcc, s[88:89], v[0:1]
	v_add_u32_e32 v2, 15, v12
	v_cndmask_b32_e32 v2, v5, v2, vcc
	v_cndmask_b32_e64 v5, 0, 1, vcc
	v_lshrrev_b64 v[0:1], v5, v[0:1]
; %bb.160:                              ;   in Loop: Header=BB4_137 Depth=3
	s_andn2_saveexec_b64 s[26:27], s[26:27]
; %bb.161:                              ;   in Loop: Header=BB4_137 Depth=3
	v_bfe_u32 v2, v0, 23, 1
; %bb.162:                              ;   in Loop: Header=BB4_137 Depth=3
	s_or_b64 exec, exec, s[26:27]
	v_lshrrev_b64 v[0:1], 21, v[0:1]
	v_cmp_gt_i32_e32 vcc, 32, v2
	v_cndmask_b32_e32 v1, 0, v1, vcc
	v_cndmask_b32_e32 v0, 3, v0, vcc
	v_cmp_eq_u64_e64 s[26:27], 0, v[0:1]
	v_min_i32_e32 v1, 31, v2
	v_lshlrev_b32_e32 v1, 2, v1
	v_cmp_eq_u32_e32 vcc, 0, v2
	v_and_b32_e32 v1, 0xfc, v1
	v_and_or_b32 v0, v0, 3, v1
	s_and_b64 s[26:27], vcc, s[26:27]
	v_cndmask_b32_e64 v0, v0, 0, s[26:27]
	v_or_b32_e32 v59, v0, v3
.LBB4_163:                              ;   in Loop: Header=BB4_137 Depth=3
	s_or_b64 exec, exec, s[34:35]
                                        ; implicit-def: $vgpr3
.LBB4_164:                              ;   in Loop: Header=BB4_137 Depth=3
	s_andn2_saveexec_b64 s[26:27], s[30:31]
; %bb.165:                              ;   in Loop: Header=BB4_137 Depth=3
	v_or_b32_e32 v59, 0x7b, v3
; %bb.166:                              ;   in Loop: Header=BB4_137 Depth=3
	s_or_b64 exec, exec, s[26:27]
                                        ; implicit-def: $vgpr2
                                        ; implicit-def: $vgpr0_vgpr1
.LBB4_167:                              ;   in Loop: Header=BB4_137 Depth=3
	s_andn2_saveexec_b64 s[26:27], s[94:95]
	s_cbranch_execz .LBB4_173
; %bb.168:                              ;   in Loop: Header=BB4_137 Depth=3
	v_cmp_ne_u64_e32 vcc, 0, v[0:1]
                                        ; implicit-def: $vgpr59
	s_and_saveexec_b64 s[94:95], vcc
	s_xor_b64 s[94:95], exec, s[94:95]
; %bb.169:                              ;   in Loop: Header=BB4_137 Depth=3
	v_or_b32_sdwa v59, v2, s47 dst_sel:DWORD dst_unused:UNUSED_PAD src0_sel:BYTE_3 src1_sel:DWORD
                                        ; implicit-def: $vgpr2
; %bb.170:                              ;   in Loop: Header=BB4_137 Depth=3
	s_andn2_saveexec_b64 s[94:95], s[94:95]
; %bb.171:                              ;   in Loop: Header=BB4_137 Depth=3
	v_cmp_lt_i32_e32 vcc, -1, v2
	v_bfrev_b32_e32 v0, 0.5
	v_cndmask_b32_e32 v59, v0, v52, vcc
; %bb.172:                              ;   in Loop: Header=BB4_137 Depth=3
	s_or_b64 exec, exec, s[94:95]
.LBB4_173:                              ;   in Loop: Header=BB4_137 Depth=3
	s_or_b64 exec, exec, s[26:27]
	v_lshrrev_b16_e32 v0, 8, v8
	v_cmp_ne_u16_e32 vcc, 0, v0
	v_mov_b32_e32 v1, 0
	s_and_saveexec_b64 s[26:27], vcc
	s_cbranch_execz .LBB4_181
; %bb.174:                              ;   in Loop: Header=BB4_137 Depth=3
	v_cmp_ne_u16_e32 vcc, s96, v0
	v_bfrev_b32_e32 v1, 1
	s_and_saveexec_b64 s[94:95], vcc
	s_cbranch_execz .LBB4_180
; %bb.175:                              ;   in Loop: Header=BB4_137 Depth=3
	v_and_b32_e32 v1, 0x7c, v0
	v_and_b32_e32 v2, 3, v0
	v_cmp_ne_u32_e32 vcc, s85, v1
                                        ; implicit-def: $vgpr1
	s_and_saveexec_b64 s[30:31], vcc
	s_xor_b64 s[30:31], exec, s[30:31]
	s_cbranch_execz .LBB4_177
; %bb.176:                              ;   in Loop: Header=BB4_137 Depth=3
	v_ffbh_u32_e32 v5, v2
	v_min_u32_e32 v5, 32, v5
	v_mov_b32_e32 v1, v17
	v_subrev_u32_e32 v12, 29, v5
	v_bfe_u32 v3, v0, 2, 5
	v_lshlrev_b64 v[0:1], v12, v[0:1]
	v_cmp_eq_u32_e32 vcc, 0, v3
	v_and_b32_e32 v0, 3, v0
	v_sub_u32_e32 v1, 30, v5
	v_cndmask_b32_e32 v0, v2, v0, vcc
	v_lshlrev_b32_e32 v2, 16, v8
	v_cndmask_b32_e32 v1, v3, v1, vcc
	v_and_b32_e32 v2, 0x80000000, v2
	v_lshl_add_u32 v1, v1, 23, v2
	v_lshl_or_b32 v0, v0, 21, v1
	v_add_u32_e32 v1, 0x38000000, v0
                                        ; implicit-def: $vgpr2
.LBB4_177:                              ;   in Loop: Header=BB4_137 Depth=3
	s_andn2_saveexec_b64 s[30:31], s[30:31]
; %bb.178:                              ;   in Loop: Header=BB4_137 Depth=3
	v_cmp_lt_i16_e32 vcc, -1, v8
	v_mov_b32_e32 v0, 0xff800000
	v_mov_b32_e32 v1, 0x7f800000
	v_cndmask_b32_e32 v0, v0, v1, vcc
	v_cmp_eq_u32_e32 vcc, 0, v2
	v_mov_b32_e32 v1, 0x7f800001
	v_cndmask_b32_e32 v1, v1, v0, vcc
; %bb.179:                              ;   in Loop: Header=BB4_137 Depth=3
	s_or_b64 exec, exec, s[30:31]
.LBB4_180:                              ;   in Loop: Header=BB4_137 Depth=3
	s_or_b64 exec, exec, s[94:95]
.LBB4_181:                              ;   in Loop: Header=BB4_137 Depth=3
	s_or_b64 exec, exec, s[26:27]
	v_mul_f32_e32 v2, v21, v1
	v_and_b32_e32 v12, 0x7f800000, v2
	v_mov_b32_e32 v13, v17
	v_cmp_ne_u64_e32 vcc, s[76:77], v[12:13]
	v_and_b32_e32 v0, 0x7fffff, v2
	v_mov_b32_e32 v1, v17
                                        ; implicit-def: $vgpr61
	s_and_saveexec_b64 s[26:27], vcc
	s_xor_b64 s[94:95], exec, s[26:27]
	s_cbranch_execz .LBB4_195
; %bb.182:                              ;   in Loop: Header=BB4_137 Depth=3
	v_and_b32_e32 v12, 0x7fffffff, v2
	v_mov_b32_e32 v13, v17
	v_cmp_gt_u64_e32 vcc, s[78:79], v[12:13]
	v_and_b32_sdwa v3, v2, s96 dst_sel:DWORD dst_unused:UNUSED_PAD src0_sel:BYTE_3 src1_sel:DWORD
                                        ; implicit-def: $vgpr61
	s_and_saveexec_b64 s[26:27], vcc
	s_xor_b64 s[30:31], exec, s[26:27]
	s_cbranch_execz .LBB4_192
; %bb.183:                              ;   in Loop: Header=BB4_137 Depth=3
	v_mov_b32_e32 v61, 0
	v_cmp_ne_u32_e32 vcc, 0, v2
	s_and_saveexec_b64 s[34:35], vcc
	s_cbranch_execz .LBB4_191
; %bb.184:                              ;   in Loop: Header=BB4_137 Depth=3
	v_bfe_u32 v5, v2, 23, 8
	v_cmp_gt_u32_e64 s[26:27], s46, v5
	v_sub_u32_e32 v2, 0x71, v5
	v_cmp_eq_u32_e32 vcc, 0, v5
	v_cndmask_b32_e64 v2, 0, v2, s[26:27]
	v_mov_b32_e32 v12, 0x70
	v_cndmask_b32_e32 v12, v2, v12, vcc
	v_or_b32_e32 v13, 0x800000, v0
	v_add_u32_e32 v2, 21, v12
	v_cndmask_b32_e32 v0, v13, v0, vcc
	v_lshlrev_b64 v[13:14], v2, -1
	v_add_u32_e32 v2, 20, v12
	v_bfi_b32 v13, v13, 0, v0
	v_lshlrev_b64 v[15:16], v2, 1
	v_lshrrev_b64 v[0:1], v12, v[0:1]
	v_bfi_b32 v14, v14, 0, 0
	v_cmp_eq_u64_e64 s[26:27], v[13:14], v[15:16]
	v_mov_b32_e32 v2, v1
	v_mov_b32_e32 v1, v0
	s_and_saveexec_b64 s[36:37], s[26:27]
; %bb.185:                              ;   in Loop: Header=BB4_137 Depth=3
	v_bfe_u32 v1, v0, 21, 1
	v_add_co_u32_e64 v1, s[26:27], v0, v1
	v_add_co_u32_e64 v1, s[26:27], -1, v1
; %bb.186:                              ;   in Loop: Header=BB4_137 Depth=3
	s_or_b64 exec, exec, s[36:37]
	v_add_u32_e32 v2, 0xffffff81, v5
	v_mov_b32_e32 v5, 0xffffff82
	v_cndmask_b32_e32 v2, v2, v5, vcc
	v_lshrrev_b32_e32 v5, 23, v0
	v_add3_u32 v12, v12, v2, v5
	v_add_u32_e32 v5, 14, v12
	v_and_b32_e32 v1, 0x1fffff, v1
	v_add_u32_e32 v0, v1, v0
	v_mov_b32_e32 v1, v17
	v_cmp_ne_u32_e32 vcc, 0, v5
                                        ; implicit-def: $vgpr2
	s_and_saveexec_b64 s[26:27], vcc
	s_xor_b64 s[26:27], exec, s[26:27]
; %bb.187:                              ;   in Loop: Header=BB4_137 Depth=3
	v_cmp_lt_u64_e32 vcc, s[88:89], v[0:1]
	v_add_u32_e32 v2, 15, v12
	v_cndmask_b32_e32 v2, v5, v2, vcc
	v_cndmask_b32_e64 v5, 0, 1, vcc
	v_lshrrev_b64 v[0:1], v5, v[0:1]
; %bb.188:                              ;   in Loop: Header=BB4_137 Depth=3
	s_andn2_saveexec_b64 s[26:27], s[26:27]
; %bb.189:                              ;   in Loop: Header=BB4_137 Depth=3
	v_bfe_u32 v2, v0, 23, 1
; %bb.190:                              ;   in Loop: Header=BB4_137 Depth=3
	s_or_b64 exec, exec, s[26:27]
	v_lshrrev_b64 v[0:1], 21, v[0:1]
	v_cmp_gt_i32_e32 vcc, 32, v2
	v_cndmask_b32_e32 v1, 0, v1, vcc
	v_cndmask_b32_e32 v0, 3, v0, vcc
	v_cmp_eq_u64_e64 s[26:27], 0, v[0:1]
	v_min_i32_e32 v1, 31, v2
	v_lshlrev_b32_e32 v1, 2, v1
	v_cmp_eq_u32_e32 vcc, 0, v2
	v_and_b32_e32 v1, 0xfc, v1
	v_and_or_b32 v0, v0, 3, v1
	s_and_b64 s[26:27], vcc, s[26:27]
	v_cndmask_b32_e64 v0, v0, 0, s[26:27]
	v_or_b32_e32 v61, v0, v3
.LBB4_191:                              ;   in Loop: Header=BB4_137 Depth=3
	s_or_b64 exec, exec, s[34:35]
                                        ; implicit-def: $vgpr3
.LBB4_192:                              ;   in Loop: Header=BB4_137 Depth=3
	s_andn2_saveexec_b64 s[26:27], s[30:31]
; %bb.193:                              ;   in Loop: Header=BB4_137 Depth=3
	v_or_b32_e32 v61, 0x7b, v3
; %bb.194:                              ;   in Loop: Header=BB4_137 Depth=3
	s_or_b64 exec, exec, s[26:27]
                                        ; implicit-def: $vgpr2
                                        ; implicit-def: $vgpr0_vgpr1
.LBB4_195:                              ;   in Loop: Header=BB4_137 Depth=3
	s_andn2_saveexec_b64 s[26:27], s[94:95]
	s_cbranch_execz .LBB4_201
; %bb.196:                              ;   in Loop: Header=BB4_137 Depth=3
	v_cmp_ne_u64_e32 vcc, 0, v[0:1]
                                        ; implicit-def: $vgpr61
	s_and_saveexec_b64 s[94:95], vcc
	s_xor_b64 s[94:95], exec, s[94:95]
; %bb.197:                              ;   in Loop: Header=BB4_137 Depth=3
	v_or_b32_sdwa v61, v2, s47 dst_sel:DWORD dst_unused:UNUSED_PAD src0_sel:BYTE_3 src1_sel:DWORD
                                        ; implicit-def: $vgpr2
; %bb.198:                              ;   in Loop: Header=BB4_137 Depth=3
	s_andn2_saveexec_b64 s[94:95], s[94:95]
; %bb.199:                              ;   in Loop: Header=BB4_137 Depth=3
	v_cmp_lt_i32_e32 vcc, -1, v2
	v_bfrev_b32_e32 v0, 0.5
	v_cndmask_b32_e32 v61, v0, v52, vcc
; %bb.200:                              ;   in Loop: Header=BB4_137 Depth=3
	s_or_b64 exec, exec, s[94:95]
.LBB4_201:                              ;   in Loop: Header=BB4_137 Depth=3
	s_or_b64 exec, exec, s[26:27]
	v_lshrrev_b32_e32 v0, 16, v8
	v_cmp_ne_u16_sdwa s[94:95], v0, v17 src0_sel:BYTE_0 src1_sel:DWORD
	v_mov_b32_e32 v1, 0
	s_and_saveexec_b64 s[26:27], s[94:95]
	s_cbranch_execz .LBB4_209
; %bb.202:                              ;   in Loop: Header=BB4_137 Depth=3
	v_cmp_ne_u16_sdwa vcc, v0, s96 src0_sel:BYTE_0 src1_sel:DWORD
	v_bfrev_b32_e32 v1, 1
	s_and_saveexec_b64 s[94:95], vcc
	s_cbranch_execz .LBB4_208
; %bb.203:                              ;   in Loop: Header=BB4_137 Depth=3
	v_and_b32_e32 v1, 0x7c0000, v8
	v_bfe_u32 v2, v8, 16, 2
	v_cmp_ne_u32_e32 vcc, s44, v1
                                        ; implicit-def: $vgpr1
	s_and_saveexec_b64 s[30:31], vcc
	s_xor_b64 s[30:31], exec, s[30:31]
	s_cbranch_execz .LBB4_205
; %bb.204:                              ;   in Loop: Header=BB4_137 Depth=3
	v_ffbh_u32_e32 v1, v2
	v_min_u32_e32 v5, 32, v1
	v_subrev_u32_e32 v1, 29, v5
	v_lshlrev_b64 v[0:1], v1, v[0:1]
	v_bfe_u32 v3, v8, 18, 5
	v_and_b32_e32 v0, 3, v0
	v_cmp_eq_u32_e32 vcc, 0, v3
	v_sub_u32_e32 v1, 30, v5
	v_cndmask_b32_e32 v0, v2, v0, vcc
	v_lshlrev_b32_e32 v2, 8, v8
	v_cndmask_b32_e32 v1, v3, v1, vcc
	v_and_b32_e32 v2, 0x80000000, v2
	v_lshl_add_u32 v1, v1, 23, v2
	v_lshl_or_b32 v0, v0, 21, v1
	v_add_u32_e32 v1, 0x38000000, v0
                                        ; implicit-def: $vgpr2
                                        ; implicit-def: $vgpr0
.LBB4_205:                              ;   in Loop: Header=BB4_137 Depth=3
	s_andn2_saveexec_b64 s[30:31], s[30:31]
; %bb.206:                              ;   in Loop: Header=BB4_137 Depth=3
	v_mov_b32_e32 v1, -1
	v_cmp_gt_i16_sdwa vcc, sext(v0), v1 src0_sel:BYTE_0 src1_sel:DWORD
	v_mov_b32_e32 v0, 0xff800000
	v_mov_b32_e32 v1, 0x7f800000
	v_cndmask_b32_e32 v0, v0, v1, vcc
	v_cmp_eq_u32_e32 vcc, 0, v2
	v_mov_b32_e32 v1, 0x7f800001
	v_cndmask_b32_e32 v1, v1, v0, vcc
; %bb.207:                              ;   in Loop: Header=BB4_137 Depth=3
	s_or_b64 exec, exec, s[30:31]
.LBB4_208:                              ;   in Loop: Header=BB4_137 Depth=3
	s_or_b64 exec, exec, s[94:95]
.LBB4_209:                              ;   in Loop: Header=BB4_137 Depth=3
	s_or_b64 exec, exec, s[26:27]
	v_mul_f32_e32 v2, v21, v1
	v_and_b32_e32 v12, 0x7f800000, v2
	v_mov_b32_e32 v13, v17
	v_cmp_ne_u64_e32 vcc, s[76:77], v[12:13]
	v_and_b32_e32 v0, 0x7fffff, v2
	v_mov_b32_e32 v1, v17
                                        ; implicit-def: $vgpr57
	s_and_saveexec_b64 s[26:27], vcc
	s_xor_b64 s[94:95], exec, s[26:27]
	s_cbranch_execz .LBB4_223
; %bb.210:                              ;   in Loop: Header=BB4_137 Depth=3
	v_and_b32_e32 v12, 0x7fffffff, v2
	v_mov_b32_e32 v13, v17
	v_cmp_gt_u64_e32 vcc, s[78:79], v[12:13]
	v_and_b32_sdwa v3, v2, s96 dst_sel:DWORD dst_unused:UNUSED_PAD src0_sel:BYTE_3 src1_sel:DWORD
                                        ; implicit-def: $vgpr57
	s_and_saveexec_b64 s[26:27], vcc
	s_xor_b64 s[30:31], exec, s[26:27]
	s_cbranch_execz .LBB4_220
; %bb.211:                              ;   in Loop: Header=BB4_137 Depth=3
	v_mov_b32_e32 v57, 0
	v_cmp_ne_u32_e32 vcc, 0, v2
	s_and_saveexec_b64 s[34:35], vcc
	s_cbranch_execz .LBB4_219
; %bb.212:                              ;   in Loop: Header=BB4_137 Depth=3
	v_bfe_u32 v5, v2, 23, 8
	v_cmp_gt_u32_e64 s[26:27], s46, v5
	v_sub_u32_e32 v2, 0x71, v5
	v_cmp_eq_u32_e32 vcc, 0, v5
	v_cndmask_b32_e64 v2, 0, v2, s[26:27]
	v_mov_b32_e32 v12, 0x70
	v_cndmask_b32_e32 v12, v2, v12, vcc
	v_or_b32_e32 v13, 0x800000, v0
	v_add_u32_e32 v2, 21, v12
	v_cndmask_b32_e32 v0, v13, v0, vcc
	v_lshlrev_b64 v[13:14], v2, -1
	v_add_u32_e32 v2, 20, v12
	v_bfi_b32 v13, v13, 0, v0
	v_lshlrev_b64 v[15:16], v2, 1
	v_lshrrev_b64 v[0:1], v12, v[0:1]
	v_bfi_b32 v14, v14, 0, 0
	v_cmp_eq_u64_e64 s[26:27], v[13:14], v[15:16]
	v_mov_b32_e32 v2, v1
	v_mov_b32_e32 v1, v0
	s_and_saveexec_b64 s[36:37], s[26:27]
; %bb.213:                              ;   in Loop: Header=BB4_137 Depth=3
	v_bfe_u32 v1, v0, 21, 1
	v_add_co_u32_e64 v1, s[26:27], v0, v1
	v_add_co_u32_e64 v1, s[26:27], -1, v1
; %bb.214:                              ;   in Loop: Header=BB4_137 Depth=3
	s_or_b64 exec, exec, s[36:37]
	v_add_u32_e32 v2, 0xffffff81, v5
	v_mov_b32_e32 v5, 0xffffff82
	v_cndmask_b32_e32 v2, v2, v5, vcc
	v_lshrrev_b32_e32 v5, 23, v0
	v_add3_u32 v12, v12, v2, v5
	v_add_u32_e32 v5, 14, v12
	v_and_b32_e32 v1, 0x1fffff, v1
	v_add_u32_e32 v0, v1, v0
	v_mov_b32_e32 v1, v17
	v_cmp_ne_u32_e32 vcc, 0, v5
                                        ; implicit-def: $vgpr2
	s_and_saveexec_b64 s[26:27], vcc
	s_xor_b64 s[26:27], exec, s[26:27]
; %bb.215:                              ;   in Loop: Header=BB4_137 Depth=3
	v_cmp_lt_u64_e32 vcc, s[88:89], v[0:1]
	v_add_u32_e32 v2, 15, v12
	v_cndmask_b32_e32 v2, v5, v2, vcc
	v_cndmask_b32_e64 v5, 0, 1, vcc
	v_lshrrev_b64 v[0:1], v5, v[0:1]
; %bb.216:                              ;   in Loop: Header=BB4_137 Depth=3
	s_andn2_saveexec_b64 s[26:27], s[26:27]
; %bb.217:                              ;   in Loop: Header=BB4_137 Depth=3
	v_bfe_u32 v2, v0, 23, 1
; %bb.218:                              ;   in Loop: Header=BB4_137 Depth=3
	s_or_b64 exec, exec, s[26:27]
	v_lshrrev_b64 v[0:1], 21, v[0:1]
	v_cmp_gt_i32_e32 vcc, 32, v2
	v_cndmask_b32_e32 v1, 0, v1, vcc
	v_cndmask_b32_e32 v0, 3, v0, vcc
	v_cmp_eq_u64_e64 s[26:27], 0, v[0:1]
	v_min_i32_e32 v1, 31, v2
	v_lshlrev_b32_e32 v1, 2, v1
	v_cmp_eq_u32_e32 vcc, 0, v2
	v_and_b32_e32 v1, 0xfc, v1
	v_and_or_b32 v0, v0, 3, v1
	s_and_b64 s[26:27], vcc, s[26:27]
	v_cndmask_b32_e64 v0, v0, 0, s[26:27]
	v_or_b32_e32 v57, v0, v3
.LBB4_219:                              ;   in Loop: Header=BB4_137 Depth=3
	s_or_b64 exec, exec, s[34:35]
                                        ; implicit-def: $vgpr3
.LBB4_220:                              ;   in Loop: Header=BB4_137 Depth=3
	s_andn2_saveexec_b64 s[26:27], s[30:31]
; %bb.221:                              ;   in Loop: Header=BB4_137 Depth=3
	v_or_b32_e32 v57, 0x7b, v3
; %bb.222:                              ;   in Loop: Header=BB4_137 Depth=3
	s_or_b64 exec, exec, s[26:27]
                                        ; implicit-def: $vgpr2
                                        ; implicit-def: $vgpr0_vgpr1
.LBB4_223:                              ;   in Loop: Header=BB4_137 Depth=3
	s_andn2_saveexec_b64 s[26:27], s[94:95]
	s_cbranch_execz .LBB4_229
; %bb.224:                              ;   in Loop: Header=BB4_137 Depth=3
	v_cmp_ne_u64_e32 vcc, 0, v[0:1]
                                        ; implicit-def: $vgpr57
	s_and_saveexec_b64 s[94:95], vcc
	s_xor_b64 s[94:95], exec, s[94:95]
; %bb.225:                              ;   in Loop: Header=BB4_137 Depth=3
	v_or_b32_sdwa v57, v2, s47 dst_sel:DWORD dst_unused:UNUSED_PAD src0_sel:BYTE_3 src1_sel:DWORD
                                        ; implicit-def: $vgpr2
; %bb.226:                              ;   in Loop: Header=BB4_137 Depth=3
	s_andn2_saveexec_b64 s[94:95], s[94:95]
; %bb.227:                              ;   in Loop: Header=BB4_137 Depth=3
	v_cmp_lt_i32_e32 vcc, -1, v2
	v_bfrev_b32_e32 v0, 0.5
	v_cndmask_b32_e32 v57, v0, v52, vcc
; %bb.228:                              ;   in Loop: Header=BB4_137 Depth=3
	s_or_b64 exec, exec, s[94:95]
.LBB4_229:                              ;   in Loop: Header=BB4_137 Depth=3
	s_or_b64 exec, exec, s[26:27]
	v_cmp_lt_u32_e32 vcc, s57, v8
	v_mov_b32_e32 v1, 0
	s_and_saveexec_b64 s[26:27], vcc
	s_cbranch_execz .LBB4_237
; %bb.230:                              ;   in Loop: Header=BB4_137 Depth=3
	v_lshrrev_b32_e32 v0, 24, v8
	v_cmp_ne_u32_e32 vcc, s96, v0
	v_bfrev_b32_e32 v1, 1
	s_and_saveexec_b64 s[94:95], vcc
	s_cbranch_execz .LBB4_236
; %bb.231:                              ;   in Loop: Header=BB4_137 Depth=3
	v_and_b32_e32 v1, 0x7c000000, v8
	v_bfe_u32 v2, v8, 24, 2
	v_cmp_ne_u32_e32 vcc, s45, v1
                                        ; implicit-def: $vgpr1
	s_and_saveexec_b64 s[30:31], vcc
	s_xor_b64 s[30:31], exec, s[30:31]
	s_cbranch_execz .LBB4_233
; %bb.232:                              ;   in Loop: Header=BB4_137 Depth=3
	v_ffbh_u32_e32 v1, v2
	v_min_u32_e32 v5, 32, v1
	v_subrev_u32_e32 v1, 29, v5
	v_lshlrev_b64 v[0:1], v1, v[0:1]
	v_bfe_u32 v3, v8, 26, 5
	v_sub_u32_e32 v1, 30, v5
	v_and_b32_e32 v0, 3, v0
	v_cmp_eq_u32_e32 vcc, 0, v3
	v_cndmask_b32_e32 v1, v3, v1, vcc
	v_cndmask_b32_e32 v0, v2, v0, vcc
	v_and_b32_e32 v2, 0x80000000, v8
	v_lshl_add_u32 v1, v1, 23, v2
	v_lshl_or_b32 v0, v0, 21, v1
	v_add_u32_e32 v1, 0x38000000, v0
                                        ; implicit-def: $vgpr2
.LBB4_233:                              ;   in Loop: Header=BB4_137 Depth=3
	s_andn2_saveexec_b64 s[30:31], s[30:31]
; %bb.234:                              ;   in Loop: Header=BB4_137 Depth=3
	v_cmp_lt_i32_e32 vcc, -1, v8
	v_mov_b32_e32 v0, 0xff800000
	v_mov_b32_e32 v1, 0x7f800000
	v_cndmask_b32_e32 v0, v0, v1, vcc
	v_cmp_eq_u32_e32 vcc, 0, v2
	v_mov_b32_e32 v1, 0x7f800001
	v_cndmask_b32_e32 v1, v1, v0, vcc
; %bb.235:                              ;   in Loop: Header=BB4_137 Depth=3
	s_or_b64 exec, exec, s[30:31]
.LBB4_236:                              ;   in Loop: Header=BB4_137 Depth=3
	s_or_b64 exec, exec, s[94:95]
.LBB4_237:                              ;   in Loop: Header=BB4_137 Depth=3
	s_or_b64 exec, exec, s[26:27]
	v_mul_f32_e32 v2, v21, v1
	v_and_b32_e32 v12, 0x7f800000, v2
	v_mov_b32_e32 v13, v17
	v_cmp_ne_u64_e32 vcc, s[76:77], v[12:13]
	v_and_b32_e32 v0, 0x7fffff, v2
	v_mov_b32_e32 v1, v17
                                        ; implicit-def: $vgpr3
                                        ; kill: killed $vgpr3
	s_and_saveexec_b64 s[26:27], vcc
	s_xor_b64 s[94:95], exec, s[26:27]
	s_cbranch_execz .LBB4_251
; %bb.238:                              ;   in Loop: Header=BB4_137 Depth=3
	v_and_b32_e32 v12, 0x7fffffff, v2
	v_mov_b32_e32 v13, v17
	v_cmp_gt_u64_e32 vcc, s[78:79], v[12:13]
	v_and_b32_sdwa v3, v2, s96 dst_sel:DWORD dst_unused:UNUSED_PAD src0_sel:BYTE_3 src1_sel:DWORD
                                        ; implicit-def: $vgpr5
                                        ; kill: killed $vgpr5
	s_and_saveexec_b64 s[26:27], vcc
	s_xor_b64 s[30:31], exec, s[26:27]
	s_cbranch_execz .LBB4_248
; %bb.239:                              ;   in Loop: Header=BB4_137 Depth=3
	v_mov_b32_e32 v5, 0
	v_cmp_ne_u32_e32 vcc, 0, v2
	buffer_store_dword v5, off, s[0:3], s33 offset:100 ; 4-byte Folded Spill
	s_and_saveexec_b64 s[34:35], vcc
	s_cbranch_execz .LBB4_247
; %bb.240:                              ;   in Loop: Header=BB4_137 Depth=3
	v_bfe_u32 v5, v2, 23, 8
	v_cmp_gt_u32_e64 s[26:27], s46, v5
	v_sub_u32_e32 v2, 0x71, v5
	v_cmp_eq_u32_e32 vcc, 0, v5
	v_cndmask_b32_e64 v2, 0, v2, s[26:27]
	v_mov_b32_e32 v12, 0x70
	v_cndmask_b32_e32 v12, v2, v12, vcc
	v_or_b32_e32 v13, 0x800000, v0
	v_add_u32_e32 v2, 21, v12
	v_cndmask_b32_e32 v0, v13, v0, vcc
	v_lshlrev_b64 v[13:14], v2, -1
	v_add_u32_e32 v2, 20, v12
	v_bfi_b32 v13, v13, 0, v0
	v_lshlrev_b64 v[15:16], v2, 1
	v_lshrrev_b64 v[0:1], v12, v[0:1]
	v_bfi_b32 v14, v14, 0, 0
	v_cmp_eq_u64_e64 s[26:27], v[13:14], v[15:16]
	v_mov_b32_e32 v2, v1
	v_mov_b32_e32 v1, v0
	s_and_saveexec_b64 s[36:37], s[26:27]
; %bb.241:                              ;   in Loop: Header=BB4_137 Depth=3
	v_bfe_u32 v1, v0, 21, 1
	v_add_co_u32_e64 v1, s[26:27], v0, v1
	v_add_co_u32_e64 v1, s[26:27], -1, v1
; %bb.242:                              ;   in Loop: Header=BB4_137 Depth=3
	s_or_b64 exec, exec, s[36:37]
	v_add_u32_e32 v2, 0xffffff81, v5
	v_mov_b32_e32 v5, 0xffffff82
	v_cndmask_b32_e32 v2, v2, v5, vcc
	v_lshrrev_b32_e32 v5, 23, v0
	v_add3_u32 v12, v12, v2, v5
	v_add_u32_e32 v5, 14, v12
	v_and_b32_e32 v1, 0x1fffff, v1
	v_add_u32_e32 v0, v1, v0
	v_mov_b32_e32 v1, v17
	v_cmp_ne_u32_e32 vcc, 0, v5
                                        ; implicit-def: $vgpr2
	s_and_saveexec_b64 s[26:27], vcc
	s_xor_b64 s[26:27], exec, s[26:27]
; %bb.243:                              ;   in Loop: Header=BB4_137 Depth=3
	v_cmp_lt_u64_e32 vcc, s[88:89], v[0:1]
	v_add_u32_e32 v2, 15, v12
	v_cndmask_b32_e32 v2, v5, v2, vcc
	v_cndmask_b32_e64 v5, 0, 1, vcc
	v_lshrrev_b64 v[0:1], v5, v[0:1]
; %bb.244:                              ;   in Loop: Header=BB4_137 Depth=3
	s_andn2_saveexec_b64 s[26:27], s[26:27]
; %bb.245:                              ;   in Loop: Header=BB4_137 Depth=3
	v_bfe_u32 v2, v0, 23, 1
; %bb.246:                              ;   in Loop: Header=BB4_137 Depth=3
	s_or_b64 exec, exec, s[26:27]
	v_lshrrev_b64 v[0:1], 21, v[0:1]
	v_cmp_gt_i32_e32 vcc, 32, v2
	v_cndmask_b32_e32 v1, 0, v1, vcc
	v_cndmask_b32_e32 v0, 3, v0, vcc
	v_cmp_eq_u64_e64 s[26:27], 0, v[0:1]
	v_min_i32_e32 v1, 31, v2
	v_lshlrev_b32_e32 v1, 2, v1
	v_cmp_eq_u32_e32 vcc, 0, v2
	v_and_b32_e32 v1, 0xfc, v1
	v_and_or_b32 v0, v0, 3, v1
	s_and_b64 s[26:27], vcc, s[26:27]
	v_cndmask_b32_e64 v0, v0, 0, s[26:27]
	v_or_b32_e32 v0, v0, v3
	buffer_store_dword v0, off, s[0:3], s33 offset:100 ; 4-byte Folded Spill
.LBB4_247:                              ;   in Loop: Header=BB4_137 Depth=3
	s_or_b64 exec, exec, s[34:35]
                                        ; implicit-def: $vgpr3
.LBB4_248:                              ;   in Loop: Header=BB4_137 Depth=3
	s_andn2_saveexec_b64 s[26:27], s[30:31]
	s_cbranch_execz .LBB4_250
; %bb.249:                              ;   in Loop: Header=BB4_137 Depth=3
	v_or_b32_e32 v0, 0x7b, v3
	buffer_store_dword v0, off, s[0:3], s33 offset:100 ; 4-byte Folded Spill
.LBB4_250:                              ;   in Loop: Header=BB4_137 Depth=3
	s_or_b64 exec, exec, s[26:27]
                                        ; implicit-def: $vgpr2
                                        ; implicit-def: $vgpr0_vgpr1
.LBB4_251:                              ;   in Loop: Header=BB4_137 Depth=3
	s_andn2_saveexec_b64 s[26:27], s[94:95]
	s_cbranch_execz .LBB4_257
; %bb.252:                              ;   in Loop: Header=BB4_137 Depth=3
	v_cmp_ne_u64_e32 vcc, 0, v[0:1]
                                        ; implicit-def: $vgpr0
                                        ; kill: killed $vgpr0
	s_and_saveexec_b64 s[94:95], vcc
	s_xor_b64 s[94:95], exec, s[94:95]
	s_cbranch_execz .LBB4_254
; %bb.253:                              ;   in Loop: Header=BB4_137 Depth=3
	v_or_b32_sdwa v0, v2, s47 dst_sel:DWORD dst_unused:UNUSED_PAD src0_sel:BYTE_3 src1_sel:DWORD
	buffer_store_dword v0, off, s[0:3], s33 offset:100 ; 4-byte Folded Spill
                                        ; implicit-def: $vgpr2
.LBB4_254:                              ;   in Loop: Header=BB4_137 Depth=3
	s_andn2_saveexec_b64 s[94:95], s[94:95]
	s_cbranch_execz .LBB4_256
; %bb.255:                              ;   in Loop: Header=BB4_137 Depth=3
	v_cmp_lt_i32_e32 vcc, -1, v2
	v_bfrev_b32_e32 v0, 0.5
	v_cndmask_b32_e32 v0, v0, v52, vcc
	buffer_store_dword v0, off, s[0:3], s33 offset:100 ; 4-byte Folded Spill
.LBB4_256:                              ;   in Loop: Header=BB4_137 Depth=3
	s_or_b64 exec, exec, s[94:95]
.LBB4_257:                              ;   in Loop: Header=BB4_137 Depth=3
	s_or_b64 exec, exec, s[26:27]
	v_mov_b32_e32 v0, v9
	v_mov_b32_e32 v1, v17
	v_cmp_ne_u16_sdwa s[94:95], v9, v17 src0_sel:BYTE_0 src1_sel:DWORD
	v_mov_b32_e32 v2, 0
	s_and_saveexec_b64 s[26:27], s[94:95]
	s_cbranch_execz .LBB4_265
; %bb.258:                              ;   in Loop: Header=BB4_137 Depth=3
	v_cmp_ne_u16_sdwa vcc, v9, s96 src0_sel:BYTE_0 src1_sel:DWORD
	v_bfrev_b32_e32 v2, 1
	s_and_saveexec_b64 s[94:95], vcc
	s_cbranch_execz .LBB4_264
; %bb.259:                              ;   in Loop: Header=BB4_137 Depth=3
	v_and_b32_e32 v2, 0x7c, v9
	v_and_b32_e32 v3, 3, v9
	v_cmp_ne_u32_e32 vcc, s85, v2
                                        ; implicit-def: $vgpr2
	s_and_saveexec_b64 s[30:31], vcc
	s_xor_b64 s[30:31], exec, s[30:31]
	s_cbranch_execz .LBB4_261
; %bb.260:                              ;   in Loop: Header=BB4_137 Depth=3
	v_ffbh_u32_e32 v2, v3
	v_min_u32_e32 v12, 32, v2
	v_subrev_u32_e32 v2, 29, v12
	v_lshlrev_b64 v[1:2], v2, v[0:1]
	v_bfe_u32 v5, v9, 2, 5
	v_and_b32_e32 v1, 3, v1
	v_cmp_eq_u32_e32 vcc, 0, v5
	v_sub_u32_e32 v2, 30, v12
	v_cndmask_b32_e32 v1, v3, v1, vcc
	v_lshlrev_b32_e32 v3, 24, v9
	v_cndmask_b32_e32 v2, v5, v2, vcc
	v_and_b32_e32 v3, 0x80000000, v3
	v_lshl_add_u32 v2, v2, 23, v3
	v_lshl_or_b32 v1, v1, 21, v2
	v_add_u32_e32 v2, 0x38000000, v1
                                        ; implicit-def: $vgpr3
.LBB4_261:                              ;   in Loop: Header=BB4_137 Depth=3
	s_andn2_saveexec_b64 s[30:31], s[30:31]
; %bb.262:                              ;   in Loop: Header=BB4_137 Depth=3
	v_mov_b32_e32 v1, -1
	v_cmp_gt_i16_sdwa vcc, sext(v9), v1 src0_sel:BYTE_0 src1_sel:DWORD
	v_mov_b32_e32 v1, 0xff800000
	v_mov_b32_e32 v2, 0x7f800000
	v_cndmask_b32_e32 v1, v1, v2, vcc
	v_cmp_eq_u32_e32 vcc, 0, v3
	v_mov_b32_e32 v2, 0x7f800001
	v_cndmask_b32_e32 v2, v2, v1, vcc
; %bb.263:                              ;   in Loop: Header=BB4_137 Depth=3
	s_or_b64 exec, exec, s[30:31]
.LBB4_264:                              ;   in Loop: Header=BB4_137 Depth=3
	s_or_b64 exec, exec, s[94:95]
.LBB4_265:                              ;   in Loop: Header=BB4_137 Depth=3
	s_or_b64 exec, exec, s[26:27]
	v_mul_f32_e32 v3, v21, v2
	v_and_b32_e32 v12, 0x7f800000, v3
	v_mov_b32_e32 v13, v17
	v_cmp_ne_u64_e32 vcc, s[76:77], v[12:13]
	v_and_b32_e32 v1, 0x7fffff, v3
	v_mov_b32_e32 v2, v17
                                        ; implicit-def: $vgpr5
                                        ; kill: killed $vgpr5
	s_and_saveexec_b64 s[26:27], vcc
	s_xor_b64 s[94:95], exec, s[26:27]
	s_cbranch_execz .LBB4_279
; %bb.266:                              ;   in Loop: Header=BB4_137 Depth=3
	v_and_b32_e32 v12, 0x7fffffff, v3
	v_mov_b32_e32 v13, v17
	v_cmp_gt_u64_e32 vcc, s[78:79], v[12:13]
	v_and_b32_sdwa v5, v3, s96 dst_sel:DWORD dst_unused:UNUSED_PAD src0_sel:BYTE_3 src1_sel:DWORD
                                        ; implicit-def: $vgpr12
                                        ; kill: killed $vgpr12
	s_and_saveexec_b64 s[26:27], vcc
	s_xor_b64 s[30:31], exec, s[26:27]
	s_cbranch_execz .LBB4_276
; %bb.267:                              ;   in Loop: Header=BB4_137 Depth=3
	v_mov_b32_e32 v12, 0
	v_cmp_ne_u32_e32 vcc, 0, v3
	buffer_store_dword v12, off, s[0:3], s33 offset:148 ; 4-byte Folded Spill
	s_and_saveexec_b64 s[34:35], vcc
	s_cbranch_execz .LBB4_275
; %bb.268:                              ;   in Loop: Header=BB4_137 Depth=3
	v_bfe_u32 v12, v3, 23, 8
	v_cmp_gt_u32_e64 s[26:27], s46, v12
	v_sub_u32_e32 v3, 0x71, v12
	v_cmp_eq_u32_e32 vcc, 0, v12
	v_cndmask_b32_e64 v3, 0, v3, s[26:27]
	v_mov_b32_e32 v13, 0x70
	v_cndmask_b32_e32 v13, v3, v13, vcc
	v_or_b32_e32 v14, 0x800000, v1
	v_add_u32_e32 v3, 21, v13
	v_cndmask_b32_e32 v1, v14, v1, vcc
	v_lshlrev_b64 v[14:15], v3, -1
	v_add_u32_e32 v3, 20, v13
	v_bfi_b32 v14, v14, 0, v1
	v_lshlrev_b64 v[19:20], v3, 1
	v_lshrrev_b64 v[1:2], v13, v[1:2]
	v_bfi_b32 v15, v15, 0, 0
	v_cmp_eq_u64_e64 s[26:27], v[14:15], v[19:20]
	v_mov_b32_e32 v3, v2
	v_mov_b32_e32 v2, v1
	s_and_saveexec_b64 s[36:37], s[26:27]
; %bb.269:                              ;   in Loop: Header=BB4_137 Depth=3
	v_bfe_u32 v2, v1, 21, 1
	v_add_co_u32_e64 v2, s[26:27], v1, v2
	v_add_co_u32_e64 v2, s[26:27], -1, v2
; %bb.270:                              ;   in Loop: Header=BB4_137 Depth=3
	s_or_b64 exec, exec, s[36:37]
	v_add_u32_e32 v3, 0xffffff81, v12
	v_mov_b32_e32 v12, 0xffffff82
	v_cndmask_b32_e32 v3, v3, v12, vcc
	v_lshrrev_b32_e32 v12, 23, v1
	v_add3_u32 v13, v13, v3, v12
	v_add_u32_e32 v12, 14, v13
	v_and_b32_e32 v2, 0x1fffff, v2
	v_add_u32_e32 v1, v2, v1
	v_mov_b32_e32 v2, v17
	v_cmp_ne_u32_e32 vcc, 0, v12
                                        ; implicit-def: $vgpr3
	s_and_saveexec_b64 s[26:27], vcc
	s_xor_b64 s[26:27], exec, s[26:27]
; %bb.271:                              ;   in Loop: Header=BB4_137 Depth=3
	v_cmp_lt_u64_e32 vcc, s[88:89], v[1:2]
	v_add_u32_e32 v3, 15, v13
	v_cndmask_b32_e32 v3, v12, v3, vcc
	v_cndmask_b32_e64 v12, 0, 1, vcc
	v_lshrrev_b64 v[1:2], v12, v[1:2]
; %bb.272:                              ;   in Loop: Header=BB4_137 Depth=3
	s_andn2_saveexec_b64 s[26:27], s[26:27]
; %bb.273:                              ;   in Loop: Header=BB4_137 Depth=3
	v_bfe_u32 v3, v1, 23, 1
; %bb.274:                              ;   in Loop: Header=BB4_137 Depth=3
	s_or_b64 exec, exec, s[26:27]
	v_lshrrev_b64 v[1:2], 21, v[1:2]
	v_cmp_gt_i32_e32 vcc, 32, v3
	v_cndmask_b32_e32 v2, 0, v2, vcc
	v_cndmask_b32_e32 v1, 3, v1, vcc
	v_cmp_eq_u64_e64 s[26:27], 0, v[1:2]
	v_min_i32_e32 v2, 31, v3
	v_lshlrev_b32_e32 v2, 2, v2
	v_cmp_eq_u32_e32 vcc, 0, v3
	v_and_b32_e32 v2, 0xfc, v2
	v_and_or_b32 v1, v1, 3, v2
	s_and_b64 s[26:27], vcc, s[26:27]
	v_cndmask_b32_e64 v1, v1, 0, s[26:27]
	v_or_b32_e32 v1, v1, v5
	buffer_store_dword v1, off, s[0:3], s33 offset:148 ; 4-byte Folded Spill
.LBB4_275:                              ;   in Loop: Header=BB4_137 Depth=3
	s_or_b64 exec, exec, s[34:35]
                                        ; implicit-def: $vgpr5
.LBB4_276:                              ;   in Loop: Header=BB4_137 Depth=3
	s_andn2_saveexec_b64 s[26:27], s[30:31]
	s_cbranch_execz .LBB4_278
; %bb.277:                              ;   in Loop: Header=BB4_137 Depth=3
	v_or_b32_e32 v1, 0x7b, v5
	buffer_store_dword v1, off, s[0:3], s33 offset:148 ; 4-byte Folded Spill
.LBB4_278:                              ;   in Loop: Header=BB4_137 Depth=3
	s_or_b64 exec, exec, s[26:27]
                                        ; implicit-def: $vgpr3
                                        ; implicit-def: $vgpr1_vgpr2
.LBB4_279:                              ;   in Loop: Header=BB4_137 Depth=3
	s_andn2_saveexec_b64 s[26:27], s[94:95]
	s_cbranch_execz .LBB4_285
; %bb.280:                              ;   in Loop: Header=BB4_137 Depth=3
	v_cmp_ne_u64_e32 vcc, 0, v[1:2]
                                        ; implicit-def: $vgpr1
                                        ; kill: killed $vgpr1
	s_and_saveexec_b64 s[94:95], vcc
	s_xor_b64 s[94:95], exec, s[94:95]
	s_cbranch_execz .LBB4_282
; %bb.281:                              ;   in Loop: Header=BB4_137 Depth=3
	v_or_b32_sdwa v1, v3, s47 dst_sel:DWORD dst_unused:UNUSED_PAD src0_sel:BYTE_3 src1_sel:DWORD
	buffer_store_dword v1, off, s[0:3], s33 offset:148 ; 4-byte Folded Spill
                                        ; implicit-def: $vgpr3
.LBB4_282:                              ;   in Loop: Header=BB4_137 Depth=3
	s_andn2_saveexec_b64 s[94:95], s[94:95]
	s_cbranch_execz .LBB4_284
; %bb.283:                              ;   in Loop: Header=BB4_137 Depth=3
	v_cmp_lt_i32_e32 vcc, -1, v3
	v_bfrev_b32_e32 v1, 0.5
	v_cndmask_b32_e32 v1, v1, v52, vcc
	buffer_store_dword v1, off, s[0:3], s33 offset:148 ; 4-byte Folded Spill
.LBB4_284:                              ;   in Loop: Header=BB4_137 Depth=3
	s_or_b64 exec, exec, s[94:95]
.LBB4_285:                              ;   in Loop: Header=BB4_137 Depth=3
	s_or_b64 exec, exec, s[26:27]
	v_lshrrev_b16_e32 v1, 8, v0
	v_cmp_ne_u16_e32 vcc, 0, v1
	v_mov_b32_e32 v2, 0
	s_and_saveexec_b64 s[26:27], vcc
	s_cbranch_execz .LBB4_293
; %bb.286:                              ;   in Loop: Header=BB4_137 Depth=3
	v_cmp_ne_u16_e32 vcc, s96, v1
	v_bfrev_b32_e32 v2, 1
	s_and_saveexec_b64 s[94:95], vcc
	s_cbranch_execz .LBB4_292
; %bb.287:                              ;   in Loop: Header=BB4_137 Depth=3
	v_and_b32_e32 v2, 0x7c, v1
	v_and_b32_e32 v3, 3, v1
	v_cmp_ne_u32_e32 vcc, s85, v2
                                        ; implicit-def: $vgpr2
	s_and_saveexec_b64 s[30:31], vcc
	s_xor_b64 s[30:31], exec, s[30:31]
	s_cbranch_execz .LBB4_289
; %bb.288:                              ;   in Loop: Header=BB4_137 Depth=3
	v_ffbh_u32_e32 v12, v3
	v_min_u32_e32 v12, 32, v12
	v_mov_b32_e32 v2, v17
	v_subrev_u32_e32 v13, 29, v12
	v_bfe_u32 v5, v1, 2, 5
	v_lshlrev_b64 v[1:2], v13, v[1:2]
	v_sub_u32_e32 v2, 30, v12
	v_cmp_eq_u32_e32 vcc, 0, v5
	v_lshlrev_b32_e32 v0, 16, v0
	v_and_b32_e32 v1, 3, v1
	v_cndmask_b32_e32 v2, v5, v2, vcc
	v_and_b32_e32 v0, 0x80000000, v0
	v_cndmask_b32_e32 v1, v3, v1, vcc
	v_lshl_add_u32 v0, v2, 23, v0
	v_lshl_or_b32 v0, v1, 21, v0
	v_add_u32_e32 v2, 0x38000000, v0
                                        ; implicit-def: $vgpr3
                                        ; implicit-def: $vgpr0_vgpr1
.LBB4_289:                              ;   in Loop: Header=BB4_137 Depth=3
	s_andn2_saveexec_b64 s[30:31], s[30:31]
; %bb.290:                              ;   in Loop: Header=BB4_137 Depth=3
	v_cmp_lt_i16_e32 vcc, -1, v0
	v_mov_b32_e32 v0, 0xff800000
	v_mov_b32_e32 v1, 0x7f800000
	v_cndmask_b32_e32 v0, v0, v1, vcc
	v_cmp_eq_u32_e32 vcc, 0, v3
	v_mov_b32_e32 v1, 0x7f800001
	v_cndmask_b32_e32 v2, v1, v0, vcc
; %bb.291:                              ;   in Loop: Header=BB4_137 Depth=3
	s_or_b64 exec, exec, s[30:31]
.LBB4_292:                              ;   in Loop: Header=BB4_137 Depth=3
	s_or_b64 exec, exec, s[94:95]
.LBB4_293:                              ;   in Loop: Header=BB4_137 Depth=3
	s_or_b64 exec, exec, s[26:27]
	v_mul_f32_e32 v2, v21, v2
	v_and_b32_e32 v12, 0x7f800000, v2
	v_mov_b32_e32 v13, v17
	v_cmp_ne_u64_e32 vcc, s[76:77], v[12:13]
	v_and_b32_e32 v0, 0x7fffff, v2
	v_mov_b32_e32 v1, v17
                                        ; implicit-def: $vgpr3
                                        ; kill: killed $vgpr3
	s_and_saveexec_b64 s[26:27], vcc
	s_xor_b64 s[94:95], exec, s[26:27]
	s_cbranch_execz .LBB4_307
; %bb.294:                              ;   in Loop: Header=BB4_137 Depth=3
	v_and_b32_e32 v12, 0x7fffffff, v2
	v_mov_b32_e32 v13, v17
	v_cmp_gt_u64_e32 vcc, s[78:79], v[12:13]
	v_and_b32_sdwa v3, v2, s96 dst_sel:DWORD dst_unused:UNUSED_PAD src0_sel:BYTE_3 src1_sel:DWORD
                                        ; implicit-def: $vgpr5
                                        ; kill: killed $vgpr5
	s_and_saveexec_b64 s[26:27], vcc
	s_xor_b64 s[30:31], exec, s[26:27]
	s_cbranch_execz .LBB4_304
; %bb.295:                              ;   in Loop: Header=BB4_137 Depth=3
	v_mov_b32_e32 v5, 0
	v_cmp_ne_u32_e32 vcc, 0, v2
	buffer_store_dword v5, off, s[0:3], s33 offset:204 ; 4-byte Folded Spill
	s_and_saveexec_b64 s[34:35], vcc
	s_cbranch_execz .LBB4_303
; %bb.296:                              ;   in Loop: Header=BB4_137 Depth=3
	v_bfe_u32 v5, v2, 23, 8
	v_cmp_gt_u32_e64 s[26:27], s46, v5
	v_sub_u32_e32 v2, 0x71, v5
	v_cmp_eq_u32_e32 vcc, 0, v5
	v_cndmask_b32_e64 v2, 0, v2, s[26:27]
	v_mov_b32_e32 v12, 0x70
	v_cndmask_b32_e32 v12, v2, v12, vcc
	v_or_b32_e32 v13, 0x800000, v0
	v_add_u32_e32 v2, 21, v12
	v_cndmask_b32_e32 v0, v13, v0, vcc
	v_lshlrev_b64 v[13:14], v2, -1
	v_add_u32_e32 v2, 20, v12
	v_bfi_b32 v13, v13, 0, v0
	v_lshlrev_b64 v[15:16], v2, 1
	v_lshrrev_b64 v[0:1], v12, v[0:1]
	v_bfi_b32 v14, v14, 0, 0
	v_cmp_eq_u64_e64 s[26:27], v[13:14], v[15:16]
	v_mov_b32_e32 v2, v1
	v_mov_b32_e32 v1, v0
	s_and_saveexec_b64 s[36:37], s[26:27]
; %bb.297:                              ;   in Loop: Header=BB4_137 Depth=3
	v_bfe_u32 v1, v0, 21, 1
	v_add_co_u32_e64 v1, s[26:27], v0, v1
	v_add_co_u32_e64 v1, s[26:27], -1, v1
; %bb.298:                              ;   in Loop: Header=BB4_137 Depth=3
	s_or_b64 exec, exec, s[36:37]
	v_add_u32_e32 v2, 0xffffff81, v5
	v_mov_b32_e32 v5, 0xffffff82
	v_cndmask_b32_e32 v2, v2, v5, vcc
	v_lshrrev_b32_e32 v5, 23, v0
	v_add3_u32 v12, v12, v2, v5
	v_add_u32_e32 v5, 14, v12
	v_and_b32_e32 v1, 0x1fffff, v1
	v_add_u32_e32 v0, v1, v0
	v_mov_b32_e32 v1, v17
	v_cmp_ne_u32_e32 vcc, 0, v5
                                        ; implicit-def: $vgpr2
	s_and_saveexec_b64 s[26:27], vcc
	s_xor_b64 s[26:27], exec, s[26:27]
; %bb.299:                              ;   in Loop: Header=BB4_137 Depth=3
	v_cmp_lt_u64_e32 vcc, s[88:89], v[0:1]
	v_add_u32_e32 v2, 15, v12
	v_cndmask_b32_e32 v2, v5, v2, vcc
	v_cndmask_b32_e64 v5, 0, 1, vcc
	v_lshrrev_b64 v[0:1], v5, v[0:1]
; %bb.300:                              ;   in Loop: Header=BB4_137 Depth=3
	s_andn2_saveexec_b64 s[26:27], s[26:27]
; %bb.301:                              ;   in Loop: Header=BB4_137 Depth=3
	v_bfe_u32 v2, v0, 23, 1
; %bb.302:                              ;   in Loop: Header=BB4_137 Depth=3
	s_or_b64 exec, exec, s[26:27]
	v_lshrrev_b64 v[0:1], 21, v[0:1]
	v_cmp_gt_i32_e32 vcc, 32, v2
	v_cndmask_b32_e32 v1, 0, v1, vcc
	v_cndmask_b32_e32 v0, 3, v0, vcc
	v_cmp_eq_u64_e64 s[26:27], 0, v[0:1]
	v_min_i32_e32 v1, 31, v2
	v_lshlrev_b32_e32 v1, 2, v1
	v_cmp_eq_u32_e32 vcc, 0, v2
	v_and_b32_e32 v1, 0xfc, v1
	v_and_or_b32 v0, v0, 3, v1
	s_and_b64 s[26:27], vcc, s[26:27]
	v_cndmask_b32_e64 v0, v0, 0, s[26:27]
	v_or_b32_e32 v0, v0, v3
	buffer_store_dword v0, off, s[0:3], s33 offset:204 ; 4-byte Folded Spill
.LBB4_303:                              ;   in Loop: Header=BB4_137 Depth=3
	s_or_b64 exec, exec, s[34:35]
                                        ; implicit-def: $vgpr3
.LBB4_304:                              ;   in Loop: Header=BB4_137 Depth=3
	s_andn2_saveexec_b64 s[26:27], s[30:31]
	s_cbranch_execz .LBB4_306
; %bb.305:                              ;   in Loop: Header=BB4_137 Depth=3
	v_or_b32_e32 v0, 0x7b, v3
	buffer_store_dword v0, off, s[0:3], s33 offset:204 ; 4-byte Folded Spill
.LBB4_306:                              ;   in Loop: Header=BB4_137 Depth=3
	s_or_b64 exec, exec, s[26:27]
                                        ; implicit-def: $vgpr2
                                        ; implicit-def: $vgpr0_vgpr1
.LBB4_307:                              ;   in Loop: Header=BB4_137 Depth=3
	s_andn2_saveexec_b64 s[26:27], s[94:95]
	s_cbranch_execz .LBB4_313
; %bb.308:                              ;   in Loop: Header=BB4_137 Depth=3
	v_cmp_ne_u64_e32 vcc, 0, v[0:1]
                                        ; implicit-def: $vgpr0
                                        ; kill: killed $vgpr0
	s_and_saveexec_b64 s[94:95], vcc
	s_xor_b64 s[94:95], exec, s[94:95]
	s_cbranch_execz .LBB4_310
; %bb.309:                              ;   in Loop: Header=BB4_137 Depth=3
	v_or_b32_sdwa v0, v2, s47 dst_sel:DWORD dst_unused:UNUSED_PAD src0_sel:BYTE_3 src1_sel:DWORD
	buffer_store_dword v0, off, s[0:3], s33 offset:204 ; 4-byte Folded Spill
                                        ; implicit-def: $vgpr2
.LBB4_310:                              ;   in Loop: Header=BB4_137 Depth=3
	s_andn2_saveexec_b64 s[94:95], s[94:95]
	s_cbranch_execz .LBB4_312
; %bb.311:                              ;   in Loop: Header=BB4_137 Depth=3
	v_cmp_lt_i32_e32 vcc, -1, v2
	v_bfrev_b32_e32 v0, 0.5
	v_cndmask_b32_e32 v0, v0, v52, vcc
	buffer_store_dword v0, off, s[0:3], s33 offset:204 ; 4-byte Folded Spill
.LBB4_312:                              ;   in Loop: Header=BB4_137 Depth=3
	s_or_b64 exec, exec, s[94:95]
.LBB4_313:                              ;   in Loop: Header=BB4_137 Depth=3
	s_or_b64 exec, exec, s[26:27]
	v_lshrrev_b32_e32 v0, 16, v9
	v_cmp_ne_u16_sdwa s[94:95], v0, v17 src0_sel:BYTE_0 src1_sel:DWORD
	v_mov_b32_e32 v1, 0
	s_and_saveexec_b64 s[26:27], s[94:95]
	s_cbranch_execz .LBB4_321
; %bb.314:                              ;   in Loop: Header=BB4_137 Depth=3
	v_cmp_ne_u16_sdwa vcc, v0, s96 src0_sel:BYTE_0 src1_sel:DWORD
	v_bfrev_b32_e32 v1, 1
	s_and_saveexec_b64 s[94:95], vcc
	s_cbranch_execz .LBB4_320
; %bb.315:                              ;   in Loop: Header=BB4_137 Depth=3
	v_and_b32_e32 v1, 0x7c0000, v9
	v_bfe_u32 v2, v9, 16, 2
	v_cmp_ne_u32_e32 vcc, s44, v1
                                        ; implicit-def: $vgpr1
	s_and_saveexec_b64 s[30:31], vcc
	s_xor_b64 s[30:31], exec, s[30:31]
	s_cbranch_execz .LBB4_317
; %bb.316:                              ;   in Loop: Header=BB4_137 Depth=3
	v_ffbh_u32_e32 v1, v2
	v_min_u32_e32 v5, 32, v1
	v_subrev_u32_e32 v1, 29, v5
	v_lshlrev_b64 v[0:1], v1, v[0:1]
	v_bfe_u32 v3, v9, 18, 5
	v_and_b32_e32 v0, 3, v0
	v_cmp_eq_u32_e32 vcc, 0, v3
	v_sub_u32_e32 v1, 30, v5
	v_cndmask_b32_e32 v0, v2, v0, vcc
	v_lshlrev_b32_e32 v2, 8, v9
	v_cndmask_b32_e32 v1, v3, v1, vcc
	v_and_b32_e32 v2, 0x80000000, v2
	v_lshl_add_u32 v1, v1, 23, v2
	v_lshl_or_b32 v0, v0, 21, v1
	v_add_u32_e32 v1, 0x38000000, v0
                                        ; implicit-def: $vgpr2
                                        ; implicit-def: $vgpr0
.LBB4_317:                              ;   in Loop: Header=BB4_137 Depth=3
	s_andn2_saveexec_b64 s[30:31], s[30:31]
; %bb.318:                              ;   in Loop: Header=BB4_137 Depth=3
	v_mov_b32_e32 v1, -1
	v_cmp_gt_i16_sdwa vcc, sext(v0), v1 src0_sel:BYTE_0 src1_sel:DWORD
	v_mov_b32_e32 v0, 0xff800000
	v_mov_b32_e32 v1, 0x7f800000
	v_cndmask_b32_e32 v0, v0, v1, vcc
	v_cmp_eq_u32_e32 vcc, 0, v2
	v_mov_b32_e32 v1, 0x7f800001
	v_cndmask_b32_e32 v1, v1, v0, vcc
; %bb.319:                              ;   in Loop: Header=BB4_137 Depth=3
	s_or_b64 exec, exec, s[30:31]
.LBB4_320:                              ;   in Loop: Header=BB4_137 Depth=3
	s_or_b64 exec, exec, s[94:95]
.LBB4_321:                              ;   in Loop: Header=BB4_137 Depth=3
	s_or_b64 exec, exec, s[26:27]
	v_mul_f32_e32 v2, v21, v1
	v_and_b32_e32 v12, 0x7f800000, v2
	v_mov_b32_e32 v13, v17
	v_cmp_ne_u64_e32 vcc, s[76:77], v[12:13]
	v_and_b32_e32 v0, 0x7fffff, v2
	v_mov_b32_e32 v1, v17
                                        ; implicit-def: $vgpr3
                                        ; kill: killed $vgpr3
	s_and_saveexec_b64 s[26:27], vcc
	s_xor_b64 s[94:95], exec, s[26:27]
	s_cbranch_execz .LBB4_335
; %bb.322:                              ;   in Loop: Header=BB4_137 Depth=3
	v_and_b32_e32 v12, 0x7fffffff, v2
	v_mov_b32_e32 v13, v17
	v_cmp_gt_u64_e32 vcc, s[78:79], v[12:13]
	v_and_b32_sdwa v3, v2, s96 dst_sel:DWORD dst_unused:UNUSED_PAD src0_sel:BYTE_3 src1_sel:DWORD
                                        ; implicit-def: $vgpr5
                                        ; kill: killed $vgpr5
	s_and_saveexec_b64 s[26:27], vcc
	s_xor_b64 s[30:31], exec, s[26:27]
	s_cbranch_execz .LBB4_332
; %bb.323:                              ;   in Loop: Header=BB4_137 Depth=3
	v_mov_b32_e32 v5, 0
	v_cmp_ne_u32_e32 vcc, 0, v2
	buffer_store_dword v5, off, s[0:3], s33 offset:212 ; 4-byte Folded Spill
	s_and_saveexec_b64 s[34:35], vcc
	s_cbranch_execz .LBB4_331
; %bb.324:                              ;   in Loop: Header=BB4_137 Depth=3
	v_bfe_u32 v5, v2, 23, 8
	v_cmp_gt_u32_e64 s[26:27], s46, v5
	v_sub_u32_e32 v2, 0x71, v5
	v_cmp_eq_u32_e32 vcc, 0, v5
	v_cndmask_b32_e64 v2, 0, v2, s[26:27]
	v_mov_b32_e32 v12, 0x70
	v_cndmask_b32_e32 v12, v2, v12, vcc
	v_or_b32_e32 v13, 0x800000, v0
	v_add_u32_e32 v2, 21, v12
	v_cndmask_b32_e32 v0, v13, v0, vcc
	v_lshlrev_b64 v[13:14], v2, -1
	v_add_u32_e32 v2, 20, v12
	v_bfi_b32 v13, v13, 0, v0
	v_lshlrev_b64 v[15:16], v2, 1
	v_lshrrev_b64 v[0:1], v12, v[0:1]
	v_bfi_b32 v14, v14, 0, 0
	v_cmp_eq_u64_e64 s[26:27], v[13:14], v[15:16]
	v_mov_b32_e32 v2, v1
	v_mov_b32_e32 v1, v0
	s_and_saveexec_b64 s[36:37], s[26:27]
; %bb.325:                              ;   in Loop: Header=BB4_137 Depth=3
	v_bfe_u32 v1, v0, 21, 1
	v_add_co_u32_e64 v1, s[26:27], v0, v1
	v_add_co_u32_e64 v1, s[26:27], -1, v1
; %bb.326:                              ;   in Loop: Header=BB4_137 Depth=3
	s_or_b64 exec, exec, s[36:37]
	v_add_u32_e32 v2, 0xffffff81, v5
	v_mov_b32_e32 v5, 0xffffff82
	v_cndmask_b32_e32 v2, v2, v5, vcc
	v_lshrrev_b32_e32 v5, 23, v0
	v_add3_u32 v12, v12, v2, v5
	v_add_u32_e32 v5, 14, v12
	v_and_b32_e32 v1, 0x1fffff, v1
	v_add_u32_e32 v0, v1, v0
	v_mov_b32_e32 v1, v17
	v_cmp_ne_u32_e32 vcc, 0, v5
                                        ; implicit-def: $vgpr2
	s_and_saveexec_b64 s[26:27], vcc
	s_xor_b64 s[26:27], exec, s[26:27]
; %bb.327:                              ;   in Loop: Header=BB4_137 Depth=3
	v_cmp_lt_u64_e32 vcc, s[88:89], v[0:1]
	v_add_u32_e32 v2, 15, v12
	v_cndmask_b32_e32 v2, v5, v2, vcc
	v_cndmask_b32_e64 v5, 0, 1, vcc
	v_lshrrev_b64 v[0:1], v5, v[0:1]
; %bb.328:                              ;   in Loop: Header=BB4_137 Depth=3
	s_andn2_saveexec_b64 s[26:27], s[26:27]
; %bb.329:                              ;   in Loop: Header=BB4_137 Depth=3
	v_bfe_u32 v2, v0, 23, 1
; %bb.330:                              ;   in Loop: Header=BB4_137 Depth=3
	s_or_b64 exec, exec, s[26:27]
	v_lshrrev_b64 v[0:1], 21, v[0:1]
	v_cmp_gt_i32_e32 vcc, 32, v2
	v_cndmask_b32_e32 v1, 0, v1, vcc
	v_cndmask_b32_e32 v0, 3, v0, vcc
	v_cmp_eq_u64_e64 s[26:27], 0, v[0:1]
	v_min_i32_e32 v1, 31, v2
	v_lshlrev_b32_e32 v1, 2, v1
	v_cmp_eq_u32_e32 vcc, 0, v2
	v_and_b32_e32 v1, 0xfc, v1
	v_and_or_b32 v0, v0, 3, v1
	s_and_b64 s[26:27], vcc, s[26:27]
	v_cndmask_b32_e64 v0, v0, 0, s[26:27]
	v_or_b32_e32 v0, v0, v3
	buffer_store_dword v0, off, s[0:3], s33 offset:212 ; 4-byte Folded Spill
.LBB4_331:                              ;   in Loop: Header=BB4_137 Depth=3
	s_or_b64 exec, exec, s[34:35]
                                        ; implicit-def: $vgpr3
.LBB4_332:                              ;   in Loop: Header=BB4_137 Depth=3
	s_andn2_saveexec_b64 s[26:27], s[30:31]
	s_cbranch_execz .LBB4_334
; %bb.333:                              ;   in Loop: Header=BB4_137 Depth=3
	v_or_b32_e32 v0, 0x7b, v3
	buffer_store_dword v0, off, s[0:3], s33 offset:212 ; 4-byte Folded Spill
.LBB4_334:                              ;   in Loop: Header=BB4_137 Depth=3
	s_or_b64 exec, exec, s[26:27]
                                        ; implicit-def: $vgpr2
                                        ; implicit-def: $vgpr0_vgpr1
.LBB4_335:                              ;   in Loop: Header=BB4_137 Depth=3
	s_andn2_saveexec_b64 s[26:27], s[94:95]
	s_cbranch_execz .LBB4_341
; %bb.336:                              ;   in Loop: Header=BB4_137 Depth=3
	v_cmp_ne_u64_e32 vcc, 0, v[0:1]
                                        ; implicit-def: $vgpr0
                                        ; kill: killed $vgpr0
	s_and_saveexec_b64 s[94:95], vcc
	s_xor_b64 s[94:95], exec, s[94:95]
	s_cbranch_execz .LBB4_338
; %bb.337:                              ;   in Loop: Header=BB4_137 Depth=3
	v_or_b32_sdwa v0, v2, s47 dst_sel:DWORD dst_unused:UNUSED_PAD src0_sel:BYTE_3 src1_sel:DWORD
	buffer_store_dword v0, off, s[0:3], s33 offset:212 ; 4-byte Folded Spill
                                        ; implicit-def: $vgpr2
.LBB4_338:                              ;   in Loop: Header=BB4_137 Depth=3
	s_andn2_saveexec_b64 s[94:95], s[94:95]
	s_cbranch_execz .LBB4_340
; %bb.339:                              ;   in Loop: Header=BB4_137 Depth=3
	v_cmp_lt_i32_e32 vcc, -1, v2
	v_bfrev_b32_e32 v0, 0.5
	v_cndmask_b32_e32 v0, v0, v52, vcc
	buffer_store_dword v0, off, s[0:3], s33 offset:212 ; 4-byte Folded Spill
.LBB4_340:                              ;   in Loop: Header=BB4_137 Depth=3
	s_or_b64 exec, exec, s[94:95]
.LBB4_341:                              ;   in Loop: Header=BB4_137 Depth=3
	s_or_b64 exec, exec, s[26:27]
	v_cmp_lt_u64_e32 vcc, s[56:57], v[8:9]
	v_mov_b32_e32 v1, 0
	s_and_saveexec_b64 s[26:27], vcc
	s_cbranch_execz .LBB4_349
; %bb.342:                              ;   in Loop: Header=BB4_137 Depth=3
	v_lshrrev_b32_e32 v0, 24, v9
	v_cmp_ne_u32_e32 vcc, s96, v0
	v_bfrev_b32_e32 v1, 1
	s_and_saveexec_b64 s[94:95], vcc
	s_cbranch_execz .LBB4_348
; %bb.343:                              ;   in Loop: Header=BB4_137 Depth=3
	v_and_b32_e32 v1, 0x7c000000, v9
	v_bfe_u32 v2, v9, 24, 2
	v_cmp_ne_u32_e32 vcc, s45, v1
                                        ; implicit-def: $vgpr1
	s_and_saveexec_b64 s[30:31], vcc
	s_xor_b64 s[30:31], exec, s[30:31]
	s_cbranch_execz .LBB4_345
; %bb.344:                              ;   in Loop: Header=BB4_137 Depth=3
	v_ffbh_u32_e32 v1, v2
	v_min_u32_e32 v5, 32, v1
	v_subrev_u32_e32 v1, 29, v5
	v_lshlrev_b64 v[0:1], v1, v[0:1]
	v_bfe_u32 v3, v9, 26, 5
	v_sub_u32_e32 v1, 30, v5
	v_and_b32_e32 v0, 3, v0
	v_cmp_eq_u32_e32 vcc, 0, v3
	v_cndmask_b32_e32 v1, v3, v1, vcc
	v_cndmask_b32_e32 v0, v2, v0, vcc
	v_and_b32_e32 v2, 0x80000000, v9
	v_lshl_add_u32 v1, v1, 23, v2
	v_lshl_or_b32 v0, v0, 21, v1
	v_add_u32_e32 v1, 0x38000000, v0
                                        ; implicit-def: $vgpr2
.LBB4_345:                              ;   in Loop: Header=BB4_137 Depth=3
	s_andn2_saveexec_b64 s[30:31], s[30:31]
; %bb.346:                              ;   in Loop: Header=BB4_137 Depth=3
	v_cmp_lt_i64_e32 vcc, -1, v[8:9]
	v_mov_b32_e32 v0, 0xff800000
	v_mov_b32_e32 v1, 0x7f800000
	v_cndmask_b32_e32 v0, v0, v1, vcc
	v_cmp_eq_u32_e32 vcc, 0, v2
	v_mov_b32_e32 v1, 0x7f800001
	v_cndmask_b32_e32 v1, v1, v0, vcc
; %bb.347:                              ;   in Loop: Header=BB4_137 Depth=3
	s_or_b64 exec, exec, s[30:31]
.LBB4_348:                              ;   in Loop: Header=BB4_137 Depth=3
	s_or_b64 exec, exec, s[94:95]
.LBB4_349:                              ;   in Loop: Header=BB4_137 Depth=3
	s_or_b64 exec, exec, s[26:27]
	v_mul_f32_e32 v2, v21, v1
	v_and_b32_e32 v8, 0x7f800000, v2
	v_mov_b32_e32 v9, v17
	v_cmp_ne_u64_e32 vcc, s[76:77], v[8:9]
	v_and_b32_e32 v0, 0x7fffff, v2
	v_mov_b32_e32 v1, v17
                                        ; implicit-def: $vgpr3
                                        ; kill: killed $vgpr3
	s_and_saveexec_b64 s[26:27], vcc
	s_xor_b64 s[94:95], exec, s[26:27]
	s_cbranch_execz .LBB4_363
; %bb.350:                              ;   in Loop: Header=BB4_137 Depth=3
	v_and_b32_e32 v8, 0x7fffffff, v2
	v_mov_b32_e32 v9, v17
	v_cmp_gt_u64_e32 vcc, s[78:79], v[8:9]
	v_and_b32_sdwa v3, v2, s96 dst_sel:DWORD dst_unused:UNUSED_PAD src0_sel:BYTE_3 src1_sel:DWORD
                                        ; implicit-def: $vgpr5
                                        ; kill: killed $vgpr5
	s_and_saveexec_b64 s[26:27], vcc
	s_xor_b64 s[30:31], exec, s[26:27]
	s_cbranch_execz .LBB4_360
; %bb.351:                              ;   in Loop: Header=BB4_137 Depth=3
	v_mov_b32_e32 v5, 0
	v_cmp_ne_u32_e32 vcc, 0, v2
	buffer_store_dword v5, off, s[0:3], s33 offset:228 ; 4-byte Folded Spill
	s_and_saveexec_b64 s[34:35], vcc
	s_cbranch_execz .LBB4_359
; %bb.352:                              ;   in Loop: Header=BB4_137 Depth=3
	v_bfe_u32 v5, v2, 23, 8
	v_cmp_gt_u32_e64 s[26:27], s46, v5
	v_sub_u32_e32 v2, 0x71, v5
	v_cmp_eq_u32_e32 vcc, 0, v5
	v_cndmask_b32_e64 v2, 0, v2, s[26:27]
	v_mov_b32_e32 v8, 0x70
	v_cndmask_b32_e32 v8, v2, v8, vcc
	v_add_u32_e32 v2, 21, v8
	v_or_b32_e32 v9, 0x800000, v0
	v_lshlrev_b64 v[12:13], v2, -1
	v_cndmask_b32_e32 v0, v9, v0, vcc
	v_add_u32_e32 v2, 20, v8
	v_bfi_b32 v12, v12, 0, v0
	v_lshlrev_b64 v[14:15], v2, 1
	v_lshrrev_b64 v[0:1], v8, v[0:1]
	v_bfi_b32 v13, v13, 0, 0
	v_cmp_eq_u64_e64 s[26:27], v[12:13], v[14:15]
	v_mov_b32_e32 v2, v1
	v_mov_b32_e32 v1, v0
	s_and_saveexec_b64 s[36:37], s[26:27]
; %bb.353:                              ;   in Loop: Header=BB4_137 Depth=3
	v_bfe_u32 v1, v0, 21, 1
	v_add_co_u32_e64 v1, s[26:27], v0, v1
	v_add_co_u32_e64 v1, s[26:27], -1, v1
; %bb.354:                              ;   in Loop: Header=BB4_137 Depth=3
	s_or_b64 exec, exec, s[36:37]
	v_add_u32_e32 v2, 0xffffff81, v5
	v_mov_b32_e32 v5, 0xffffff82
	v_cndmask_b32_e32 v2, v2, v5, vcc
	v_lshrrev_b32_e32 v5, 23, v0
	v_add3_u32 v8, v8, v2, v5
	v_add_u32_e32 v5, 14, v8
	v_and_b32_e32 v1, 0x1fffff, v1
	v_add_u32_e32 v0, v1, v0
	v_mov_b32_e32 v1, v17
	v_cmp_ne_u32_e32 vcc, 0, v5
                                        ; implicit-def: $vgpr2
	s_and_saveexec_b64 s[26:27], vcc
	s_xor_b64 s[26:27], exec, s[26:27]
; %bb.355:                              ;   in Loop: Header=BB4_137 Depth=3
	v_cmp_lt_u64_e32 vcc, s[88:89], v[0:1]
	v_add_u32_e32 v2, 15, v8
	v_cndmask_b32_e32 v2, v5, v2, vcc
	v_cndmask_b32_e64 v5, 0, 1, vcc
	v_lshrrev_b64 v[0:1], v5, v[0:1]
; %bb.356:                              ;   in Loop: Header=BB4_137 Depth=3
	s_andn2_saveexec_b64 s[26:27], s[26:27]
; %bb.357:                              ;   in Loop: Header=BB4_137 Depth=3
	v_bfe_u32 v2, v0, 23, 1
; %bb.358:                              ;   in Loop: Header=BB4_137 Depth=3
	s_or_b64 exec, exec, s[26:27]
	v_lshrrev_b64 v[0:1], 21, v[0:1]
	v_cmp_gt_i32_e32 vcc, 32, v2
	v_cndmask_b32_e32 v1, 0, v1, vcc
	v_cndmask_b32_e32 v0, 3, v0, vcc
	v_cmp_eq_u64_e64 s[26:27], 0, v[0:1]
	v_min_i32_e32 v1, 31, v2
	v_lshlrev_b32_e32 v1, 2, v1
	v_cmp_eq_u32_e32 vcc, 0, v2
	v_and_b32_e32 v1, 0xfc, v1
	v_and_or_b32 v0, v0, 3, v1
	s_and_b64 s[26:27], vcc, s[26:27]
	v_cndmask_b32_e64 v0, v0, 0, s[26:27]
	v_or_b32_e32 v0, v0, v3
	buffer_store_dword v0, off, s[0:3], s33 offset:228 ; 4-byte Folded Spill
.LBB4_359:                              ;   in Loop: Header=BB4_137 Depth=3
	s_or_b64 exec, exec, s[34:35]
                                        ; implicit-def: $vgpr3
.LBB4_360:                              ;   in Loop: Header=BB4_137 Depth=3
	s_andn2_saveexec_b64 s[26:27], s[30:31]
	s_cbranch_execz .LBB4_362
; %bb.361:                              ;   in Loop: Header=BB4_137 Depth=3
	v_or_b32_e32 v0, 0x7b, v3
	buffer_store_dword v0, off, s[0:3], s33 offset:228 ; 4-byte Folded Spill
.LBB4_362:                              ;   in Loop: Header=BB4_137 Depth=3
	s_or_b64 exec, exec, s[26:27]
                                        ; implicit-def: $vgpr2
                                        ; implicit-def: $vgpr0_vgpr1
.LBB4_363:                              ;   in Loop: Header=BB4_137 Depth=3
	s_andn2_saveexec_b64 s[26:27], s[94:95]
	s_cbranch_execz .LBB4_369
; %bb.364:                              ;   in Loop: Header=BB4_137 Depth=3
	v_cmp_ne_u64_e32 vcc, 0, v[0:1]
                                        ; implicit-def: $vgpr0
                                        ; kill: killed $vgpr0
	s_and_saveexec_b64 s[94:95], vcc
	s_xor_b64 s[94:95], exec, s[94:95]
	s_cbranch_execz .LBB4_366
; %bb.365:                              ;   in Loop: Header=BB4_137 Depth=3
	v_or_b32_sdwa v0, v2, s47 dst_sel:DWORD dst_unused:UNUSED_PAD src0_sel:BYTE_3 src1_sel:DWORD
	buffer_store_dword v0, off, s[0:3], s33 offset:228 ; 4-byte Folded Spill
                                        ; implicit-def: $vgpr2
.LBB4_366:                              ;   in Loop: Header=BB4_137 Depth=3
	s_andn2_saveexec_b64 s[94:95], s[94:95]
	s_cbranch_execz .LBB4_368
; %bb.367:                              ;   in Loop: Header=BB4_137 Depth=3
	v_cmp_lt_i32_e32 vcc, -1, v2
	v_bfrev_b32_e32 v0, 0.5
	v_cndmask_b32_e32 v0, v0, v52, vcc
	buffer_store_dword v0, off, s[0:3], s33 offset:228 ; 4-byte Folded Spill
.LBB4_368:                              ;   in Loop: Header=BB4_137 Depth=3
	s_or_b64 exec, exec, s[94:95]
.LBB4_369:                              ;   in Loop: Header=BB4_137 Depth=3
	s_or_b64 exec, exec, s[26:27]
	v_cmp_ne_u16_sdwa s[94:95], v10, v17 src0_sel:BYTE_0 src1_sel:DWORD
	v_mov_b32_e32 v0, 0
	s_and_saveexec_b64 s[26:27], s[94:95]
	s_cbranch_execz .LBB4_377
; %bb.370:                              ;   in Loop: Header=BB4_137 Depth=3
	v_cmp_ne_u16_sdwa vcc, sext(v10), s97 src0_sel:BYTE_0 src1_sel:DWORD
	v_bfrev_b32_e32 v0, 1
	s_and_saveexec_b64 s[94:95], vcc
	s_cbranch_execz .LBB4_376
; %bb.371:                              ;   in Loop: Header=BB4_137 Depth=3
	v_and_b32_e32 v0, 0x7c, v10
	v_and_b32_e32 v1, 3, v10
	v_cmp_ne_u32_e32 vcc, s85, v0
                                        ; implicit-def: $vgpr0
	s_and_saveexec_b64 s[30:31], vcc
	s_xor_b64 s[30:31], exec, s[30:31]
	s_cbranch_execz .LBB4_373
; %bb.372:                              ;   in Loop: Header=BB4_137 Depth=3
	v_ffbh_u32_e32 v2, v1
	v_min_u32_e32 v5, 32, v2
	v_subrev_u32_e32 v2, 29, v5
	v_lshlrev_b64 v[2:3], v2, v[10:11]
	v_bfe_u32 v0, v10, 2, 5
	v_and_b32_e32 v2, 3, v2
	v_cmp_eq_u32_e32 vcc, 0, v0
	v_sub_u32_e32 v3, 30, v5
	v_cndmask_b32_e32 v1, v1, v2, vcc
	v_lshlrev_b32_e32 v2, 24, v10
	v_cndmask_b32_e32 v0, v0, v3, vcc
	v_and_b32_e32 v2, 0x80000000, v2
	v_lshl_add_u32 v0, v0, 23, v2
	v_lshl_or_b32 v0, v1, 21, v0
	v_add_u32_e32 v0, 0x38000000, v0
                                        ; implicit-def: $vgpr1
.LBB4_373:                              ;   in Loop: Header=BB4_137 Depth=3
	s_andn2_saveexec_b64 s[30:31], s[30:31]
; %bb.374:                              ;   in Loop: Header=BB4_137 Depth=3
	v_mov_b32_e32 v0, -1
	v_cmp_gt_i16_sdwa vcc, sext(v10), v0 src0_sel:BYTE_0 src1_sel:DWORD
	v_mov_b32_e32 v0, 0xff800000
	v_mov_b32_e32 v2, 0x7f800000
	v_cndmask_b32_e32 v0, v0, v2, vcc
	v_cmp_eq_u32_e32 vcc, 0, v1
	v_mov_b32_e32 v1, 0x7f800001
	v_cndmask_b32_e32 v0, v1, v0, vcc
; %bb.375:                              ;   in Loop: Header=BB4_137 Depth=3
	s_or_b64 exec, exec, s[30:31]
.LBB4_376:                              ;   in Loop: Header=BB4_137 Depth=3
	s_or_b64 exec, exec, s[94:95]
.LBB4_377:                              ;   in Loop: Header=BB4_137 Depth=3
	s_or_b64 exec, exec, s[26:27]
	v_mul_f32_e32 v2, v21, v0
	v_and_b32_e32 v8, 0x7f800000, v2
	v_mov_b32_e32 v9, v17
	v_cmp_ne_u64_e32 vcc, s[76:77], v[8:9]
	v_and_b32_e32 v0, 0x7fffff, v2
	v_mov_b32_e32 v1, v17
                                        ; implicit-def: $vgpr3
                                        ; kill: killed $vgpr3
	s_and_saveexec_b64 s[26:27], vcc
	s_xor_b64 s[94:95], exec, s[26:27]
	s_cbranch_execz .LBB4_391
; %bb.378:                              ;   in Loop: Header=BB4_137 Depth=3
	v_and_b32_e32 v8, 0x7fffffff, v2
	v_mov_b32_e32 v9, v17
	v_cmp_gt_u64_e32 vcc, s[78:79], v[8:9]
	v_and_b32_sdwa v3, v2, s96 dst_sel:DWORD dst_unused:UNUSED_PAD src0_sel:BYTE_3 src1_sel:DWORD
                                        ; implicit-def: $vgpr5
                                        ; kill: killed $vgpr5
	s_and_saveexec_b64 s[26:27], vcc
	s_xor_b64 s[30:31], exec, s[26:27]
	s_cbranch_execz .LBB4_388
; %bb.379:                              ;   in Loop: Header=BB4_137 Depth=3
	v_mov_b32_e32 v5, 0
	v_cmp_ne_u32_e32 vcc, 0, v2
	buffer_store_dword v5, off, s[0:3], s33 offset:236 ; 4-byte Folded Spill
	s_and_saveexec_b64 s[34:35], vcc
	s_cbranch_execz .LBB4_387
; %bb.380:                              ;   in Loop: Header=BB4_137 Depth=3
	v_bfe_u32 v5, v2, 23, 8
	v_cmp_gt_u32_e64 s[26:27], s46, v5
	v_sub_u32_e32 v2, 0x71, v5
	v_cmp_eq_u32_e32 vcc, 0, v5
	v_cndmask_b32_e64 v2, 0, v2, s[26:27]
	v_mov_b32_e32 v8, 0x70
	v_cndmask_b32_e32 v8, v2, v8, vcc
	v_add_u32_e32 v2, 21, v8
	v_or_b32_e32 v9, 0x800000, v0
	v_lshlrev_b64 v[12:13], v2, -1
	v_cndmask_b32_e32 v0, v9, v0, vcc
	v_add_u32_e32 v2, 20, v8
	v_bfi_b32 v12, v12, 0, v0
	v_lshlrev_b64 v[14:15], v2, 1
	v_lshrrev_b64 v[0:1], v8, v[0:1]
	v_bfi_b32 v13, v13, 0, 0
	v_cmp_eq_u64_e64 s[26:27], v[12:13], v[14:15]
	v_mov_b32_e32 v2, v1
	v_mov_b32_e32 v1, v0
	s_and_saveexec_b64 s[36:37], s[26:27]
; %bb.381:                              ;   in Loop: Header=BB4_137 Depth=3
	v_bfe_u32 v1, v0, 21, 1
	v_add_co_u32_e64 v1, s[26:27], v0, v1
	v_add_co_u32_e64 v1, s[26:27], -1, v1
; %bb.382:                              ;   in Loop: Header=BB4_137 Depth=3
	s_or_b64 exec, exec, s[36:37]
	v_add_u32_e32 v2, 0xffffff81, v5
	v_mov_b32_e32 v5, 0xffffff82
	v_cndmask_b32_e32 v2, v2, v5, vcc
	v_lshrrev_b32_e32 v5, 23, v0
	v_add3_u32 v8, v8, v2, v5
	v_add_u32_e32 v5, 14, v8
	v_and_b32_e32 v1, 0x1fffff, v1
	v_add_u32_e32 v0, v1, v0
	v_mov_b32_e32 v1, v17
	v_cmp_ne_u32_e32 vcc, 0, v5
                                        ; implicit-def: $vgpr2
	s_and_saveexec_b64 s[26:27], vcc
	s_xor_b64 s[26:27], exec, s[26:27]
; %bb.383:                              ;   in Loop: Header=BB4_137 Depth=3
	v_cmp_lt_u64_e32 vcc, s[88:89], v[0:1]
	v_add_u32_e32 v2, 15, v8
	v_cndmask_b32_e32 v2, v5, v2, vcc
	v_cndmask_b32_e64 v5, 0, 1, vcc
	v_lshrrev_b64 v[0:1], v5, v[0:1]
; %bb.384:                              ;   in Loop: Header=BB4_137 Depth=3
	s_andn2_saveexec_b64 s[26:27], s[26:27]
; %bb.385:                              ;   in Loop: Header=BB4_137 Depth=3
	v_bfe_u32 v2, v0, 23, 1
; %bb.386:                              ;   in Loop: Header=BB4_137 Depth=3
	s_or_b64 exec, exec, s[26:27]
	v_lshrrev_b64 v[0:1], 21, v[0:1]
	v_cmp_gt_i32_e32 vcc, 32, v2
	v_cndmask_b32_e32 v1, 0, v1, vcc
	v_cndmask_b32_e32 v0, 3, v0, vcc
	v_cmp_eq_u64_e64 s[26:27], 0, v[0:1]
	v_min_i32_e32 v1, 31, v2
	v_lshlrev_b32_e32 v1, 2, v1
	v_cmp_eq_u32_e32 vcc, 0, v2
	v_and_b32_e32 v1, 0xfc, v1
	v_and_or_b32 v0, v0, 3, v1
	s_and_b64 s[26:27], vcc, s[26:27]
	v_cndmask_b32_e64 v0, v0, 0, s[26:27]
	v_or_b32_e32 v0, v0, v3
	buffer_store_dword v0, off, s[0:3], s33 offset:236 ; 4-byte Folded Spill
.LBB4_387:                              ;   in Loop: Header=BB4_137 Depth=3
	s_or_b64 exec, exec, s[34:35]
                                        ; implicit-def: $vgpr3
.LBB4_388:                              ;   in Loop: Header=BB4_137 Depth=3
	s_andn2_saveexec_b64 s[26:27], s[30:31]
	s_cbranch_execz .LBB4_390
; %bb.389:                              ;   in Loop: Header=BB4_137 Depth=3
	v_or_b32_e32 v0, 0x7b, v3
	buffer_store_dword v0, off, s[0:3], s33 offset:236 ; 4-byte Folded Spill
.LBB4_390:                              ;   in Loop: Header=BB4_137 Depth=3
	s_or_b64 exec, exec, s[26:27]
                                        ; implicit-def: $vgpr2
                                        ; implicit-def: $vgpr0_vgpr1
.LBB4_391:                              ;   in Loop: Header=BB4_137 Depth=3
	s_andn2_saveexec_b64 s[26:27], s[94:95]
	s_cbranch_execz .LBB4_397
; %bb.392:                              ;   in Loop: Header=BB4_137 Depth=3
	v_cmp_ne_u64_e32 vcc, 0, v[0:1]
                                        ; implicit-def: $vgpr0
                                        ; kill: killed $vgpr0
	s_and_saveexec_b64 s[94:95], vcc
	s_xor_b64 s[94:95], exec, s[94:95]
	s_cbranch_execz .LBB4_394
; %bb.393:                              ;   in Loop: Header=BB4_137 Depth=3
	v_or_b32_sdwa v0, v2, s47 dst_sel:DWORD dst_unused:UNUSED_PAD src0_sel:BYTE_3 src1_sel:DWORD
	buffer_store_dword v0, off, s[0:3], s33 offset:236 ; 4-byte Folded Spill
                                        ; implicit-def: $vgpr2
.LBB4_394:                              ;   in Loop: Header=BB4_137 Depth=3
	s_andn2_saveexec_b64 s[94:95], s[94:95]
	s_cbranch_execz .LBB4_396
; %bb.395:                              ;   in Loop: Header=BB4_137 Depth=3
	v_cmp_lt_i32_e32 vcc, -1, v2
	v_bfrev_b32_e32 v0, 0.5
	v_cndmask_b32_e32 v0, v0, v52, vcc
	buffer_store_dword v0, off, s[0:3], s33 offset:236 ; 4-byte Folded Spill
.LBB4_396:                              ;   in Loop: Header=BB4_137 Depth=3
	s_or_b64 exec, exec, s[94:95]
.LBB4_397:                              ;   in Loop: Header=BB4_137 Depth=3
	s_or_b64 exec, exec, s[26:27]
	v_lshrrev_b16_e32 v0, 8, v10
	v_cmp_ne_u16_e32 vcc, 0, v0
	v_mov_b32_e32 v1, 0
	s_and_saveexec_b64 s[26:27], vcc
	s_cbranch_execz .LBB4_405
; %bb.398:                              ;   in Loop: Header=BB4_137 Depth=3
	v_cmp_ne_u16_e32 vcc, s96, v0
	v_bfrev_b32_e32 v1, 1
	s_and_saveexec_b64 s[94:95], vcc
	s_cbranch_execz .LBB4_404
; %bb.399:                              ;   in Loop: Header=BB4_137 Depth=3
	v_and_b32_e32 v1, 0x7c, v0
	v_and_b32_e32 v2, 3, v0
	v_cmp_ne_u32_e32 vcc, s85, v1
                                        ; implicit-def: $vgpr1
	s_and_saveexec_b64 s[30:31], vcc
	s_xor_b64 s[30:31], exec, s[30:31]
	s_cbranch_execz .LBB4_401
; %bb.400:                              ;   in Loop: Header=BB4_137 Depth=3
	v_ffbh_u32_e32 v5, v2
	v_min_u32_e32 v5, 32, v5
	v_mov_b32_e32 v1, v17
	v_subrev_u32_e32 v8, 29, v5
	v_bfe_u32 v3, v0, 2, 5
	v_lshlrev_b64 v[0:1], v8, v[0:1]
	v_cmp_eq_u32_e32 vcc, 0, v3
	v_and_b32_e32 v0, 3, v0
	v_sub_u32_e32 v1, 30, v5
	v_cndmask_b32_e32 v0, v2, v0, vcc
	v_lshlrev_b32_e32 v2, 16, v10
	v_cndmask_b32_e32 v1, v3, v1, vcc
	v_and_b32_e32 v2, 0x80000000, v2
	v_lshl_add_u32 v1, v1, 23, v2
	v_lshl_or_b32 v0, v0, 21, v1
	v_add_u32_e32 v1, 0x38000000, v0
                                        ; implicit-def: $vgpr2
.LBB4_401:                              ;   in Loop: Header=BB4_137 Depth=3
	s_andn2_saveexec_b64 s[30:31], s[30:31]
; %bb.402:                              ;   in Loop: Header=BB4_137 Depth=3
	v_cmp_lt_i16_e32 vcc, -1, v10
	v_mov_b32_e32 v0, 0xff800000
	v_mov_b32_e32 v1, 0x7f800000
	v_cndmask_b32_e32 v0, v0, v1, vcc
	v_cmp_eq_u32_e32 vcc, 0, v2
	v_mov_b32_e32 v1, 0x7f800001
	v_cndmask_b32_e32 v1, v1, v0, vcc
; %bb.403:                              ;   in Loop: Header=BB4_137 Depth=3
	s_or_b64 exec, exec, s[30:31]
.LBB4_404:                              ;   in Loop: Header=BB4_137 Depth=3
	s_or_b64 exec, exec, s[94:95]
.LBB4_405:                              ;   in Loop: Header=BB4_137 Depth=3
	s_or_b64 exec, exec, s[26:27]
	v_mul_f32_e32 v2, v21, v1
	v_and_b32_e32 v8, 0x7f800000, v2
	v_mov_b32_e32 v9, v17
	v_cmp_ne_u64_e32 vcc, s[76:77], v[8:9]
	v_and_b32_e32 v0, 0x7fffff, v2
	v_mov_b32_e32 v1, v17
                                        ; implicit-def: $vgpr3
                                        ; kill: killed $vgpr3
	s_and_saveexec_b64 s[26:27], vcc
	s_xor_b64 s[94:95], exec, s[26:27]
	s_cbranch_execz .LBB4_419
; %bb.406:                              ;   in Loop: Header=BB4_137 Depth=3
	v_and_b32_e32 v8, 0x7fffffff, v2
	v_mov_b32_e32 v9, v17
	v_cmp_gt_u64_e32 vcc, s[78:79], v[8:9]
	v_and_b32_sdwa v3, v2, s96 dst_sel:DWORD dst_unused:UNUSED_PAD src0_sel:BYTE_3 src1_sel:DWORD
                                        ; implicit-def: $vgpr5
                                        ; kill: killed $vgpr5
	s_and_saveexec_b64 s[26:27], vcc
	s_xor_b64 s[30:31], exec, s[26:27]
	s_cbranch_execz .LBB4_416
; %bb.407:                              ;   in Loop: Header=BB4_137 Depth=3
	v_mov_b32_e32 v5, 0
	v_cmp_ne_u32_e32 vcc, 0, v2
	buffer_store_dword v5, off, s[0:3], s33 offset:244 ; 4-byte Folded Spill
	s_and_saveexec_b64 s[34:35], vcc
	s_cbranch_execz .LBB4_415
; %bb.408:                              ;   in Loop: Header=BB4_137 Depth=3
	v_bfe_u32 v5, v2, 23, 8
	v_cmp_gt_u32_e64 s[26:27], s46, v5
	v_sub_u32_e32 v2, 0x71, v5
	v_cmp_eq_u32_e32 vcc, 0, v5
	v_cndmask_b32_e64 v2, 0, v2, s[26:27]
	v_mov_b32_e32 v8, 0x70
	v_cndmask_b32_e32 v8, v2, v8, vcc
	v_add_u32_e32 v2, 21, v8
	v_or_b32_e32 v9, 0x800000, v0
	v_lshlrev_b64 v[12:13], v2, -1
	v_cndmask_b32_e32 v0, v9, v0, vcc
	v_add_u32_e32 v2, 20, v8
	v_bfi_b32 v12, v12, 0, v0
	v_lshlrev_b64 v[14:15], v2, 1
	v_lshrrev_b64 v[0:1], v8, v[0:1]
	v_bfi_b32 v13, v13, 0, 0
	v_cmp_eq_u64_e64 s[26:27], v[12:13], v[14:15]
	v_mov_b32_e32 v2, v1
	v_mov_b32_e32 v1, v0
	s_and_saveexec_b64 s[36:37], s[26:27]
; %bb.409:                              ;   in Loop: Header=BB4_137 Depth=3
	v_bfe_u32 v1, v0, 21, 1
	v_add_co_u32_e64 v1, s[26:27], v0, v1
	v_add_co_u32_e64 v1, s[26:27], -1, v1
; %bb.410:                              ;   in Loop: Header=BB4_137 Depth=3
	s_or_b64 exec, exec, s[36:37]
	v_add_u32_e32 v2, 0xffffff81, v5
	v_mov_b32_e32 v5, 0xffffff82
	v_cndmask_b32_e32 v2, v2, v5, vcc
	v_lshrrev_b32_e32 v5, 23, v0
	v_add3_u32 v8, v8, v2, v5
	v_add_u32_e32 v5, 14, v8
	v_and_b32_e32 v1, 0x1fffff, v1
	v_add_u32_e32 v0, v1, v0
	v_mov_b32_e32 v1, v17
	v_cmp_ne_u32_e32 vcc, 0, v5
                                        ; implicit-def: $vgpr2
	s_and_saveexec_b64 s[26:27], vcc
	s_xor_b64 s[26:27], exec, s[26:27]
; %bb.411:                              ;   in Loop: Header=BB4_137 Depth=3
	v_cmp_lt_u64_e32 vcc, s[88:89], v[0:1]
	v_add_u32_e32 v2, 15, v8
	v_cndmask_b32_e32 v2, v5, v2, vcc
	v_cndmask_b32_e64 v5, 0, 1, vcc
	v_lshrrev_b64 v[0:1], v5, v[0:1]
; %bb.412:                              ;   in Loop: Header=BB4_137 Depth=3
	s_andn2_saveexec_b64 s[26:27], s[26:27]
; %bb.413:                              ;   in Loop: Header=BB4_137 Depth=3
	v_bfe_u32 v2, v0, 23, 1
; %bb.414:                              ;   in Loop: Header=BB4_137 Depth=3
	s_or_b64 exec, exec, s[26:27]
	v_lshrrev_b64 v[0:1], 21, v[0:1]
	v_cmp_gt_i32_e32 vcc, 32, v2
	v_cndmask_b32_e32 v1, 0, v1, vcc
	v_cndmask_b32_e32 v0, 3, v0, vcc
	v_cmp_eq_u64_e64 s[26:27], 0, v[0:1]
	v_min_i32_e32 v1, 31, v2
	v_lshlrev_b32_e32 v1, 2, v1
	v_cmp_eq_u32_e32 vcc, 0, v2
	v_and_b32_e32 v1, 0xfc, v1
	v_and_or_b32 v0, v0, 3, v1
	s_and_b64 s[26:27], vcc, s[26:27]
	v_cndmask_b32_e64 v0, v0, 0, s[26:27]
	v_or_b32_e32 v0, v0, v3
	buffer_store_dword v0, off, s[0:3], s33 offset:244 ; 4-byte Folded Spill
.LBB4_415:                              ;   in Loop: Header=BB4_137 Depth=3
	s_or_b64 exec, exec, s[34:35]
                                        ; implicit-def: $vgpr3
.LBB4_416:                              ;   in Loop: Header=BB4_137 Depth=3
	s_andn2_saveexec_b64 s[26:27], s[30:31]
	s_cbranch_execz .LBB4_418
; %bb.417:                              ;   in Loop: Header=BB4_137 Depth=3
	v_or_b32_e32 v0, 0x7b, v3
	buffer_store_dword v0, off, s[0:3], s33 offset:244 ; 4-byte Folded Spill
.LBB4_418:                              ;   in Loop: Header=BB4_137 Depth=3
	s_or_b64 exec, exec, s[26:27]
                                        ; implicit-def: $vgpr2
                                        ; implicit-def: $vgpr0_vgpr1
.LBB4_419:                              ;   in Loop: Header=BB4_137 Depth=3
	s_andn2_saveexec_b64 s[26:27], s[94:95]
	s_cbranch_execz .LBB4_425
; %bb.420:                              ;   in Loop: Header=BB4_137 Depth=3
	v_cmp_ne_u64_e32 vcc, 0, v[0:1]
                                        ; implicit-def: $vgpr0
                                        ; kill: killed $vgpr0
	s_and_saveexec_b64 s[94:95], vcc
	s_xor_b64 s[94:95], exec, s[94:95]
	s_cbranch_execz .LBB4_422
; %bb.421:                              ;   in Loop: Header=BB4_137 Depth=3
	v_or_b32_sdwa v0, v2, s47 dst_sel:DWORD dst_unused:UNUSED_PAD src0_sel:BYTE_3 src1_sel:DWORD
	buffer_store_dword v0, off, s[0:3], s33 offset:244 ; 4-byte Folded Spill
                                        ; implicit-def: $vgpr2
.LBB4_422:                              ;   in Loop: Header=BB4_137 Depth=3
	s_andn2_saveexec_b64 s[94:95], s[94:95]
	s_cbranch_execz .LBB4_424
; %bb.423:                              ;   in Loop: Header=BB4_137 Depth=3
	v_cmp_lt_i32_e32 vcc, -1, v2
	v_bfrev_b32_e32 v0, 0.5
	v_cndmask_b32_e32 v0, v0, v52, vcc
	buffer_store_dword v0, off, s[0:3], s33 offset:244 ; 4-byte Folded Spill
.LBB4_424:                              ;   in Loop: Header=BB4_137 Depth=3
	s_or_b64 exec, exec, s[94:95]
.LBB4_425:                              ;   in Loop: Header=BB4_137 Depth=3
	s_or_b64 exec, exec, s[26:27]
	v_lshrrev_b32_e32 v0, 16, v10
	v_cmp_ne_u16_sdwa s[94:95], v0, v17 src0_sel:BYTE_0 src1_sel:DWORD
	v_mov_b32_e32 v1, 0
	s_and_saveexec_b64 s[26:27], s[94:95]
	s_cbranch_execz .LBB4_433
; %bb.426:                              ;   in Loop: Header=BB4_137 Depth=3
	v_cmp_ne_u16_sdwa vcc, v0, s96 src0_sel:BYTE_0 src1_sel:DWORD
	v_bfrev_b32_e32 v1, 1
	s_and_saveexec_b64 s[94:95], vcc
	s_cbranch_execz .LBB4_432
; %bb.427:                              ;   in Loop: Header=BB4_137 Depth=3
	v_and_b32_e32 v1, 0x7c0000, v10
	v_bfe_u32 v2, v10, 16, 2
	v_cmp_ne_u32_e32 vcc, s44, v1
                                        ; implicit-def: $vgpr1
	s_and_saveexec_b64 s[30:31], vcc
	s_xor_b64 s[30:31], exec, s[30:31]
	s_cbranch_execz .LBB4_429
; %bb.428:                              ;   in Loop: Header=BB4_137 Depth=3
	v_ffbh_u32_e32 v1, v2
	v_min_u32_e32 v5, 32, v1
	v_subrev_u32_e32 v1, 29, v5
	v_lshlrev_b64 v[0:1], v1, v[0:1]
	v_bfe_u32 v3, v10, 18, 5
	v_and_b32_e32 v0, 3, v0
	v_cmp_eq_u32_e32 vcc, 0, v3
	v_sub_u32_e32 v1, 30, v5
	v_cndmask_b32_e32 v0, v2, v0, vcc
	v_lshlrev_b32_e32 v2, 8, v10
	v_cndmask_b32_e32 v1, v3, v1, vcc
	v_and_b32_e32 v2, 0x80000000, v2
	v_lshl_add_u32 v1, v1, 23, v2
	v_lshl_or_b32 v0, v0, 21, v1
	v_add_u32_e32 v1, 0x38000000, v0
                                        ; implicit-def: $vgpr2
                                        ; implicit-def: $vgpr0
.LBB4_429:                              ;   in Loop: Header=BB4_137 Depth=3
	s_andn2_saveexec_b64 s[30:31], s[30:31]
; %bb.430:                              ;   in Loop: Header=BB4_137 Depth=3
	v_mov_b32_e32 v1, -1
	v_cmp_gt_i16_sdwa vcc, sext(v0), v1 src0_sel:BYTE_0 src1_sel:DWORD
	v_mov_b32_e32 v0, 0xff800000
	v_mov_b32_e32 v1, 0x7f800000
	v_cndmask_b32_e32 v0, v0, v1, vcc
	v_cmp_eq_u32_e32 vcc, 0, v2
	v_mov_b32_e32 v1, 0x7f800001
	v_cndmask_b32_e32 v1, v1, v0, vcc
; %bb.431:                              ;   in Loop: Header=BB4_137 Depth=3
	s_or_b64 exec, exec, s[30:31]
.LBB4_432:                              ;   in Loop: Header=BB4_137 Depth=3
	s_or_b64 exec, exec, s[94:95]
.LBB4_433:                              ;   in Loop: Header=BB4_137 Depth=3
	s_or_b64 exec, exec, s[26:27]
	v_mul_f32_e32 v2, v21, v1
	v_and_b32_e32 v8, 0x7f800000, v2
	v_mov_b32_e32 v9, v17
	v_cmp_ne_u64_e32 vcc, s[76:77], v[8:9]
	v_and_b32_e32 v0, 0x7fffff, v2
	v_mov_b32_e32 v1, v17
                                        ; implicit-def: $vgpr3
                                        ; kill: killed $vgpr3
	s_and_saveexec_b64 s[26:27], vcc
	s_xor_b64 s[94:95], exec, s[26:27]
	s_cbranch_execz .LBB4_447
; %bb.434:                              ;   in Loop: Header=BB4_137 Depth=3
	v_and_b32_e32 v8, 0x7fffffff, v2
	v_mov_b32_e32 v9, v17
	v_cmp_gt_u64_e32 vcc, s[78:79], v[8:9]
	v_and_b32_sdwa v3, v2, s96 dst_sel:DWORD dst_unused:UNUSED_PAD src0_sel:BYTE_3 src1_sel:DWORD
                                        ; implicit-def: $vgpr5
                                        ; kill: killed $vgpr5
	s_and_saveexec_b64 s[26:27], vcc
	s_xor_b64 s[30:31], exec, s[26:27]
	s_cbranch_execz .LBB4_444
; %bb.435:                              ;   in Loop: Header=BB4_137 Depth=3
	v_mov_b32_e32 v5, 0
	v_cmp_ne_u32_e32 vcc, 0, v2
	buffer_store_dword v5, off, s[0:3], s33 offset:248 ; 4-byte Folded Spill
	s_and_saveexec_b64 s[34:35], vcc
	s_cbranch_execz .LBB4_443
; %bb.436:                              ;   in Loop: Header=BB4_137 Depth=3
	v_bfe_u32 v5, v2, 23, 8
	v_cmp_gt_u32_e64 s[26:27], s46, v5
	v_sub_u32_e32 v2, 0x71, v5
	v_cmp_eq_u32_e32 vcc, 0, v5
	v_cndmask_b32_e64 v2, 0, v2, s[26:27]
	v_mov_b32_e32 v8, 0x70
	v_cndmask_b32_e32 v8, v2, v8, vcc
	v_add_u32_e32 v2, 21, v8
	v_or_b32_e32 v9, 0x800000, v0
	v_lshlrev_b64 v[12:13], v2, -1
	v_cndmask_b32_e32 v0, v9, v0, vcc
	v_add_u32_e32 v2, 20, v8
	v_bfi_b32 v12, v12, 0, v0
	v_lshlrev_b64 v[14:15], v2, 1
	v_lshrrev_b64 v[0:1], v8, v[0:1]
	v_bfi_b32 v13, v13, 0, 0
	v_cmp_eq_u64_e64 s[26:27], v[12:13], v[14:15]
	v_mov_b32_e32 v2, v1
	v_mov_b32_e32 v1, v0
	s_and_saveexec_b64 s[36:37], s[26:27]
; %bb.437:                              ;   in Loop: Header=BB4_137 Depth=3
	v_bfe_u32 v1, v0, 21, 1
	v_add_co_u32_e64 v1, s[26:27], v0, v1
	v_add_co_u32_e64 v1, s[26:27], -1, v1
; %bb.438:                              ;   in Loop: Header=BB4_137 Depth=3
	s_or_b64 exec, exec, s[36:37]
	v_add_u32_e32 v2, 0xffffff81, v5
	v_mov_b32_e32 v5, 0xffffff82
	v_cndmask_b32_e32 v2, v2, v5, vcc
	v_lshrrev_b32_e32 v5, 23, v0
	v_add3_u32 v8, v8, v2, v5
	v_add_u32_e32 v5, 14, v8
	v_and_b32_e32 v1, 0x1fffff, v1
	v_add_u32_e32 v0, v1, v0
	v_mov_b32_e32 v1, v17
	v_cmp_ne_u32_e32 vcc, 0, v5
                                        ; implicit-def: $vgpr2
	s_and_saveexec_b64 s[26:27], vcc
	s_xor_b64 s[26:27], exec, s[26:27]
; %bb.439:                              ;   in Loop: Header=BB4_137 Depth=3
	v_cmp_lt_u64_e32 vcc, s[88:89], v[0:1]
	v_add_u32_e32 v2, 15, v8
	v_cndmask_b32_e32 v2, v5, v2, vcc
	v_cndmask_b32_e64 v5, 0, 1, vcc
	v_lshrrev_b64 v[0:1], v5, v[0:1]
; %bb.440:                              ;   in Loop: Header=BB4_137 Depth=3
	s_andn2_saveexec_b64 s[26:27], s[26:27]
; %bb.441:                              ;   in Loop: Header=BB4_137 Depth=3
	v_bfe_u32 v2, v0, 23, 1
; %bb.442:                              ;   in Loop: Header=BB4_137 Depth=3
	s_or_b64 exec, exec, s[26:27]
	v_lshrrev_b64 v[0:1], 21, v[0:1]
	v_cmp_gt_i32_e32 vcc, 32, v2
	v_cndmask_b32_e32 v1, 0, v1, vcc
	v_cndmask_b32_e32 v0, 3, v0, vcc
	v_cmp_eq_u64_e64 s[26:27], 0, v[0:1]
	v_min_i32_e32 v1, 31, v2
	v_lshlrev_b32_e32 v1, 2, v1
	v_cmp_eq_u32_e32 vcc, 0, v2
	v_and_b32_e32 v1, 0xfc, v1
	v_and_or_b32 v0, v0, 3, v1
	s_and_b64 s[26:27], vcc, s[26:27]
	v_cndmask_b32_e64 v0, v0, 0, s[26:27]
	v_or_b32_e32 v0, v0, v3
	buffer_store_dword v0, off, s[0:3], s33 offset:248 ; 4-byte Folded Spill
.LBB4_443:                              ;   in Loop: Header=BB4_137 Depth=3
	s_or_b64 exec, exec, s[34:35]
                                        ; implicit-def: $vgpr3
.LBB4_444:                              ;   in Loop: Header=BB4_137 Depth=3
	s_andn2_saveexec_b64 s[26:27], s[30:31]
	s_cbranch_execz .LBB4_446
; %bb.445:                              ;   in Loop: Header=BB4_137 Depth=3
	v_or_b32_e32 v0, 0x7b, v3
	buffer_store_dword v0, off, s[0:3], s33 offset:248 ; 4-byte Folded Spill
.LBB4_446:                              ;   in Loop: Header=BB4_137 Depth=3
	s_or_b64 exec, exec, s[26:27]
                                        ; implicit-def: $vgpr2
                                        ; implicit-def: $vgpr0_vgpr1
.LBB4_447:                              ;   in Loop: Header=BB4_137 Depth=3
	s_andn2_saveexec_b64 s[26:27], s[94:95]
	s_cbranch_execz .LBB4_453
; %bb.448:                              ;   in Loop: Header=BB4_137 Depth=3
	v_cmp_ne_u64_e32 vcc, 0, v[0:1]
                                        ; implicit-def: $vgpr0
                                        ; kill: killed $vgpr0
	s_and_saveexec_b64 s[94:95], vcc
	s_xor_b64 s[94:95], exec, s[94:95]
	s_cbranch_execz .LBB4_450
; %bb.449:                              ;   in Loop: Header=BB4_137 Depth=3
	v_or_b32_sdwa v0, v2, s47 dst_sel:DWORD dst_unused:UNUSED_PAD src0_sel:BYTE_3 src1_sel:DWORD
	buffer_store_dword v0, off, s[0:3], s33 offset:248 ; 4-byte Folded Spill
                                        ; implicit-def: $vgpr2
.LBB4_450:                              ;   in Loop: Header=BB4_137 Depth=3
	s_andn2_saveexec_b64 s[94:95], s[94:95]
	s_cbranch_execz .LBB4_452
; %bb.451:                              ;   in Loop: Header=BB4_137 Depth=3
	v_cmp_lt_i32_e32 vcc, -1, v2
	v_bfrev_b32_e32 v0, 0.5
	v_cndmask_b32_e32 v0, v0, v52, vcc
	buffer_store_dword v0, off, s[0:3], s33 offset:248 ; 4-byte Folded Spill
.LBB4_452:                              ;   in Loop: Header=BB4_137 Depth=3
	s_or_b64 exec, exec, s[94:95]
.LBB4_453:                              ;   in Loop: Header=BB4_137 Depth=3
	s_or_b64 exec, exec, s[26:27]
	v_cmp_lt_u32_e32 vcc, s57, v10
	v_mov_b32_e32 v1, 0
	s_and_saveexec_b64 s[26:27], vcc
	s_cbranch_execz .LBB4_461
; %bb.454:                              ;   in Loop: Header=BB4_137 Depth=3
	v_lshrrev_b32_e32 v0, 24, v10
	v_cmp_ne_u32_e32 vcc, s96, v0
	v_bfrev_b32_e32 v1, 1
	s_and_saveexec_b64 s[94:95], vcc
	s_cbranch_execz .LBB4_460
; %bb.455:                              ;   in Loop: Header=BB4_137 Depth=3
	v_and_b32_e32 v1, 0x7c000000, v10
	v_bfe_u32 v2, v10, 24, 2
	v_cmp_ne_u32_e32 vcc, s45, v1
                                        ; implicit-def: $vgpr1
	s_and_saveexec_b64 s[30:31], vcc
	s_xor_b64 s[30:31], exec, s[30:31]
	s_cbranch_execz .LBB4_457
; %bb.456:                              ;   in Loop: Header=BB4_137 Depth=3
	v_ffbh_u32_e32 v1, v2
	v_min_u32_e32 v5, 32, v1
	v_subrev_u32_e32 v1, 29, v5
	v_lshlrev_b64 v[0:1], v1, v[0:1]
	v_bfe_u32 v3, v10, 26, 5
	v_sub_u32_e32 v1, 30, v5
	v_and_b32_e32 v0, 3, v0
	v_cmp_eq_u32_e32 vcc, 0, v3
	v_cndmask_b32_e32 v1, v3, v1, vcc
	v_cndmask_b32_e32 v0, v2, v0, vcc
	v_and_b32_e32 v2, 0x80000000, v10
	v_lshl_add_u32 v1, v1, 23, v2
	v_lshl_or_b32 v0, v0, 21, v1
	v_add_u32_e32 v1, 0x38000000, v0
                                        ; implicit-def: $vgpr2
.LBB4_457:                              ;   in Loop: Header=BB4_137 Depth=3
	s_andn2_saveexec_b64 s[30:31], s[30:31]
; %bb.458:                              ;   in Loop: Header=BB4_137 Depth=3
	v_cmp_lt_i32_e32 vcc, -1, v10
	v_mov_b32_e32 v0, 0xff800000
	v_mov_b32_e32 v1, 0x7f800000
	v_cndmask_b32_e32 v0, v0, v1, vcc
	v_cmp_eq_u32_e32 vcc, 0, v2
	v_mov_b32_e32 v1, 0x7f800001
	v_cndmask_b32_e32 v1, v1, v0, vcc
; %bb.459:                              ;   in Loop: Header=BB4_137 Depth=3
	s_or_b64 exec, exec, s[30:31]
.LBB4_460:                              ;   in Loop: Header=BB4_137 Depth=3
	s_or_b64 exec, exec, s[94:95]
.LBB4_461:                              ;   in Loop: Header=BB4_137 Depth=3
	s_or_b64 exec, exec, s[26:27]
	v_mul_f32_e32 v2, v21, v1
	v_and_b32_e32 v8, 0x7f800000, v2
	v_mov_b32_e32 v9, v17
	v_cmp_ne_u64_e32 vcc, s[76:77], v[8:9]
	v_and_b32_e32 v0, 0x7fffff, v2
	v_mov_b32_e32 v1, v17
                                        ; implicit-def: $vgpr3
                                        ; kill: killed $vgpr3
	s_and_saveexec_b64 s[26:27], vcc
	s_xor_b64 s[94:95], exec, s[26:27]
	s_cbranch_execz .LBB4_475
; %bb.462:                              ;   in Loop: Header=BB4_137 Depth=3
	v_and_b32_e32 v8, 0x7fffffff, v2
	v_mov_b32_e32 v9, v17
	v_cmp_gt_u64_e32 vcc, s[78:79], v[8:9]
	v_and_b32_sdwa v3, v2, s96 dst_sel:DWORD dst_unused:UNUSED_PAD src0_sel:BYTE_3 src1_sel:DWORD
                                        ; implicit-def: $vgpr5
                                        ; kill: killed $vgpr5
	s_and_saveexec_b64 s[26:27], vcc
	s_xor_b64 s[30:31], exec, s[26:27]
	s_cbranch_execz .LBB4_472
; %bb.463:                              ;   in Loop: Header=BB4_137 Depth=3
	v_mov_b32_e32 v5, 0
	v_cmp_ne_u32_e32 vcc, 0, v2
	buffer_store_dword v5, off, s[0:3], s33 offset:252 ; 4-byte Folded Spill
	s_and_saveexec_b64 s[34:35], vcc
	s_cbranch_execz .LBB4_471
; %bb.464:                              ;   in Loop: Header=BB4_137 Depth=3
	v_bfe_u32 v5, v2, 23, 8
	v_cmp_gt_u32_e64 s[26:27], s46, v5
	v_sub_u32_e32 v2, 0x71, v5
	v_cmp_eq_u32_e32 vcc, 0, v5
	v_cndmask_b32_e64 v2, 0, v2, s[26:27]
	v_mov_b32_e32 v8, 0x70
	v_cndmask_b32_e32 v8, v2, v8, vcc
	v_add_u32_e32 v2, 21, v8
	v_or_b32_e32 v9, 0x800000, v0
	v_lshlrev_b64 v[12:13], v2, -1
	v_cndmask_b32_e32 v0, v9, v0, vcc
	v_add_u32_e32 v2, 20, v8
	v_bfi_b32 v12, v12, 0, v0
	v_lshlrev_b64 v[14:15], v2, 1
	v_lshrrev_b64 v[0:1], v8, v[0:1]
	v_bfi_b32 v13, v13, 0, 0
	v_cmp_eq_u64_e64 s[26:27], v[12:13], v[14:15]
	v_mov_b32_e32 v2, v1
	v_mov_b32_e32 v1, v0
	s_and_saveexec_b64 s[36:37], s[26:27]
; %bb.465:                              ;   in Loop: Header=BB4_137 Depth=3
	v_bfe_u32 v1, v0, 21, 1
	v_add_co_u32_e64 v1, s[26:27], v0, v1
	v_add_co_u32_e64 v1, s[26:27], -1, v1
; %bb.466:                              ;   in Loop: Header=BB4_137 Depth=3
	s_or_b64 exec, exec, s[36:37]
	v_add_u32_e32 v2, 0xffffff81, v5
	v_mov_b32_e32 v5, 0xffffff82
	v_cndmask_b32_e32 v2, v2, v5, vcc
	v_lshrrev_b32_e32 v5, 23, v0
	v_add3_u32 v8, v8, v2, v5
	v_add_u32_e32 v5, 14, v8
	v_and_b32_e32 v1, 0x1fffff, v1
	v_add_u32_e32 v0, v1, v0
	v_mov_b32_e32 v1, v17
	v_cmp_ne_u32_e32 vcc, 0, v5
                                        ; implicit-def: $vgpr2
	s_and_saveexec_b64 s[26:27], vcc
	s_xor_b64 s[26:27], exec, s[26:27]
; %bb.467:                              ;   in Loop: Header=BB4_137 Depth=3
	v_cmp_lt_u64_e32 vcc, s[88:89], v[0:1]
	v_add_u32_e32 v2, 15, v8
	v_cndmask_b32_e32 v2, v5, v2, vcc
	v_cndmask_b32_e64 v5, 0, 1, vcc
	v_lshrrev_b64 v[0:1], v5, v[0:1]
; %bb.468:                              ;   in Loop: Header=BB4_137 Depth=3
	s_andn2_saveexec_b64 s[26:27], s[26:27]
; %bb.469:                              ;   in Loop: Header=BB4_137 Depth=3
	v_bfe_u32 v2, v0, 23, 1
; %bb.470:                              ;   in Loop: Header=BB4_137 Depth=3
	s_or_b64 exec, exec, s[26:27]
	v_lshrrev_b64 v[0:1], 21, v[0:1]
	v_cmp_gt_i32_e32 vcc, 32, v2
	v_cndmask_b32_e32 v1, 0, v1, vcc
	v_cndmask_b32_e32 v0, 3, v0, vcc
	v_cmp_eq_u64_e64 s[26:27], 0, v[0:1]
	v_min_i32_e32 v1, 31, v2
	v_lshlrev_b32_e32 v1, 2, v1
	v_cmp_eq_u32_e32 vcc, 0, v2
	v_and_b32_e32 v1, 0xfc, v1
	v_and_or_b32 v0, v0, 3, v1
	s_and_b64 s[26:27], vcc, s[26:27]
	v_cndmask_b32_e64 v0, v0, 0, s[26:27]
	v_or_b32_e32 v0, v0, v3
	buffer_store_dword v0, off, s[0:3], s33 offset:252 ; 4-byte Folded Spill
.LBB4_471:                              ;   in Loop: Header=BB4_137 Depth=3
	s_or_b64 exec, exec, s[34:35]
                                        ; implicit-def: $vgpr3
.LBB4_472:                              ;   in Loop: Header=BB4_137 Depth=3
	s_andn2_saveexec_b64 s[26:27], s[30:31]
	s_cbranch_execz .LBB4_474
; %bb.473:                              ;   in Loop: Header=BB4_137 Depth=3
	v_or_b32_e32 v0, 0x7b, v3
	buffer_store_dword v0, off, s[0:3], s33 offset:252 ; 4-byte Folded Spill
.LBB4_474:                              ;   in Loop: Header=BB4_137 Depth=3
	s_or_b64 exec, exec, s[26:27]
                                        ; implicit-def: $vgpr2
                                        ; implicit-def: $vgpr0_vgpr1
.LBB4_475:                              ;   in Loop: Header=BB4_137 Depth=3
	s_andn2_saveexec_b64 s[26:27], s[94:95]
	s_cbranch_execz .LBB4_481
; %bb.476:                              ;   in Loop: Header=BB4_137 Depth=3
	v_cmp_ne_u64_e32 vcc, 0, v[0:1]
                                        ; implicit-def: $vgpr0
                                        ; kill: killed $vgpr0
	s_and_saveexec_b64 s[94:95], vcc
	s_xor_b64 s[94:95], exec, s[94:95]
	s_cbranch_execz .LBB4_478
; %bb.477:                              ;   in Loop: Header=BB4_137 Depth=3
	v_or_b32_sdwa v0, v2, s47 dst_sel:DWORD dst_unused:UNUSED_PAD src0_sel:BYTE_3 src1_sel:DWORD
	buffer_store_dword v0, off, s[0:3], s33 offset:252 ; 4-byte Folded Spill
                                        ; implicit-def: $vgpr2
.LBB4_478:                              ;   in Loop: Header=BB4_137 Depth=3
	s_andn2_saveexec_b64 s[94:95], s[94:95]
	s_cbranch_execz .LBB4_480
; %bb.479:                              ;   in Loop: Header=BB4_137 Depth=3
	v_cmp_lt_i32_e32 vcc, -1, v2
	v_bfrev_b32_e32 v0, 0.5
	v_cndmask_b32_e32 v0, v0, v52, vcc
	buffer_store_dword v0, off, s[0:3], s33 offset:252 ; 4-byte Folded Spill
.LBB4_480:                              ;   in Loop: Header=BB4_137 Depth=3
	s_or_b64 exec, exec, s[94:95]
.LBB4_481:                              ;   in Loop: Header=BB4_137 Depth=3
	s_or_b64 exec, exec, s[26:27]
	v_mov_b32_e32 v0, v11
	v_mov_b32_e32 v1, v17
	v_cmp_ne_u16_sdwa s[94:95], v11, v17 src0_sel:BYTE_0 src1_sel:DWORD
	v_mov_b32_e32 v2, 0
	s_and_saveexec_b64 s[26:27], s[94:95]
	s_cbranch_execz .LBB4_489
; %bb.482:                              ;   in Loop: Header=BB4_137 Depth=3
	v_cmp_ne_u16_sdwa vcc, v11, s96 src0_sel:BYTE_0 src1_sel:DWORD
	v_bfrev_b32_e32 v2, 1
	s_and_saveexec_b64 s[94:95], vcc
	s_cbranch_execz .LBB4_488
; %bb.483:                              ;   in Loop: Header=BB4_137 Depth=3
	v_and_b32_e32 v2, 0x7c, v11
	v_and_b32_e32 v3, 3, v11
	v_cmp_ne_u32_e32 vcc, s85, v2
                                        ; implicit-def: $vgpr2
	s_and_saveexec_b64 s[30:31], vcc
	s_xor_b64 s[30:31], exec, s[30:31]
	s_cbranch_execz .LBB4_485
; %bb.484:                              ;   in Loop: Header=BB4_137 Depth=3
	v_ffbh_u32_e32 v2, v3
	v_min_u32_e32 v8, 32, v2
	v_subrev_u32_e32 v2, 29, v8
	v_lshlrev_b64 v[1:2], v2, v[0:1]
	v_bfe_u32 v5, v11, 2, 5
	v_and_b32_e32 v1, 3, v1
	v_cmp_eq_u32_e32 vcc, 0, v5
	v_sub_u32_e32 v2, 30, v8
	v_cndmask_b32_e32 v1, v3, v1, vcc
	v_lshlrev_b32_e32 v3, 24, v11
	v_cndmask_b32_e32 v2, v5, v2, vcc
	v_and_b32_e32 v3, 0x80000000, v3
	v_lshl_add_u32 v2, v2, 23, v3
	v_lshl_or_b32 v1, v1, 21, v2
	v_add_u32_e32 v2, 0x38000000, v1
                                        ; implicit-def: $vgpr3
.LBB4_485:                              ;   in Loop: Header=BB4_137 Depth=3
	s_andn2_saveexec_b64 s[30:31], s[30:31]
; %bb.486:                              ;   in Loop: Header=BB4_137 Depth=3
	v_mov_b32_e32 v1, -1
	v_cmp_gt_i16_sdwa vcc, sext(v11), v1 src0_sel:BYTE_0 src1_sel:DWORD
	v_mov_b32_e32 v1, 0xff800000
	v_mov_b32_e32 v2, 0x7f800000
	v_cndmask_b32_e32 v1, v1, v2, vcc
	v_cmp_eq_u32_e32 vcc, 0, v3
	v_mov_b32_e32 v2, 0x7f800001
	v_cndmask_b32_e32 v2, v2, v1, vcc
; %bb.487:                              ;   in Loop: Header=BB4_137 Depth=3
	s_or_b64 exec, exec, s[30:31]
.LBB4_488:                              ;   in Loop: Header=BB4_137 Depth=3
	s_or_b64 exec, exec, s[94:95]
.LBB4_489:                              ;   in Loop: Header=BB4_137 Depth=3
	s_or_b64 exec, exec, s[26:27]
	v_mul_f32_e32 v3, v21, v2
	v_and_b32_e32 v8, 0x7f800000, v3
	v_mov_b32_e32 v9, v17
	v_cmp_ne_u64_e32 vcc, s[76:77], v[8:9]
	v_and_b32_e32 v1, 0x7fffff, v3
	v_mov_b32_e32 v2, v17
                                        ; implicit-def: $vgpr5
                                        ; kill: killed $vgpr5
	s_and_saveexec_b64 s[26:27], vcc
	s_xor_b64 s[94:95], exec, s[26:27]
	s_cbranch_execz .LBB4_503
; %bb.490:                              ;   in Loop: Header=BB4_137 Depth=3
	v_and_b32_e32 v8, 0x7fffffff, v3
	v_mov_b32_e32 v9, v17
	v_cmp_gt_u64_e32 vcc, s[78:79], v[8:9]
	v_and_b32_sdwa v5, v3, s96 dst_sel:DWORD dst_unused:UNUSED_PAD src0_sel:BYTE_3 src1_sel:DWORD
                                        ; implicit-def: $vgpr8
                                        ; kill: killed $vgpr8
	s_and_saveexec_b64 s[26:27], vcc
	s_xor_b64 s[30:31], exec, s[26:27]
	s_cbranch_execz .LBB4_500
; %bb.491:                              ;   in Loop: Header=BB4_137 Depth=3
	v_mov_b32_e32 v8, 0
	v_cmp_ne_u32_e32 vcc, 0, v3
	buffer_store_dword v8, off, s[0:3], s33 offset:260 ; 4-byte Folded Spill
	s_and_saveexec_b64 s[34:35], vcc
	s_cbranch_execz .LBB4_499
; %bb.492:                              ;   in Loop: Header=BB4_137 Depth=3
	v_bfe_u32 v8, v3, 23, 8
	v_cmp_gt_u32_e64 s[26:27], s46, v8
	v_sub_u32_e32 v3, 0x71, v8
	v_cmp_eq_u32_e32 vcc, 0, v8
	v_cndmask_b32_e64 v3, 0, v3, s[26:27]
	v_mov_b32_e32 v9, 0x70
	v_cndmask_b32_e32 v9, v3, v9, vcc
	v_or_b32_e32 v12, 0x800000, v1
	v_add_u32_e32 v3, 21, v9
	v_cndmask_b32_e32 v1, v12, v1, vcc
	v_lshlrev_b64 v[12:13], v3, -1
	v_add_u32_e32 v3, 20, v9
	v_bfi_b32 v12, v12, 0, v1
	v_lshlrev_b64 v[14:15], v3, 1
	v_lshrrev_b64 v[1:2], v9, v[1:2]
	v_bfi_b32 v13, v13, 0, 0
	v_cmp_eq_u64_e64 s[26:27], v[12:13], v[14:15]
	v_mov_b32_e32 v3, v2
	v_mov_b32_e32 v2, v1
	s_and_saveexec_b64 s[36:37], s[26:27]
; %bb.493:                              ;   in Loop: Header=BB4_137 Depth=3
	v_bfe_u32 v2, v1, 21, 1
	v_add_co_u32_e64 v2, s[26:27], v1, v2
	v_add_co_u32_e64 v2, s[26:27], -1, v2
; %bb.494:                              ;   in Loop: Header=BB4_137 Depth=3
	s_or_b64 exec, exec, s[36:37]
	v_add_u32_e32 v3, 0xffffff81, v8
	v_mov_b32_e32 v8, 0xffffff82
	v_cndmask_b32_e32 v3, v3, v8, vcc
	v_lshrrev_b32_e32 v8, 23, v1
	v_add3_u32 v9, v9, v3, v8
	v_add_u32_e32 v8, 14, v9
	v_and_b32_e32 v2, 0x1fffff, v2
	v_add_u32_e32 v1, v2, v1
	v_mov_b32_e32 v2, v17
	v_cmp_ne_u32_e32 vcc, 0, v8
                                        ; implicit-def: $vgpr3
	s_and_saveexec_b64 s[26:27], vcc
	s_xor_b64 s[26:27], exec, s[26:27]
; %bb.495:                              ;   in Loop: Header=BB4_137 Depth=3
	v_cmp_lt_u64_e32 vcc, s[88:89], v[1:2]
	v_add_u32_e32 v3, 15, v9
	v_cndmask_b32_e32 v3, v8, v3, vcc
	v_cndmask_b32_e64 v8, 0, 1, vcc
	v_lshrrev_b64 v[1:2], v8, v[1:2]
; %bb.496:                              ;   in Loop: Header=BB4_137 Depth=3
	s_andn2_saveexec_b64 s[26:27], s[26:27]
; %bb.497:                              ;   in Loop: Header=BB4_137 Depth=3
	v_bfe_u32 v3, v1, 23, 1
; %bb.498:                              ;   in Loop: Header=BB4_137 Depth=3
	s_or_b64 exec, exec, s[26:27]
	v_lshrrev_b64 v[1:2], 21, v[1:2]
	v_cmp_gt_i32_e32 vcc, 32, v3
	v_cndmask_b32_e32 v2, 0, v2, vcc
	v_cndmask_b32_e32 v1, 3, v1, vcc
	v_cmp_eq_u64_e64 s[26:27], 0, v[1:2]
	v_min_i32_e32 v2, 31, v3
	v_lshlrev_b32_e32 v2, 2, v2
	v_cmp_eq_u32_e32 vcc, 0, v3
	v_and_b32_e32 v2, 0xfc, v2
	v_and_or_b32 v1, v1, 3, v2
	s_and_b64 s[26:27], vcc, s[26:27]
	v_cndmask_b32_e64 v1, v1, 0, s[26:27]
	v_or_b32_e32 v1, v1, v5
	buffer_store_dword v1, off, s[0:3], s33 offset:260 ; 4-byte Folded Spill
.LBB4_499:                              ;   in Loop: Header=BB4_137 Depth=3
	s_or_b64 exec, exec, s[34:35]
                                        ; implicit-def: $vgpr5
.LBB4_500:                              ;   in Loop: Header=BB4_137 Depth=3
	s_andn2_saveexec_b64 s[26:27], s[30:31]
	s_cbranch_execz .LBB4_502
; %bb.501:                              ;   in Loop: Header=BB4_137 Depth=3
	v_or_b32_e32 v1, 0x7b, v5
	buffer_store_dword v1, off, s[0:3], s33 offset:260 ; 4-byte Folded Spill
.LBB4_502:                              ;   in Loop: Header=BB4_137 Depth=3
	s_or_b64 exec, exec, s[26:27]
                                        ; implicit-def: $vgpr3
                                        ; implicit-def: $vgpr1_vgpr2
.LBB4_503:                              ;   in Loop: Header=BB4_137 Depth=3
	s_andn2_saveexec_b64 s[26:27], s[94:95]
	s_cbranch_execz .LBB4_509
; %bb.504:                              ;   in Loop: Header=BB4_137 Depth=3
	v_cmp_ne_u64_e32 vcc, 0, v[1:2]
                                        ; implicit-def: $vgpr1
                                        ; kill: killed $vgpr1
	s_and_saveexec_b64 s[94:95], vcc
	s_xor_b64 s[94:95], exec, s[94:95]
	s_cbranch_execz .LBB4_506
; %bb.505:                              ;   in Loop: Header=BB4_137 Depth=3
	v_or_b32_sdwa v1, v3, s47 dst_sel:DWORD dst_unused:UNUSED_PAD src0_sel:BYTE_3 src1_sel:DWORD
	buffer_store_dword v1, off, s[0:3], s33 offset:260 ; 4-byte Folded Spill
                                        ; implicit-def: $vgpr3
.LBB4_506:                              ;   in Loop: Header=BB4_137 Depth=3
	s_andn2_saveexec_b64 s[94:95], s[94:95]
	s_cbranch_execz .LBB4_508
; %bb.507:                              ;   in Loop: Header=BB4_137 Depth=3
	v_cmp_lt_i32_e32 vcc, -1, v3
	v_bfrev_b32_e32 v1, 0.5
	v_cndmask_b32_e32 v1, v1, v52, vcc
	buffer_store_dword v1, off, s[0:3], s33 offset:260 ; 4-byte Folded Spill
.LBB4_508:                              ;   in Loop: Header=BB4_137 Depth=3
	s_or_b64 exec, exec, s[94:95]
.LBB4_509:                              ;   in Loop: Header=BB4_137 Depth=3
	s_or_b64 exec, exec, s[26:27]
	v_lshrrev_b16_e32 v1, 8, v0
	v_cmp_ne_u16_e32 vcc, 0, v1
	v_mov_b32_e32 v2, 0
	s_and_saveexec_b64 s[26:27], vcc
	s_cbranch_execz .LBB4_517
; %bb.510:                              ;   in Loop: Header=BB4_137 Depth=3
	v_cmp_ne_u16_e32 vcc, s96, v1
	v_bfrev_b32_e32 v2, 1
	s_and_saveexec_b64 s[94:95], vcc
	s_cbranch_execz .LBB4_516
; %bb.511:                              ;   in Loop: Header=BB4_137 Depth=3
	v_and_b32_e32 v2, 0x7c, v1
	v_and_b32_e32 v3, 3, v1
	v_cmp_ne_u32_e32 vcc, s85, v2
                                        ; implicit-def: $vgpr2
	s_and_saveexec_b64 s[30:31], vcc
	s_xor_b64 s[30:31], exec, s[30:31]
	s_cbranch_execz .LBB4_513
; %bb.512:                              ;   in Loop: Header=BB4_137 Depth=3
	v_ffbh_u32_e32 v8, v3
	v_min_u32_e32 v8, 32, v8
	v_mov_b32_e32 v2, v17
	v_subrev_u32_e32 v9, 29, v8
	v_bfe_u32 v5, v1, 2, 5
	v_lshlrev_b64 v[1:2], v9, v[1:2]
	v_sub_u32_e32 v2, 30, v8
	v_cmp_eq_u32_e32 vcc, 0, v5
	v_lshlrev_b32_e32 v0, 16, v0
	v_and_b32_e32 v1, 3, v1
	v_cndmask_b32_e32 v2, v5, v2, vcc
	v_and_b32_e32 v0, 0x80000000, v0
	v_cndmask_b32_e32 v1, v3, v1, vcc
	v_lshl_add_u32 v0, v2, 23, v0
	v_lshl_or_b32 v0, v1, 21, v0
	v_add_u32_e32 v2, 0x38000000, v0
                                        ; implicit-def: $vgpr3
                                        ; implicit-def: $vgpr0_vgpr1
.LBB4_513:                              ;   in Loop: Header=BB4_137 Depth=3
	s_andn2_saveexec_b64 s[30:31], s[30:31]
; %bb.514:                              ;   in Loop: Header=BB4_137 Depth=3
	v_cmp_lt_i16_e32 vcc, -1, v0
	v_mov_b32_e32 v0, 0xff800000
	v_mov_b32_e32 v1, 0x7f800000
	v_cndmask_b32_e32 v0, v0, v1, vcc
	v_cmp_eq_u32_e32 vcc, 0, v3
	v_mov_b32_e32 v1, 0x7f800001
	v_cndmask_b32_e32 v2, v1, v0, vcc
; %bb.515:                              ;   in Loop: Header=BB4_137 Depth=3
	s_or_b64 exec, exec, s[30:31]
.LBB4_516:                              ;   in Loop: Header=BB4_137 Depth=3
	s_or_b64 exec, exec, s[94:95]
.LBB4_517:                              ;   in Loop: Header=BB4_137 Depth=3
	s_or_b64 exec, exec, s[26:27]
	v_mul_f32_e32 v2, v21, v2
	v_and_b32_e32 v8, 0x7f800000, v2
	v_mov_b32_e32 v9, v17
	v_cmp_ne_u64_e32 vcc, s[76:77], v[8:9]
	v_and_b32_e32 v0, 0x7fffff, v2
	v_mov_b32_e32 v1, v17
                                        ; implicit-def: $vgpr3
                                        ; kill: killed $vgpr3
	s_and_saveexec_b64 s[26:27], vcc
	s_xor_b64 s[94:95], exec, s[26:27]
	s_cbranch_execz .LBB4_531
; %bb.518:                              ;   in Loop: Header=BB4_137 Depth=3
	v_and_b32_e32 v8, 0x7fffffff, v2
	v_mov_b32_e32 v9, v17
	v_cmp_gt_u64_e32 vcc, s[78:79], v[8:9]
	v_and_b32_sdwa v3, v2, s96 dst_sel:DWORD dst_unused:UNUSED_PAD src0_sel:BYTE_3 src1_sel:DWORD
                                        ; implicit-def: $vgpr5
                                        ; kill: killed $vgpr5
	s_and_saveexec_b64 s[26:27], vcc
	s_xor_b64 s[30:31], exec, s[26:27]
	s_cbranch_execz .LBB4_528
; %bb.519:                              ;   in Loop: Header=BB4_137 Depth=3
	v_mov_b32_e32 v5, 0
	v_cmp_ne_u32_e32 vcc, 0, v2
	buffer_store_dword v5, off, s[0:3], s33 offset:264 ; 4-byte Folded Spill
	s_and_saveexec_b64 s[34:35], vcc
	s_cbranch_execz .LBB4_527
; %bb.520:                              ;   in Loop: Header=BB4_137 Depth=3
	v_bfe_u32 v5, v2, 23, 8
	v_cmp_gt_u32_e64 s[26:27], s46, v5
	v_sub_u32_e32 v2, 0x71, v5
	v_cmp_eq_u32_e32 vcc, 0, v5
	v_cndmask_b32_e64 v2, 0, v2, s[26:27]
	v_mov_b32_e32 v8, 0x70
	v_cndmask_b32_e32 v8, v2, v8, vcc
	v_add_u32_e32 v2, 21, v8
	v_or_b32_e32 v9, 0x800000, v0
	v_lshlrev_b64 v[12:13], v2, -1
	v_cndmask_b32_e32 v0, v9, v0, vcc
	v_add_u32_e32 v2, 20, v8
	v_bfi_b32 v12, v12, 0, v0
	v_lshlrev_b64 v[14:15], v2, 1
	v_lshrrev_b64 v[0:1], v8, v[0:1]
	v_bfi_b32 v13, v13, 0, 0
	v_cmp_eq_u64_e64 s[26:27], v[12:13], v[14:15]
	v_mov_b32_e32 v2, v1
	v_mov_b32_e32 v1, v0
	s_and_saveexec_b64 s[36:37], s[26:27]
; %bb.521:                              ;   in Loop: Header=BB4_137 Depth=3
	v_bfe_u32 v1, v0, 21, 1
	v_add_co_u32_e64 v1, s[26:27], v0, v1
	v_add_co_u32_e64 v1, s[26:27], -1, v1
; %bb.522:                              ;   in Loop: Header=BB4_137 Depth=3
	s_or_b64 exec, exec, s[36:37]
	v_add_u32_e32 v2, 0xffffff81, v5
	v_mov_b32_e32 v5, 0xffffff82
	v_cndmask_b32_e32 v2, v2, v5, vcc
	v_lshrrev_b32_e32 v5, 23, v0
	v_add3_u32 v8, v8, v2, v5
	v_add_u32_e32 v5, 14, v8
	v_and_b32_e32 v1, 0x1fffff, v1
	v_add_u32_e32 v0, v1, v0
	v_mov_b32_e32 v1, v17
	v_cmp_ne_u32_e32 vcc, 0, v5
                                        ; implicit-def: $vgpr2
	s_and_saveexec_b64 s[26:27], vcc
	s_xor_b64 s[26:27], exec, s[26:27]
; %bb.523:                              ;   in Loop: Header=BB4_137 Depth=3
	v_cmp_lt_u64_e32 vcc, s[88:89], v[0:1]
	v_add_u32_e32 v2, 15, v8
	v_cndmask_b32_e32 v2, v5, v2, vcc
	v_cndmask_b32_e64 v5, 0, 1, vcc
	v_lshrrev_b64 v[0:1], v5, v[0:1]
; %bb.524:                              ;   in Loop: Header=BB4_137 Depth=3
	s_andn2_saveexec_b64 s[26:27], s[26:27]
; %bb.525:                              ;   in Loop: Header=BB4_137 Depth=3
	v_bfe_u32 v2, v0, 23, 1
; %bb.526:                              ;   in Loop: Header=BB4_137 Depth=3
	s_or_b64 exec, exec, s[26:27]
	v_lshrrev_b64 v[0:1], 21, v[0:1]
	v_cmp_gt_i32_e32 vcc, 32, v2
	v_cndmask_b32_e32 v1, 0, v1, vcc
	v_cndmask_b32_e32 v0, 3, v0, vcc
	v_cmp_eq_u64_e64 s[26:27], 0, v[0:1]
	v_min_i32_e32 v1, 31, v2
	v_lshlrev_b32_e32 v1, 2, v1
	v_cmp_eq_u32_e32 vcc, 0, v2
	v_and_b32_e32 v1, 0xfc, v1
	v_and_or_b32 v0, v0, 3, v1
	s_and_b64 s[26:27], vcc, s[26:27]
	v_cndmask_b32_e64 v0, v0, 0, s[26:27]
	v_or_b32_e32 v0, v0, v3
	buffer_store_dword v0, off, s[0:3], s33 offset:264 ; 4-byte Folded Spill
.LBB4_527:                              ;   in Loop: Header=BB4_137 Depth=3
	s_or_b64 exec, exec, s[34:35]
                                        ; implicit-def: $vgpr3
.LBB4_528:                              ;   in Loop: Header=BB4_137 Depth=3
	s_andn2_saveexec_b64 s[26:27], s[30:31]
	s_cbranch_execz .LBB4_530
; %bb.529:                              ;   in Loop: Header=BB4_137 Depth=3
	v_or_b32_e32 v0, 0x7b, v3
	buffer_store_dword v0, off, s[0:3], s33 offset:264 ; 4-byte Folded Spill
.LBB4_530:                              ;   in Loop: Header=BB4_137 Depth=3
	s_or_b64 exec, exec, s[26:27]
                                        ; implicit-def: $vgpr2
                                        ; implicit-def: $vgpr0_vgpr1
.LBB4_531:                              ;   in Loop: Header=BB4_137 Depth=3
	s_andn2_saveexec_b64 s[26:27], s[94:95]
	s_cbranch_execz .LBB4_537
; %bb.532:                              ;   in Loop: Header=BB4_137 Depth=3
	v_cmp_ne_u64_e32 vcc, 0, v[0:1]
                                        ; implicit-def: $vgpr0
                                        ; kill: killed $vgpr0
	s_and_saveexec_b64 s[94:95], vcc
	s_xor_b64 s[94:95], exec, s[94:95]
	s_cbranch_execz .LBB4_534
; %bb.533:                              ;   in Loop: Header=BB4_137 Depth=3
	v_or_b32_sdwa v0, v2, s47 dst_sel:DWORD dst_unused:UNUSED_PAD src0_sel:BYTE_3 src1_sel:DWORD
	buffer_store_dword v0, off, s[0:3], s33 offset:264 ; 4-byte Folded Spill
                                        ; implicit-def: $vgpr2
.LBB4_534:                              ;   in Loop: Header=BB4_137 Depth=3
	s_andn2_saveexec_b64 s[94:95], s[94:95]
	s_cbranch_execz .LBB4_536
; %bb.535:                              ;   in Loop: Header=BB4_137 Depth=3
	v_cmp_lt_i32_e32 vcc, -1, v2
	v_bfrev_b32_e32 v0, 0.5
	v_cndmask_b32_e32 v0, v0, v52, vcc
	buffer_store_dword v0, off, s[0:3], s33 offset:264 ; 4-byte Folded Spill
.LBB4_536:                              ;   in Loop: Header=BB4_137 Depth=3
	s_or_b64 exec, exec, s[94:95]
.LBB4_537:                              ;   in Loop: Header=BB4_137 Depth=3
	s_or_b64 exec, exec, s[26:27]
	v_lshrrev_b32_e32 v0, 16, v11
	v_cmp_ne_u16_sdwa s[94:95], v0, v17 src0_sel:BYTE_0 src1_sel:DWORD
	v_mov_b32_e32 v1, 0
	s_and_saveexec_b64 s[26:27], s[94:95]
	s_cbranch_execz .LBB4_545
; %bb.538:                              ;   in Loop: Header=BB4_137 Depth=3
	v_cmp_ne_u16_sdwa vcc, v0, s96 src0_sel:BYTE_0 src1_sel:DWORD
	v_bfrev_b32_e32 v1, 1
	s_and_saveexec_b64 s[94:95], vcc
	s_cbranch_execz .LBB4_544
; %bb.539:                              ;   in Loop: Header=BB4_137 Depth=3
	v_and_b32_e32 v1, 0x7c0000, v11
	v_bfe_u32 v2, v11, 16, 2
	v_cmp_ne_u32_e32 vcc, s44, v1
                                        ; implicit-def: $vgpr1
	s_and_saveexec_b64 s[30:31], vcc
	s_xor_b64 s[30:31], exec, s[30:31]
	s_cbranch_execz .LBB4_541
; %bb.540:                              ;   in Loop: Header=BB4_137 Depth=3
	v_ffbh_u32_e32 v1, v2
	v_min_u32_e32 v5, 32, v1
	v_subrev_u32_e32 v1, 29, v5
	v_lshlrev_b64 v[0:1], v1, v[0:1]
	v_bfe_u32 v3, v11, 18, 5
	v_and_b32_e32 v0, 3, v0
	v_cmp_eq_u32_e32 vcc, 0, v3
	v_sub_u32_e32 v1, 30, v5
	v_cndmask_b32_e32 v0, v2, v0, vcc
	v_lshlrev_b32_e32 v2, 8, v11
	v_cndmask_b32_e32 v1, v3, v1, vcc
	v_and_b32_e32 v2, 0x80000000, v2
	v_lshl_add_u32 v1, v1, 23, v2
	v_lshl_or_b32 v0, v0, 21, v1
	v_add_u32_e32 v1, 0x38000000, v0
                                        ; implicit-def: $vgpr2
                                        ; implicit-def: $vgpr0
.LBB4_541:                              ;   in Loop: Header=BB4_137 Depth=3
	s_andn2_saveexec_b64 s[30:31], s[30:31]
; %bb.542:                              ;   in Loop: Header=BB4_137 Depth=3
	v_mov_b32_e32 v1, -1
	v_cmp_gt_i16_sdwa vcc, sext(v0), v1 src0_sel:BYTE_0 src1_sel:DWORD
	v_mov_b32_e32 v0, 0xff800000
	v_mov_b32_e32 v1, 0x7f800000
	v_cndmask_b32_e32 v0, v0, v1, vcc
	v_cmp_eq_u32_e32 vcc, 0, v2
	v_mov_b32_e32 v1, 0x7f800001
	v_cndmask_b32_e32 v1, v1, v0, vcc
; %bb.543:                              ;   in Loop: Header=BB4_137 Depth=3
	s_or_b64 exec, exec, s[30:31]
.LBB4_544:                              ;   in Loop: Header=BB4_137 Depth=3
	s_or_b64 exec, exec, s[94:95]
.LBB4_545:                              ;   in Loop: Header=BB4_137 Depth=3
	s_or_b64 exec, exec, s[26:27]
	v_mul_f32_e32 v2, v21, v1
	v_and_b32_e32 v8, 0x7f800000, v2
	v_mov_b32_e32 v9, v17
	v_cmp_ne_u64_e32 vcc, s[76:77], v[8:9]
	v_and_b32_e32 v0, 0x7fffff, v2
	v_mov_b32_e32 v1, v17
                                        ; implicit-def: $vgpr3
                                        ; kill: killed $vgpr3
	s_and_saveexec_b64 s[26:27], vcc
	s_xor_b64 s[94:95], exec, s[26:27]
	s_cbranch_execz .LBB4_559
; %bb.546:                              ;   in Loop: Header=BB4_137 Depth=3
	v_and_b32_e32 v8, 0x7fffffff, v2
	v_mov_b32_e32 v9, v17
	v_cmp_gt_u64_e32 vcc, s[78:79], v[8:9]
	v_and_b32_sdwa v3, v2, s96 dst_sel:DWORD dst_unused:UNUSED_PAD src0_sel:BYTE_3 src1_sel:DWORD
                                        ; implicit-def: $vgpr5
                                        ; kill: killed $vgpr5
	s_and_saveexec_b64 s[26:27], vcc
	s_xor_b64 s[30:31], exec, s[26:27]
	s_cbranch_execz .LBB4_556
; %bb.547:                              ;   in Loop: Header=BB4_137 Depth=3
	v_mov_b32_e32 v5, 0
	v_cmp_ne_u32_e32 vcc, 0, v2
	buffer_store_dword v5, off, s[0:3], s33 offset:268 ; 4-byte Folded Spill
	s_and_saveexec_b64 s[34:35], vcc
	s_cbranch_execz .LBB4_555
; %bb.548:                              ;   in Loop: Header=BB4_137 Depth=3
	v_bfe_u32 v5, v2, 23, 8
	v_cmp_gt_u32_e64 s[26:27], s46, v5
	v_sub_u32_e32 v2, 0x71, v5
	v_cmp_eq_u32_e32 vcc, 0, v5
	v_cndmask_b32_e64 v2, 0, v2, s[26:27]
	v_mov_b32_e32 v8, 0x70
	v_cndmask_b32_e32 v8, v2, v8, vcc
	v_add_u32_e32 v2, 21, v8
	v_or_b32_e32 v9, 0x800000, v0
	v_lshlrev_b64 v[12:13], v2, -1
	v_cndmask_b32_e32 v0, v9, v0, vcc
	v_add_u32_e32 v2, 20, v8
	v_bfi_b32 v12, v12, 0, v0
	v_lshlrev_b64 v[14:15], v2, 1
	v_lshrrev_b64 v[0:1], v8, v[0:1]
	v_bfi_b32 v13, v13, 0, 0
	v_cmp_eq_u64_e64 s[26:27], v[12:13], v[14:15]
	v_mov_b32_e32 v2, v1
	v_mov_b32_e32 v1, v0
	s_and_saveexec_b64 s[36:37], s[26:27]
; %bb.549:                              ;   in Loop: Header=BB4_137 Depth=3
	v_bfe_u32 v1, v0, 21, 1
	v_add_co_u32_e64 v1, s[26:27], v0, v1
	v_add_co_u32_e64 v1, s[26:27], -1, v1
; %bb.550:                              ;   in Loop: Header=BB4_137 Depth=3
	s_or_b64 exec, exec, s[36:37]
	v_add_u32_e32 v2, 0xffffff81, v5
	v_mov_b32_e32 v5, 0xffffff82
	v_cndmask_b32_e32 v2, v2, v5, vcc
	v_lshrrev_b32_e32 v5, 23, v0
	v_add3_u32 v8, v8, v2, v5
	v_add_u32_e32 v5, 14, v8
	v_and_b32_e32 v1, 0x1fffff, v1
	v_add_u32_e32 v0, v1, v0
	v_mov_b32_e32 v1, v17
	v_cmp_ne_u32_e32 vcc, 0, v5
                                        ; implicit-def: $vgpr2
	s_and_saveexec_b64 s[26:27], vcc
	s_xor_b64 s[26:27], exec, s[26:27]
; %bb.551:                              ;   in Loop: Header=BB4_137 Depth=3
	v_cmp_lt_u64_e32 vcc, s[88:89], v[0:1]
	v_add_u32_e32 v2, 15, v8
	v_cndmask_b32_e32 v2, v5, v2, vcc
	v_cndmask_b32_e64 v5, 0, 1, vcc
	v_lshrrev_b64 v[0:1], v5, v[0:1]
; %bb.552:                              ;   in Loop: Header=BB4_137 Depth=3
	s_andn2_saveexec_b64 s[26:27], s[26:27]
; %bb.553:                              ;   in Loop: Header=BB4_137 Depth=3
	v_bfe_u32 v2, v0, 23, 1
; %bb.554:                              ;   in Loop: Header=BB4_137 Depth=3
	s_or_b64 exec, exec, s[26:27]
	v_lshrrev_b64 v[0:1], 21, v[0:1]
	v_cmp_gt_i32_e32 vcc, 32, v2
	v_cndmask_b32_e32 v1, 0, v1, vcc
	v_cndmask_b32_e32 v0, 3, v0, vcc
	v_cmp_eq_u64_e64 s[26:27], 0, v[0:1]
	v_min_i32_e32 v1, 31, v2
	v_lshlrev_b32_e32 v1, 2, v1
	v_cmp_eq_u32_e32 vcc, 0, v2
	v_and_b32_e32 v1, 0xfc, v1
	v_and_or_b32 v0, v0, 3, v1
	s_and_b64 s[26:27], vcc, s[26:27]
	v_cndmask_b32_e64 v0, v0, 0, s[26:27]
	v_or_b32_e32 v0, v0, v3
	buffer_store_dword v0, off, s[0:3], s33 offset:268 ; 4-byte Folded Spill
.LBB4_555:                              ;   in Loop: Header=BB4_137 Depth=3
	s_or_b64 exec, exec, s[34:35]
                                        ; implicit-def: $vgpr3
.LBB4_556:                              ;   in Loop: Header=BB4_137 Depth=3
	s_andn2_saveexec_b64 s[26:27], s[30:31]
	s_cbranch_execz .LBB4_558
; %bb.557:                              ;   in Loop: Header=BB4_137 Depth=3
	v_or_b32_e32 v0, 0x7b, v3
	buffer_store_dword v0, off, s[0:3], s33 offset:268 ; 4-byte Folded Spill
.LBB4_558:                              ;   in Loop: Header=BB4_137 Depth=3
	s_or_b64 exec, exec, s[26:27]
                                        ; implicit-def: $vgpr2
                                        ; implicit-def: $vgpr0_vgpr1
.LBB4_559:                              ;   in Loop: Header=BB4_137 Depth=3
	s_andn2_saveexec_b64 s[26:27], s[94:95]
	s_cbranch_execz .LBB4_565
; %bb.560:                              ;   in Loop: Header=BB4_137 Depth=3
	v_cmp_ne_u64_e32 vcc, 0, v[0:1]
                                        ; implicit-def: $vgpr0
                                        ; kill: killed $vgpr0
	s_and_saveexec_b64 s[94:95], vcc
	s_xor_b64 s[94:95], exec, s[94:95]
	s_cbranch_execz .LBB4_562
; %bb.561:                              ;   in Loop: Header=BB4_137 Depth=3
	v_or_b32_sdwa v0, v2, s47 dst_sel:DWORD dst_unused:UNUSED_PAD src0_sel:BYTE_3 src1_sel:DWORD
	buffer_store_dword v0, off, s[0:3], s33 offset:268 ; 4-byte Folded Spill
                                        ; implicit-def: $vgpr2
.LBB4_562:                              ;   in Loop: Header=BB4_137 Depth=3
	s_andn2_saveexec_b64 s[94:95], s[94:95]
	s_cbranch_execz .LBB4_564
; %bb.563:                              ;   in Loop: Header=BB4_137 Depth=3
	v_cmp_lt_i32_e32 vcc, -1, v2
	v_bfrev_b32_e32 v0, 0.5
	v_cndmask_b32_e32 v0, v0, v52, vcc
	buffer_store_dword v0, off, s[0:3], s33 offset:268 ; 4-byte Folded Spill
.LBB4_564:                              ;   in Loop: Header=BB4_137 Depth=3
	s_or_b64 exec, exec, s[94:95]
.LBB4_565:                              ;   in Loop: Header=BB4_137 Depth=3
	s_or_b64 exec, exec, s[26:27]
	v_cmp_lt_u64_e32 vcc, s[56:57], v[10:11]
	v_mov_b32_e32 v1, 0
	s_and_saveexec_b64 s[26:27], vcc
	s_cbranch_execz .LBB4_573
; %bb.566:                              ;   in Loop: Header=BB4_137 Depth=3
	v_lshrrev_b32_e32 v0, 24, v11
	v_cmp_ne_u32_e32 vcc, s96, v0
	v_bfrev_b32_e32 v1, 1
	s_and_saveexec_b64 s[94:95], vcc
	s_cbranch_execz .LBB4_572
; %bb.567:                              ;   in Loop: Header=BB4_137 Depth=3
	v_and_b32_e32 v1, 0x7c000000, v11
	v_bfe_u32 v2, v11, 24, 2
	v_cmp_ne_u32_e32 vcc, s45, v1
                                        ; implicit-def: $vgpr1
	s_and_saveexec_b64 s[30:31], vcc
	s_xor_b64 s[30:31], exec, s[30:31]
	s_cbranch_execz .LBB4_569
; %bb.568:                              ;   in Loop: Header=BB4_137 Depth=3
	v_ffbh_u32_e32 v1, v2
	v_min_u32_e32 v5, 32, v1
	v_subrev_u32_e32 v1, 29, v5
	v_lshlrev_b64 v[0:1], v1, v[0:1]
	v_bfe_u32 v3, v11, 26, 5
	v_sub_u32_e32 v1, 30, v5
	v_and_b32_e32 v0, 3, v0
	v_cmp_eq_u32_e32 vcc, 0, v3
	v_cndmask_b32_e32 v1, v3, v1, vcc
	v_cndmask_b32_e32 v0, v2, v0, vcc
	v_and_b32_e32 v2, 0x80000000, v11
	v_lshl_add_u32 v1, v1, 23, v2
	v_lshl_or_b32 v0, v0, 21, v1
	v_add_u32_e32 v1, 0x38000000, v0
                                        ; implicit-def: $vgpr2
                                        ; implicit-def: $vgpr10_vgpr11
.LBB4_569:                              ;   in Loop: Header=BB4_137 Depth=3
	s_andn2_saveexec_b64 s[30:31], s[30:31]
; %bb.570:                              ;   in Loop: Header=BB4_137 Depth=3
	v_cmp_lt_i64_e32 vcc, -1, v[10:11]
	v_mov_b32_e32 v0, 0xff800000
	v_mov_b32_e32 v1, 0x7f800000
	v_cndmask_b32_e32 v0, v0, v1, vcc
	v_cmp_eq_u32_e32 vcc, 0, v2
	v_mov_b32_e32 v1, 0x7f800001
	v_cndmask_b32_e32 v1, v1, v0, vcc
; %bb.571:                              ;   in Loop: Header=BB4_137 Depth=3
	s_or_b64 exec, exec, s[30:31]
.LBB4_572:                              ;   in Loop: Header=BB4_137 Depth=3
	s_or_b64 exec, exec, s[94:95]
.LBB4_573:                              ;   in Loop: Header=BB4_137 Depth=3
	s_or_b64 exec, exec, s[26:27]
	v_mul_f32_e32 v2, v21, v1
	v_and_b32_e32 v8, 0x7f800000, v2
	v_mov_b32_e32 v9, v17
	v_cmp_ne_u64_e32 vcc, s[76:77], v[8:9]
	v_and_b32_e32 v0, 0x7fffff, v2
	v_mov_b32_e32 v1, v17
                                        ; implicit-def: $vgpr3
                                        ; kill: killed $vgpr3
	s_and_saveexec_b64 s[26:27], vcc
	s_xor_b64 s[94:95], exec, s[26:27]
	s_cbranch_execz .LBB4_587
; %bb.574:                              ;   in Loop: Header=BB4_137 Depth=3
	v_and_b32_e32 v8, 0x7fffffff, v2
	v_mov_b32_e32 v9, v17
	v_cmp_gt_u64_e32 vcc, s[78:79], v[8:9]
	v_and_b32_sdwa v3, v2, s96 dst_sel:DWORD dst_unused:UNUSED_PAD src0_sel:BYTE_3 src1_sel:DWORD
                                        ; implicit-def: $vgpr5
                                        ; kill: killed $vgpr5
	s_and_saveexec_b64 s[26:27], vcc
	s_xor_b64 s[30:31], exec, s[26:27]
	s_cbranch_execz .LBB4_584
; %bb.575:                              ;   in Loop: Header=BB4_137 Depth=3
	v_mov_b32_e32 v5, 0
	v_cmp_ne_u32_e32 vcc, 0, v2
	buffer_store_dword v5, off, s[0:3], s33 offset:272 ; 4-byte Folded Spill
	s_and_saveexec_b64 s[34:35], vcc
	s_cbranch_execz .LBB4_583
; %bb.576:                              ;   in Loop: Header=BB4_137 Depth=3
	v_bfe_u32 v5, v2, 23, 8
	v_cmp_gt_u32_e64 s[26:27], s46, v5
	v_sub_u32_e32 v2, 0x71, v5
	v_cmp_eq_u32_e32 vcc, 0, v5
	v_cndmask_b32_e64 v2, 0, v2, s[26:27]
	v_mov_b32_e32 v8, 0x70
	v_cndmask_b32_e32 v8, v2, v8, vcc
	v_or_b32_e32 v9, 0x800000, v0
	v_add_u32_e32 v2, 21, v8
	v_cndmask_b32_e32 v0, v9, v0, vcc
	v_lshlrev_b64 v[9:10], v2, -1
	v_add_u32_e32 v2, 20, v8
	v_bfi_b32 v9, v9, 0, v0
	v_lshlrev_b64 v[11:12], v2, 1
	v_lshrrev_b64 v[0:1], v8, v[0:1]
	v_bfi_b32 v10, v10, 0, 0
	v_cmp_eq_u64_e64 s[26:27], v[9:10], v[11:12]
	v_mov_b32_e32 v2, v1
	v_mov_b32_e32 v1, v0
	s_and_saveexec_b64 s[36:37], s[26:27]
; %bb.577:                              ;   in Loop: Header=BB4_137 Depth=3
	v_bfe_u32 v1, v0, 21, 1
	v_add_co_u32_e64 v1, s[26:27], v0, v1
	v_add_co_u32_e64 v1, s[26:27], -1, v1
; %bb.578:                              ;   in Loop: Header=BB4_137 Depth=3
	s_or_b64 exec, exec, s[36:37]
	v_add_u32_e32 v2, 0xffffff81, v5
	v_mov_b32_e32 v5, 0xffffff82
	v_cndmask_b32_e32 v2, v2, v5, vcc
	v_lshrrev_b32_e32 v5, 23, v0
	v_add3_u32 v8, v8, v2, v5
	v_add_u32_e32 v5, 14, v8
	v_and_b32_e32 v1, 0x1fffff, v1
	v_add_u32_e32 v0, v1, v0
	v_mov_b32_e32 v1, v17
	v_cmp_ne_u32_e32 vcc, 0, v5
                                        ; implicit-def: $vgpr2
	s_and_saveexec_b64 s[26:27], vcc
	s_xor_b64 s[26:27], exec, s[26:27]
; %bb.579:                              ;   in Loop: Header=BB4_137 Depth=3
	v_cmp_lt_u64_e32 vcc, s[88:89], v[0:1]
	v_add_u32_e32 v2, 15, v8
	v_cndmask_b32_e32 v2, v5, v2, vcc
	v_cndmask_b32_e64 v5, 0, 1, vcc
	v_lshrrev_b64 v[0:1], v5, v[0:1]
; %bb.580:                              ;   in Loop: Header=BB4_137 Depth=3
	s_andn2_saveexec_b64 s[26:27], s[26:27]
; %bb.581:                              ;   in Loop: Header=BB4_137 Depth=3
	v_bfe_u32 v2, v0, 23, 1
; %bb.582:                              ;   in Loop: Header=BB4_137 Depth=3
	s_or_b64 exec, exec, s[26:27]
	v_lshrrev_b64 v[0:1], 21, v[0:1]
	v_cmp_gt_i32_e32 vcc, 32, v2
	v_cndmask_b32_e32 v1, 0, v1, vcc
	v_cndmask_b32_e32 v0, 3, v0, vcc
	v_cmp_eq_u64_e64 s[26:27], 0, v[0:1]
	v_min_i32_e32 v1, 31, v2
	v_lshlrev_b32_e32 v1, 2, v1
	v_cmp_eq_u32_e32 vcc, 0, v2
	v_and_b32_e32 v1, 0xfc, v1
	v_and_or_b32 v0, v0, 3, v1
	s_and_b64 s[26:27], vcc, s[26:27]
	v_cndmask_b32_e64 v0, v0, 0, s[26:27]
	v_or_b32_e32 v0, v0, v3
	buffer_store_dword v0, off, s[0:3], s33 offset:272 ; 4-byte Folded Spill
.LBB4_583:                              ;   in Loop: Header=BB4_137 Depth=3
	s_or_b64 exec, exec, s[34:35]
                                        ; implicit-def: $vgpr3
.LBB4_584:                              ;   in Loop: Header=BB4_137 Depth=3
	s_andn2_saveexec_b64 s[26:27], s[30:31]
	s_cbranch_execz .LBB4_586
; %bb.585:                              ;   in Loop: Header=BB4_137 Depth=3
	v_or_b32_e32 v0, 0x7b, v3
	buffer_store_dword v0, off, s[0:3], s33 offset:272 ; 4-byte Folded Spill
.LBB4_586:                              ;   in Loop: Header=BB4_137 Depth=3
	s_or_b64 exec, exec, s[26:27]
                                        ; implicit-def: $vgpr2
                                        ; implicit-def: $vgpr0_vgpr1
.LBB4_587:                              ;   in Loop: Header=BB4_137 Depth=3
	s_andn2_saveexec_b64 s[26:27], s[94:95]
	s_cbranch_execz .LBB4_593
; %bb.588:                              ;   in Loop: Header=BB4_137 Depth=3
	v_cmp_ne_u64_e32 vcc, 0, v[0:1]
                                        ; implicit-def: $vgpr0
                                        ; kill: killed $vgpr0
	s_and_saveexec_b64 s[94:95], vcc
	s_xor_b64 s[94:95], exec, s[94:95]
	s_cbranch_execz .LBB4_590
; %bb.589:                              ;   in Loop: Header=BB4_137 Depth=3
	v_or_b32_sdwa v0, v2, s47 dst_sel:DWORD dst_unused:UNUSED_PAD src0_sel:BYTE_3 src1_sel:DWORD
	buffer_store_dword v0, off, s[0:3], s33 offset:272 ; 4-byte Folded Spill
                                        ; implicit-def: $vgpr2
.LBB4_590:                              ;   in Loop: Header=BB4_137 Depth=3
	s_andn2_saveexec_b64 s[94:95], s[94:95]
	s_cbranch_execz .LBB4_592
; %bb.591:                              ;   in Loop: Header=BB4_137 Depth=3
	v_cmp_lt_i32_e32 vcc, -1, v2
	v_bfrev_b32_e32 v0, 0.5
	v_cndmask_b32_e32 v0, v0, v52, vcc
	buffer_store_dword v0, off, s[0:3], s33 offset:272 ; 4-byte Folded Spill
.LBB4_592:                              ;   in Loop: Header=BB4_137 Depth=3
	s_or_b64 exec, exec, s[94:95]
.LBB4_593:                              ;   in Loop: Header=BB4_137 Depth=3
	s_or_b64 exec, exec, s[26:27]
	global_load_dwordx4 v[8:11], v[44:45], off offset:1024 glc slc
	v_mov_b32_e32 v0, 0
	s_waitcnt vmcnt(0)
	v_cmp_ne_u16_sdwa s[94:95], v8, v17 src0_sel:BYTE_0 src1_sel:DWORD
	s_and_saveexec_b64 s[26:27], s[94:95]
	s_cbranch_execz .LBB4_601
; %bb.594:                              ;   in Loop: Header=BB4_137 Depth=3
	v_cmp_ne_u16_sdwa vcc, sext(v8), s97 src0_sel:BYTE_0 src1_sel:DWORD
	v_bfrev_b32_e32 v0, 1
	s_and_saveexec_b64 s[94:95], vcc
	s_cbranch_execz .LBB4_600
; %bb.595:                              ;   in Loop: Header=BB4_137 Depth=3
	v_and_b32_e32 v0, 0x7c, v8
	v_and_b32_e32 v1, 3, v8
	v_cmp_ne_u32_e32 vcc, s85, v0
                                        ; implicit-def: $vgpr0
	s_and_saveexec_b64 s[30:31], vcc
	s_xor_b64 s[30:31], exec, s[30:31]
	s_cbranch_execz .LBB4_597
; %bb.596:                              ;   in Loop: Header=BB4_137 Depth=3
	v_ffbh_u32_e32 v2, v1
	v_min_u32_e32 v5, 32, v2
	v_subrev_u32_e32 v2, 29, v5
	v_lshlrev_b64 v[2:3], v2, v[8:9]
	v_bfe_u32 v0, v8, 2, 5
	v_and_b32_e32 v2, 3, v2
	v_cmp_eq_u32_e32 vcc, 0, v0
	v_sub_u32_e32 v3, 30, v5
	v_cndmask_b32_e32 v1, v1, v2, vcc
	v_lshlrev_b32_e32 v2, 24, v8
	v_cndmask_b32_e32 v0, v0, v3, vcc
	v_and_b32_e32 v2, 0x80000000, v2
	v_lshl_add_u32 v0, v0, 23, v2
	v_lshl_or_b32 v0, v1, 21, v0
	v_add_u32_e32 v0, 0x38000000, v0
                                        ; implicit-def: $vgpr1
.LBB4_597:                              ;   in Loop: Header=BB4_137 Depth=3
	s_andn2_saveexec_b64 s[30:31], s[30:31]
; %bb.598:                              ;   in Loop: Header=BB4_137 Depth=3
	v_mov_b32_e32 v0, -1
	v_cmp_gt_i16_sdwa vcc, sext(v8), v0 src0_sel:BYTE_0 src1_sel:DWORD
	v_mov_b32_e32 v0, 0xff800000
	v_mov_b32_e32 v2, 0x7f800000
	v_cndmask_b32_e32 v0, v0, v2, vcc
	v_cmp_eq_u32_e32 vcc, 0, v1
	v_mov_b32_e32 v1, 0x7f800001
	v_cndmask_b32_e32 v0, v1, v0, vcc
; %bb.599:                              ;   in Loop: Header=BB4_137 Depth=3
	s_or_b64 exec, exec, s[30:31]
.LBB4_600:                              ;   in Loop: Header=BB4_137 Depth=3
	s_or_b64 exec, exec, s[94:95]
.LBB4_601:                              ;   in Loop: Header=BB4_137 Depth=3
	s_or_b64 exec, exec, s[26:27]
	v_mul_f32_e32 v2, v21, v0
	v_and_b32_e32 v12, 0x7f800000, v2
	v_mov_b32_e32 v13, v17
	v_cmp_ne_u64_e32 vcc, s[76:77], v[12:13]
	v_and_b32_e32 v0, 0x7fffff, v2
	v_mov_b32_e32 v1, v17
                                        ; implicit-def: $vgpr3
                                        ; kill: killed $vgpr3
	s_and_saveexec_b64 s[26:27], vcc
	s_xor_b64 s[94:95], exec, s[26:27]
	s_cbranch_execz .LBB4_615
; %bb.602:                              ;   in Loop: Header=BB4_137 Depth=3
	v_and_b32_e32 v12, 0x7fffffff, v2
	v_mov_b32_e32 v13, v17
	v_cmp_gt_u64_e32 vcc, s[78:79], v[12:13]
	v_and_b32_sdwa v3, v2, s96 dst_sel:DWORD dst_unused:UNUSED_PAD src0_sel:BYTE_3 src1_sel:DWORD
                                        ; implicit-def: $vgpr5
                                        ; kill: killed $vgpr5
	s_and_saveexec_b64 s[26:27], vcc
	s_xor_b64 s[30:31], exec, s[26:27]
	s_cbranch_execz .LBB4_612
; %bb.603:                              ;   in Loop: Header=BB4_137 Depth=3
	v_mov_b32_e32 v5, 0
	v_cmp_ne_u32_e32 vcc, 0, v2
	buffer_store_dword v5, off, s[0:3], s33 offset:276 ; 4-byte Folded Spill
	s_and_saveexec_b64 s[34:35], vcc
	s_cbranch_execz .LBB4_611
; %bb.604:                              ;   in Loop: Header=BB4_137 Depth=3
	v_bfe_u32 v5, v2, 23, 8
	v_cmp_gt_u32_e64 s[26:27], s46, v5
	v_sub_u32_e32 v2, 0x71, v5
	v_cmp_eq_u32_e32 vcc, 0, v5
	v_cndmask_b32_e64 v2, 0, v2, s[26:27]
	v_mov_b32_e32 v12, 0x70
	v_cndmask_b32_e32 v12, v2, v12, vcc
	v_or_b32_e32 v13, 0x800000, v0
	v_add_u32_e32 v2, 21, v12
	v_cndmask_b32_e32 v0, v13, v0, vcc
	v_lshlrev_b64 v[13:14], v2, -1
	v_add_u32_e32 v2, 20, v12
	v_bfi_b32 v13, v13, 0, v0
	v_lshlrev_b64 v[15:16], v2, 1
	v_lshrrev_b64 v[0:1], v12, v[0:1]
	v_bfi_b32 v14, v14, 0, 0
	v_cmp_eq_u64_e64 s[26:27], v[13:14], v[15:16]
	v_mov_b32_e32 v2, v1
	v_mov_b32_e32 v1, v0
	s_and_saveexec_b64 s[36:37], s[26:27]
; %bb.605:                              ;   in Loop: Header=BB4_137 Depth=3
	v_bfe_u32 v1, v0, 21, 1
	v_add_co_u32_e64 v1, s[26:27], v0, v1
	v_add_co_u32_e64 v1, s[26:27], -1, v1
; %bb.606:                              ;   in Loop: Header=BB4_137 Depth=3
	s_or_b64 exec, exec, s[36:37]
	v_add_u32_e32 v2, 0xffffff81, v5
	v_mov_b32_e32 v5, 0xffffff82
	v_cndmask_b32_e32 v2, v2, v5, vcc
	v_lshrrev_b32_e32 v5, 23, v0
	v_add3_u32 v12, v12, v2, v5
	v_add_u32_e32 v5, 14, v12
	v_and_b32_e32 v1, 0x1fffff, v1
	v_add_u32_e32 v0, v1, v0
	v_mov_b32_e32 v1, v17
	v_cmp_ne_u32_e32 vcc, 0, v5
                                        ; implicit-def: $vgpr2
	s_and_saveexec_b64 s[26:27], vcc
	s_xor_b64 s[26:27], exec, s[26:27]
; %bb.607:                              ;   in Loop: Header=BB4_137 Depth=3
	v_cmp_lt_u64_e32 vcc, s[88:89], v[0:1]
	v_add_u32_e32 v2, 15, v12
	v_cndmask_b32_e32 v2, v5, v2, vcc
	v_cndmask_b32_e64 v5, 0, 1, vcc
	v_lshrrev_b64 v[0:1], v5, v[0:1]
; %bb.608:                              ;   in Loop: Header=BB4_137 Depth=3
	s_andn2_saveexec_b64 s[26:27], s[26:27]
; %bb.609:                              ;   in Loop: Header=BB4_137 Depth=3
	v_bfe_u32 v2, v0, 23, 1
; %bb.610:                              ;   in Loop: Header=BB4_137 Depth=3
	s_or_b64 exec, exec, s[26:27]
	v_lshrrev_b64 v[0:1], 21, v[0:1]
	v_cmp_gt_i32_e32 vcc, 32, v2
	v_cndmask_b32_e32 v1, 0, v1, vcc
	v_cndmask_b32_e32 v0, 3, v0, vcc
	v_cmp_eq_u64_e64 s[26:27], 0, v[0:1]
	v_min_i32_e32 v1, 31, v2
	v_lshlrev_b32_e32 v1, 2, v1
	v_cmp_eq_u32_e32 vcc, 0, v2
	v_and_b32_e32 v1, 0xfc, v1
	v_and_or_b32 v0, v0, 3, v1
	s_and_b64 s[26:27], vcc, s[26:27]
	v_cndmask_b32_e64 v0, v0, 0, s[26:27]
	v_or_b32_e32 v0, v0, v3
	buffer_store_dword v0, off, s[0:3], s33 offset:276 ; 4-byte Folded Spill
.LBB4_611:                              ;   in Loop: Header=BB4_137 Depth=3
	s_or_b64 exec, exec, s[34:35]
                                        ; implicit-def: $vgpr3
.LBB4_612:                              ;   in Loop: Header=BB4_137 Depth=3
	s_andn2_saveexec_b64 s[26:27], s[30:31]
	s_cbranch_execz .LBB4_614
; %bb.613:                              ;   in Loop: Header=BB4_137 Depth=3
	v_or_b32_e32 v0, 0x7b, v3
	buffer_store_dword v0, off, s[0:3], s33 offset:276 ; 4-byte Folded Spill
.LBB4_614:                              ;   in Loop: Header=BB4_137 Depth=3
	s_or_b64 exec, exec, s[26:27]
                                        ; implicit-def: $vgpr2
                                        ; implicit-def: $vgpr0_vgpr1
.LBB4_615:                              ;   in Loop: Header=BB4_137 Depth=3
	s_andn2_saveexec_b64 s[26:27], s[94:95]
	s_cbranch_execz .LBB4_621
; %bb.616:                              ;   in Loop: Header=BB4_137 Depth=3
	v_cmp_ne_u64_e32 vcc, 0, v[0:1]
                                        ; implicit-def: $vgpr0
                                        ; kill: killed $vgpr0
	s_and_saveexec_b64 s[94:95], vcc
	s_xor_b64 s[94:95], exec, s[94:95]
	s_cbranch_execz .LBB4_618
; %bb.617:                              ;   in Loop: Header=BB4_137 Depth=3
	v_or_b32_sdwa v0, v2, s47 dst_sel:DWORD dst_unused:UNUSED_PAD src0_sel:BYTE_3 src1_sel:DWORD
	buffer_store_dword v0, off, s[0:3], s33 offset:276 ; 4-byte Folded Spill
                                        ; implicit-def: $vgpr2
.LBB4_618:                              ;   in Loop: Header=BB4_137 Depth=3
	s_andn2_saveexec_b64 s[94:95], s[94:95]
	s_cbranch_execz .LBB4_620
; %bb.619:                              ;   in Loop: Header=BB4_137 Depth=3
	v_cmp_lt_i32_e32 vcc, -1, v2
	v_bfrev_b32_e32 v0, 0.5
	v_cndmask_b32_e32 v0, v0, v52, vcc
	buffer_store_dword v0, off, s[0:3], s33 offset:276 ; 4-byte Folded Spill
.LBB4_620:                              ;   in Loop: Header=BB4_137 Depth=3
	s_or_b64 exec, exec, s[94:95]
.LBB4_621:                              ;   in Loop: Header=BB4_137 Depth=3
	s_or_b64 exec, exec, s[26:27]
	v_lshrrev_b16_e32 v0, 8, v8
	v_cmp_ne_u16_e32 vcc, 0, v0
	v_mov_b32_e32 v1, 0
	s_and_saveexec_b64 s[26:27], vcc
	s_cbranch_execz .LBB4_629
; %bb.622:                              ;   in Loop: Header=BB4_137 Depth=3
	v_cmp_ne_u16_e32 vcc, s96, v0
	v_bfrev_b32_e32 v1, 1
	s_and_saveexec_b64 s[94:95], vcc
	s_cbranch_execz .LBB4_628
; %bb.623:                              ;   in Loop: Header=BB4_137 Depth=3
	v_and_b32_e32 v1, 0x7c, v0
	v_and_b32_e32 v2, 3, v0
	v_cmp_ne_u32_e32 vcc, s85, v1
                                        ; implicit-def: $vgpr1
	s_and_saveexec_b64 s[30:31], vcc
	s_xor_b64 s[30:31], exec, s[30:31]
	s_cbranch_execz .LBB4_625
; %bb.624:                              ;   in Loop: Header=BB4_137 Depth=3
	v_ffbh_u32_e32 v5, v2
	v_min_u32_e32 v5, 32, v5
	v_mov_b32_e32 v1, v17
	v_subrev_u32_e32 v12, 29, v5
	v_bfe_u32 v3, v0, 2, 5
	v_lshlrev_b64 v[0:1], v12, v[0:1]
	v_cmp_eq_u32_e32 vcc, 0, v3
	v_and_b32_e32 v0, 3, v0
	v_sub_u32_e32 v1, 30, v5
	v_cndmask_b32_e32 v0, v2, v0, vcc
	v_lshlrev_b32_e32 v2, 16, v8
	v_cndmask_b32_e32 v1, v3, v1, vcc
	v_and_b32_e32 v2, 0x80000000, v2
	v_lshl_add_u32 v1, v1, 23, v2
	v_lshl_or_b32 v0, v0, 21, v1
	v_add_u32_e32 v1, 0x38000000, v0
                                        ; implicit-def: $vgpr2
.LBB4_625:                              ;   in Loop: Header=BB4_137 Depth=3
	s_andn2_saveexec_b64 s[30:31], s[30:31]
; %bb.626:                              ;   in Loop: Header=BB4_137 Depth=3
	v_cmp_lt_i16_e32 vcc, -1, v8
	v_mov_b32_e32 v0, 0xff800000
	v_mov_b32_e32 v1, 0x7f800000
	v_cndmask_b32_e32 v0, v0, v1, vcc
	v_cmp_eq_u32_e32 vcc, 0, v2
	v_mov_b32_e32 v1, 0x7f800001
	v_cndmask_b32_e32 v1, v1, v0, vcc
; %bb.627:                              ;   in Loop: Header=BB4_137 Depth=3
	s_or_b64 exec, exec, s[30:31]
.LBB4_628:                              ;   in Loop: Header=BB4_137 Depth=3
	s_or_b64 exec, exec, s[94:95]
.LBB4_629:                              ;   in Loop: Header=BB4_137 Depth=3
	s_or_b64 exec, exec, s[26:27]
	v_mul_f32_e32 v2, v21, v1
	v_and_b32_e32 v12, 0x7f800000, v2
	v_mov_b32_e32 v13, v17
	v_cmp_ne_u64_e32 vcc, s[76:77], v[12:13]
	v_and_b32_e32 v0, 0x7fffff, v2
	v_mov_b32_e32 v1, v17
                                        ; implicit-def: $vgpr3
                                        ; kill: killed $vgpr3
	s_and_saveexec_b64 s[26:27], vcc
	s_xor_b64 s[94:95], exec, s[26:27]
	s_cbranch_execz .LBB4_643
; %bb.630:                              ;   in Loop: Header=BB4_137 Depth=3
	v_and_b32_e32 v12, 0x7fffffff, v2
	v_mov_b32_e32 v13, v17
	v_cmp_gt_u64_e32 vcc, s[78:79], v[12:13]
	v_and_b32_sdwa v3, v2, s96 dst_sel:DWORD dst_unused:UNUSED_PAD src0_sel:BYTE_3 src1_sel:DWORD
                                        ; implicit-def: $vgpr5
                                        ; kill: killed $vgpr5
	s_and_saveexec_b64 s[26:27], vcc
	s_xor_b64 s[30:31], exec, s[26:27]
	s_cbranch_execz .LBB4_640
; %bb.631:                              ;   in Loop: Header=BB4_137 Depth=3
	v_mov_b32_e32 v5, 0
	v_cmp_ne_u32_e32 vcc, 0, v2
	buffer_store_dword v5, off, s[0:3], s33 offset:280 ; 4-byte Folded Spill
	s_and_saveexec_b64 s[34:35], vcc
	s_cbranch_execz .LBB4_639
; %bb.632:                              ;   in Loop: Header=BB4_137 Depth=3
	v_bfe_u32 v5, v2, 23, 8
	v_cmp_gt_u32_e64 s[26:27], s46, v5
	v_sub_u32_e32 v2, 0x71, v5
	v_cmp_eq_u32_e32 vcc, 0, v5
	v_cndmask_b32_e64 v2, 0, v2, s[26:27]
	v_mov_b32_e32 v12, 0x70
	v_cndmask_b32_e32 v12, v2, v12, vcc
	v_or_b32_e32 v13, 0x800000, v0
	v_add_u32_e32 v2, 21, v12
	v_cndmask_b32_e32 v0, v13, v0, vcc
	v_lshlrev_b64 v[13:14], v2, -1
	v_add_u32_e32 v2, 20, v12
	v_bfi_b32 v13, v13, 0, v0
	v_lshlrev_b64 v[15:16], v2, 1
	v_lshrrev_b64 v[0:1], v12, v[0:1]
	v_bfi_b32 v14, v14, 0, 0
	v_cmp_eq_u64_e64 s[26:27], v[13:14], v[15:16]
	v_mov_b32_e32 v2, v1
	v_mov_b32_e32 v1, v0
	s_and_saveexec_b64 s[36:37], s[26:27]
; %bb.633:                              ;   in Loop: Header=BB4_137 Depth=3
	v_bfe_u32 v1, v0, 21, 1
	v_add_co_u32_e64 v1, s[26:27], v0, v1
	v_add_co_u32_e64 v1, s[26:27], -1, v1
; %bb.634:                              ;   in Loop: Header=BB4_137 Depth=3
	s_or_b64 exec, exec, s[36:37]
	v_add_u32_e32 v2, 0xffffff81, v5
	v_mov_b32_e32 v5, 0xffffff82
	v_cndmask_b32_e32 v2, v2, v5, vcc
	v_lshrrev_b32_e32 v5, 23, v0
	v_add3_u32 v12, v12, v2, v5
	v_add_u32_e32 v5, 14, v12
	v_and_b32_e32 v1, 0x1fffff, v1
	v_add_u32_e32 v0, v1, v0
	v_mov_b32_e32 v1, v17
	v_cmp_ne_u32_e32 vcc, 0, v5
                                        ; implicit-def: $vgpr2
	s_and_saveexec_b64 s[26:27], vcc
	s_xor_b64 s[26:27], exec, s[26:27]
; %bb.635:                              ;   in Loop: Header=BB4_137 Depth=3
	v_cmp_lt_u64_e32 vcc, s[88:89], v[0:1]
	v_add_u32_e32 v2, 15, v12
	v_cndmask_b32_e32 v2, v5, v2, vcc
	v_cndmask_b32_e64 v5, 0, 1, vcc
	v_lshrrev_b64 v[0:1], v5, v[0:1]
; %bb.636:                              ;   in Loop: Header=BB4_137 Depth=3
	s_andn2_saveexec_b64 s[26:27], s[26:27]
; %bb.637:                              ;   in Loop: Header=BB4_137 Depth=3
	v_bfe_u32 v2, v0, 23, 1
; %bb.638:                              ;   in Loop: Header=BB4_137 Depth=3
	s_or_b64 exec, exec, s[26:27]
	v_lshrrev_b64 v[0:1], 21, v[0:1]
	v_cmp_gt_i32_e32 vcc, 32, v2
	v_cndmask_b32_e32 v1, 0, v1, vcc
	v_cndmask_b32_e32 v0, 3, v0, vcc
	v_cmp_eq_u64_e64 s[26:27], 0, v[0:1]
	v_min_i32_e32 v1, 31, v2
	v_lshlrev_b32_e32 v1, 2, v1
	v_cmp_eq_u32_e32 vcc, 0, v2
	v_and_b32_e32 v1, 0xfc, v1
	v_and_or_b32 v0, v0, 3, v1
	s_and_b64 s[26:27], vcc, s[26:27]
	v_cndmask_b32_e64 v0, v0, 0, s[26:27]
	v_or_b32_e32 v0, v0, v3
	buffer_store_dword v0, off, s[0:3], s33 offset:280 ; 4-byte Folded Spill
.LBB4_639:                              ;   in Loop: Header=BB4_137 Depth=3
	s_or_b64 exec, exec, s[34:35]
                                        ; implicit-def: $vgpr3
.LBB4_640:                              ;   in Loop: Header=BB4_137 Depth=3
	s_andn2_saveexec_b64 s[26:27], s[30:31]
	s_cbranch_execz .LBB4_642
; %bb.641:                              ;   in Loop: Header=BB4_137 Depth=3
	v_or_b32_e32 v0, 0x7b, v3
	buffer_store_dword v0, off, s[0:3], s33 offset:280 ; 4-byte Folded Spill
.LBB4_642:                              ;   in Loop: Header=BB4_137 Depth=3
	s_or_b64 exec, exec, s[26:27]
                                        ; implicit-def: $vgpr2
                                        ; implicit-def: $vgpr0_vgpr1
.LBB4_643:                              ;   in Loop: Header=BB4_137 Depth=3
	s_andn2_saveexec_b64 s[26:27], s[94:95]
	s_cbranch_execz .LBB4_649
; %bb.644:                              ;   in Loop: Header=BB4_137 Depth=3
	v_cmp_ne_u64_e32 vcc, 0, v[0:1]
                                        ; implicit-def: $vgpr0
                                        ; kill: killed $vgpr0
	s_and_saveexec_b64 s[94:95], vcc
	s_xor_b64 s[94:95], exec, s[94:95]
	s_cbranch_execz .LBB4_646
; %bb.645:                              ;   in Loop: Header=BB4_137 Depth=3
	v_or_b32_sdwa v0, v2, s47 dst_sel:DWORD dst_unused:UNUSED_PAD src0_sel:BYTE_3 src1_sel:DWORD
	buffer_store_dword v0, off, s[0:3], s33 offset:280 ; 4-byte Folded Spill
                                        ; implicit-def: $vgpr2
.LBB4_646:                              ;   in Loop: Header=BB4_137 Depth=3
	s_andn2_saveexec_b64 s[94:95], s[94:95]
	s_cbranch_execz .LBB4_648
; %bb.647:                              ;   in Loop: Header=BB4_137 Depth=3
	v_cmp_lt_i32_e32 vcc, -1, v2
	v_bfrev_b32_e32 v0, 0.5
	v_cndmask_b32_e32 v0, v0, v52, vcc
	buffer_store_dword v0, off, s[0:3], s33 offset:280 ; 4-byte Folded Spill
.LBB4_648:                              ;   in Loop: Header=BB4_137 Depth=3
	s_or_b64 exec, exec, s[94:95]
.LBB4_649:                              ;   in Loop: Header=BB4_137 Depth=3
	s_or_b64 exec, exec, s[26:27]
	v_lshrrev_b32_e32 v0, 16, v8
	v_cmp_ne_u16_sdwa s[94:95], v0, v17 src0_sel:BYTE_0 src1_sel:DWORD
	v_mov_b32_e32 v1, 0
	s_and_saveexec_b64 s[26:27], s[94:95]
	s_cbranch_execz .LBB4_657
; %bb.650:                              ;   in Loop: Header=BB4_137 Depth=3
	v_cmp_ne_u16_sdwa vcc, v0, s96 src0_sel:BYTE_0 src1_sel:DWORD
	v_bfrev_b32_e32 v1, 1
	s_and_saveexec_b64 s[94:95], vcc
	s_cbranch_execz .LBB4_656
; %bb.651:                              ;   in Loop: Header=BB4_137 Depth=3
	v_and_b32_e32 v1, 0x7c0000, v8
	v_bfe_u32 v2, v8, 16, 2
	v_cmp_ne_u32_e32 vcc, s44, v1
                                        ; implicit-def: $vgpr1
	s_and_saveexec_b64 s[30:31], vcc
	s_xor_b64 s[30:31], exec, s[30:31]
	s_cbranch_execz .LBB4_653
; %bb.652:                              ;   in Loop: Header=BB4_137 Depth=3
	v_ffbh_u32_e32 v1, v2
	v_min_u32_e32 v5, 32, v1
	v_subrev_u32_e32 v1, 29, v5
	v_lshlrev_b64 v[0:1], v1, v[0:1]
	v_bfe_u32 v3, v8, 18, 5
	v_and_b32_e32 v0, 3, v0
	v_cmp_eq_u32_e32 vcc, 0, v3
	v_sub_u32_e32 v1, 30, v5
	v_cndmask_b32_e32 v0, v2, v0, vcc
	v_lshlrev_b32_e32 v2, 8, v8
	v_cndmask_b32_e32 v1, v3, v1, vcc
	v_and_b32_e32 v2, 0x80000000, v2
	v_lshl_add_u32 v1, v1, 23, v2
	v_lshl_or_b32 v0, v0, 21, v1
	v_add_u32_e32 v1, 0x38000000, v0
                                        ; implicit-def: $vgpr2
                                        ; implicit-def: $vgpr0
.LBB4_653:                              ;   in Loop: Header=BB4_137 Depth=3
	s_andn2_saveexec_b64 s[30:31], s[30:31]
; %bb.654:                              ;   in Loop: Header=BB4_137 Depth=3
	v_mov_b32_e32 v1, -1
	v_cmp_gt_i16_sdwa vcc, sext(v0), v1 src0_sel:BYTE_0 src1_sel:DWORD
	v_mov_b32_e32 v0, 0xff800000
	v_mov_b32_e32 v1, 0x7f800000
	v_cndmask_b32_e32 v0, v0, v1, vcc
	v_cmp_eq_u32_e32 vcc, 0, v2
	v_mov_b32_e32 v1, 0x7f800001
	v_cndmask_b32_e32 v1, v1, v0, vcc
; %bb.655:                              ;   in Loop: Header=BB4_137 Depth=3
	s_or_b64 exec, exec, s[30:31]
.LBB4_656:                              ;   in Loop: Header=BB4_137 Depth=3
	s_or_b64 exec, exec, s[94:95]
.LBB4_657:                              ;   in Loop: Header=BB4_137 Depth=3
	s_or_b64 exec, exec, s[26:27]
	v_mul_f32_e32 v2, v21, v1
	v_and_b32_e32 v12, 0x7f800000, v2
	v_mov_b32_e32 v13, v17
	v_cmp_ne_u64_e32 vcc, s[76:77], v[12:13]
	v_and_b32_e32 v0, 0x7fffff, v2
	v_mov_b32_e32 v1, v17
                                        ; implicit-def: $vgpr3
                                        ; kill: killed $vgpr3
	s_and_saveexec_b64 s[26:27], vcc
	s_xor_b64 s[94:95], exec, s[26:27]
	s_cbranch_execz .LBB4_671
; %bb.658:                              ;   in Loop: Header=BB4_137 Depth=3
	v_and_b32_e32 v12, 0x7fffffff, v2
	v_mov_b32_e32 v13, v17
	v_cmp_gt_u64_e32 vcc, s[78:79], v[12:13]
	v_and_b32_sdwa v3, v2, s96 dst_sel:DWORD dst_unused:UNUSED_PAD src0_sel:BYTE_3 src1_sel:DWORD
                                        ; implicit-def: $vgpr5
                                        ; kill: killed $vgpr5
	s_and_saveexec_b64 s[26:27], vcc
	s_xor_b64 s[30:31], exec, s[26:27]
	s_cbranch_execz .LBB4_668
; %bb.659:                              ;   in Loop: Header=BB4_137 Depth=3
	v_mov_b32_e32 v5, 0
	v_cmp_ne_u32_e32 vcc, 0, v2
	buffer_store_dword v5, off, s[0:3], s33 offset:284 ; 4-byte Folded Spill
	s_and_saveexec_b64 s[34:35], vcc
	s_cbranch_execz .LBB4_667
; %bb.660:                              ;   in Loop: Header=BB4_137 Depth=3
	v_bfe_u32 v5, v2, 23, 8
	v_cmp_gt_u32_e64 s[26:27], s46, v5
	v_sub_u32_e32 v2, 0x71, v5
	v_cmp_eq_u32_e32 vcc, 0, v5
	v_cndmask_b32_e64 v2, 0, v2, s[26:27]
	v_mov_b32_e32 v12, 0x70
	v_cndmask_b32_e32 v12, v2, v12, vcc
	v_or_b32_e32 v13, 0x800000, v0
	v_add_u32_e32 v2, 21, v12
	v_cndmask_b32_e32 v0, v13, v0, vcc
	v_lshlrev_b64 v[13:14], v2, -1
	v_add_u32_e32 v2, 20, v12
	v_bfi_b32 v13, v13, 0, v0
	v_lshlrev_b64 v[15:16], v2, 1
	v_lshrrev_b64 v[0:1], v12, v[0:1]
	v_bfi_b32 v14, v14, 0, 0
	v_cmp_eq_u64_e64 s[26:27], v[13:14], v[15:16]
	v_mov_b32_e32 v2, v1
	v_mov_b32_e32 v1, v0
	s_and_saveexec_b64 s[36:37], s[26:27]
; %bb.661:                              ;   in Loop: Header=BB4_137 Depth=3
	v_bfe_u32 v1, v0, 21, 1
	v_add_co_u32_e64 v1, s[26:27], v0, v1
	v_add_co_u32_e64 v1, s[26:27], -1, v1
; %bb.662:                              ;   in Loop: Header=BB4_137 Depth=3
	s_or_b64 exec, exec, s[36:37]
	v_add_u32_e32 v2, 0xffffff81, v5
	v_mov_b32_e32 v5, 0xffffff82
	v_cndmask_b32_e32 v2, v2, v5, vcc
	v_lshrrev_b32_e32 v5, 23, v0
	v_add3_u32 v12, v12, v2, v5
	v_add_u32_e32 v5, 14, v12
	v_and_b32_e32 v1, 0x1fffff, v1
	v_add_u32_e32 v0, v1, v0
	v_mov_b32_e32 v1, v17
	v_cmp_ne_u32_e32 vcc, 0, v5
                                        ; implicit-def: $vgpr2
	s_and_saveexec_b64 s[26:27], vcc
	s_xor_b64 s[26:27], exec, s[26:27]
; %bb.663:                              ;   in Loop: Header=BB4_137 Depth=3
	v_cmp_lt_u64_e32 vcc, s[88:89], v[0:1]
	v_add_u32_e32 v2, 15, v12
	v_cndmask_b32_e32 v2, v5, v2, vcc
	v_cndmask_b32_e64 v5, 0, 1, vcc
	v_lshrrev_b64 v[0:1], v5, v[0:1]
; %bb.664:                              ;   in Loop: Header=BB4_137 Depth=3
	s_andn2_saveexec_b64 s[26:27], s[26:27]
; %bb.665:                              ;   in Loop: Header=BB4_137 Depth=3
	v_bfe_u32 v2, v0, 23, 1
; %bb.666:                              ;   in Loop: Header=BB4_137 Depth=3
	s_or_b64 exec, exec, s[26:27]
	v_lshrrev_b64 v[0:1], 21, v[0:1]
	v_cmp_gt_i32_e32 vcc, 32, v2
	v_cndmask_b32_e32 v1, 0, v1, vcc
	v_cndmask_b32_e32 v0, 3, v0, vcc
	v_cmp_eq_u64_e64 s[26:27], 0, v[0:1]
	v_min_i32_e32 v1, 31, v2
	v_lshlrev_b32_e32 v1, 2, v1
	v_cmp_eq_u32_e32 vcc, 0, v2
	v_and_b32_e32 v1, 0xfc, v1
	v_and_or_b32 v0, v0, 3, v1
	s_and_b64 s[26:27], vcc, s[26:27]
	v_cndmask_b32_e64 v0, v0, 0, s[26:27]
	v_or_b32_e32 v0, v0, v3
	buffer_store_dword v0, off, s[0:3], s33 offset:284 ; 4-byte Folded Spill
.LBB4_667:                              ;   in Loop: Header=BB4_137 Depth=3
	s_or_b64 exec, exec, s[34:35]
                                        ; implicit-def: $vgpr3
.LBB4_668:                              ;   in Loop: Header=BB4_137 Depth=3
	s_andn2_saveexec_b64 s[26:27], s[30:31]
	s_cbranch_execz .LBB4_670
; %bb.669:                              ;   in Loop: Header=BB4_137 Depth=3
	v_or_b32_e32 v0, 0x7b, v3
	buffer_store_dword v0, off, s[0:3], s33 offset:284 ; 4-byte Folded Spill
.LBB4_670:                              ;   in Loop: Header=BB4_137 Depth=3
	s_or_b64 exec, exec, s[26:27]
                                        ; implicit-def: $vgpr2
                                        ; implicit-def: $vgpr0_vgpr1
.LBB4_671:                              ;   in Loop: Header=BB4_137 Depth=3
	s_andn2_saveexec_b64 s[26:27], s[94:95]
	s_cbranch_execz .LBB4_677
; %bb.672:                              ;   in Loop: Header=BB4_137 Depth=3
	v_cmp_ne_u64_e32 vcc, 0, v[0:1]
                                        ; implicit-def: $vgpr0
                                        ; kill: killed $vgpr0
	s_and_saveexec_b64 s[94:95], vcc
	s_xor_b64 s[94:95], exec, s[94:95]
	s_cbranch_execz .LBB4_674
; %bb.673:                              ;   in Loop: Header=BB4_137 Depth=3
	v_or_b32_sdwa v0, v2, s47 dst_sel:DWORD dst_unused:UNUSED_PAD src0_sel:BYTE_3 src1_sel:DWORD
	buffer_store_dword v0, off, s[0:3], s33 offset:284 ; 4-byte Folded Spill
                                        ; implicit-def: $vgpr2
.LBB4_674:                              ;   in Loop: Header=BB4_137 Depth=3
	s_andn2_saveexec_b64 s[94:95], s[94:95]
	s_cbranch_execz .LBB4_676
; %bb.675:                              ;   in Loop: Header=BB4_137 Depth=3
	v_cmp_lt_i32_e32 vcc, -1, v2
	v_bfrev_b32_e32 v0, 0.5
	v_cndmask_b32_e32 v0, v0, v52, vcc
	buffer_store_dword v0, off, s[0:3], s33 offset:284 ; 4-byte Folded Spill
.LBB4_676:                              ;   in Loop: Header=BB4_137 Depth=3
	s_or_b64 exec, exec, s[94:95]
.LBB4_677:                              ;   in Loop: Header=BB4_137 Depth=3
	s_or_b64 exec, exec, s[26:27]
	v_cmp_lt_u32_e32 vcc, s57, v8
	v_mov_b32_e32 v1, 0
	s_and_saveexec_b64 s[26:27], vcc
	s_cbranch_execz .LBB4_685
; %bb.678:                              ;   in Loop: Header=BB4_137 Depth=3
	v_lshrrev_b32_e32 v0, 24, v8
	v_cmp_ne_u32_e32 vcc, s96, v0
	v_bfrev_b32_e32 v1, 1
	s_and_saveexec_b64 s[94:95], vcc
	s_cbranch_execz .LBB4_684
; %bb.679:                              ;   in Loop: Header=BB4_137 Depth=3
	v_and_b32_e32 v1, 0x7c000000, v8
	v_bfe_u32 v2, v8, 24, 2
	v_cmp_ne_u32_e32 vcc, s45, v1
                                        ; implicit-def: $vgpr1
	s_and_saveexec_b64 s[30:31], vcc
	s_xor_b64 s[30:31], exec, s[30:31]
	s_cbranch_execz .LBB4_681
; %bb.680:                              ;   in Loop: Header=BB4_137 Depth=3
	v_ffbh_u32_e32 v1, v2
	v_min_u32_e32 v5, 32, v1
	v_subrev_u32_e32 v1, 29, v5
	v_lshlrev_b64 v[0:1], v1, v[0:1]
	v_bfe_u32 v3, v8, 26, 5
	v_sub_u32_e32 v1, 30, v5
	v_and_b32_e32 v0, 3, v0
	v_cmp_eq_u32_e32 vcc, 0, v3
	v_cndmask_b32_e32 v1, v3, v1, vcc
	v_cndmask_b32_e32 v0, v2, v0, vcc
	v_and_b32_e32 v2, 0x80000000, v8
	v_lshl_add_u32 v1, v1, 23, v2
	v_lshl_or_b32 v0, v0, 21, v1
	v_add_u32_e32 v1, 0x38000000, v0
                                        ; implicit-def: $vgpr2
.LBB4_681:                              ;   in Loop: Header=BB4_137 Depth=3
	s_andn2_saveexec_b64 s[30:31], s[30:31]
; %bb.682:                              ;   in Loop: Header=BB4_137 Depth=3
	v_cmp_lt_i32_e32 vcc, -1, v8
	v_mov_b32_e32 v0, 0xff800000
	v_mov_b32_e32 v1, 0x7f800000
	v_cndmask_b32_e32 v0, v0, v1, vcc
	v_cmp_eq_u32_e32 vcc, 0, v2
	v_mov_b32_e32 v1, 0x7f800001
	v_cndmask_b32_e32 v1, v1, v0, vcc
; %bb.683:                              ;   in Loop: Header=BB4_137 Depth=3
	s_or_b64 exec, exec, s[30:31]
.LBB4_684:                              ;   in Loop: Header=BB4_137 Depth=3
	s_or_b64 exec, exec, s[94:95]
.LBB4_685:                              ;   in Loop: Header=BB4_137 Depth=3
	s_or_b64 exec, exec, s[26:27]
	v_mul_f32_e32 v2, v21, v1
	v_and_b32_e32 v12, 0x7f800000, v2
	v_mov_b32_e32 v13, v17
	v_cmp_ne_u64_e32 vcc, s[76:77], v[12:13]
	v_and_b32_e32 v0, 0x7fffff, v2
	v_mov_b32_e32 v1, v17
                                        ; implicit-def: $vgpr3
                                        ; kill: killed $vgpr3
	s_and_saveexec_b64 s[26:27], vcc
	s_xor_b64 s[94:95], exec, s[26:27]
	s_cbranch_execz .LBB4_699
; %bb.686:                              ;   in Loop: Header=BB4_137 Depth=3
	v_and_b32_e32 v12, 0x7fffffff, v2
	v_mov_b32_e32 v13, v17
	v_cmp_gt_u64_e32 vcc, s[78:79], v[12:13]
	v_and_b32_sdwa v3, v2, s96 dst_sel:DWORD dst_unused:UNUSED_PAD src0_sel:BYTE_3 src1_sel:DWORD
                                        ; implicit-def: $vgpr5
                                        ; kill: killed $vgpr5
	s_and_saveexec_b64 s[26:27], vcc
	s_xor_b64 s[30:31], exec, s[26:27]
	s_cbranch_execz .LBB4_696
; %bb.687:                              ;   in Loop: Header=BB4_137 Depth=3
	v_mov_b32_e32 v5, 0
	v_cmp_ne_u32_e32 vcc, 0, v2
	buffer_store_dword v5, off, s[0:3], s33 offset:288 ; 4-byte Folded Spill
	s_and_saveexec_b64 s[34:35], vcc
	s_cbranch_execz .LBB4_695
; %bb.688:                              ;   in Loop: Header=BB4_137 Depth=3
	v_bfe_u32 v5, v2, 23, 8
	v_cmp_gt_u32_e64 s[26:27], s46, v5
	v_sub_u32_e32 v2, 0x71, v5
	v_cmp_eq_u32_e32 vcc, 0, v5
	v_cndmask_b32_e64 v2, 0, v2, s[26:27]
	v_mov_b32_e32 v12, 0x70
	v_cndmask_b32_e32 v12, v2, v12, vcc
	v_or_b32_e32 v13, 0x800000, v0
	v_add_u32_e32 v2, 21, v12
	v_cndmask_b32_e32 v0, v13, v0, vcc
	v_lshlrev_b64 v[13:14], v2, -1
	v_add_u32_e32 v2, 20, v12
	v_bfi_b32 v13, v13, 0, v0
	v_lshlrev_b64 v[15:16], v2, 1
	v_lshrrev_b64 v[0:1], v12, v[0:1]
	v_bfi_b32 v14, v14, 0, 0
	v_cmp_eq_u64_e64 s[26:27], v[13:14], v[15:16]
	v_mov_b32_e32 v2, v1
	v_mov_b32_e32 v1, v0
	s_and_saveexec_b64 s[36:37], s[26:27]
; %bb.689:                              ;   in Loop: Header=BB4_137 Depth=3
	v_bfe_u32 v1, v0, 21, 1
	v_add_co_u32_e64 v1, s[26:27], v0, v1
	v_add_co_u32_e64 v1, s[26:27], -1, v1
; %bb.690:                              ;   in Loop: Header=BB4_137 Depth=3
	s_or_b64 exec, exec, s[36:37]
	v_add_u32_e32 v2, 0xffffff81, v5
	v_mov_b32_e32 v5, 0xffffff82
	v_cndmask_b32_e32 v2, v2, v5, vcc
	v_lshrrev_b32_e32 v5, 23, v0
	v_add3_u32 v12, v12, v2, v5
	v_add_u32_e32 v5, 14, v12
	v_and_b32_e32 v1, 0x1fffff, v1
	v_add_u32_e32 v0, v1, v0
	v_mov_b32_e32 v1, v17
	v_cmp_ne_u32_e32 vcc, 0, v5
                                        ; implicit-def: $vgpr2
	s_and_saveexec_b64 s[26:27], vcc
	s_xor_b64 s[26:27], exec, s[26:27]
; %bb.691:                              ;   in Loop: Header=BB4_137 Depth=3
	v_cmp_lt_u64_e32 vcc, s[88:89], v[0:1]
	v_add_u32_e32 v2, 15, v12
	v_cndmask_b32_e32 v2, v5, v2, vcc
	v_cndmask_b32_e64 v5, 0, 1, vcc
	v_lshrrev_b64 v[0:1], v5, v[0:1]
; %bb.692:                              ;   in Loop: Header=BB4_137 Depth=3
	s_andn2_saveexec_b64 s[26:27], s[26:27]
; %bb.693:                              ;   in Loop: Header=BB4_137 Depth=3
	v_bfe_u32 v2, v0, 23, 1
; %bb.694:                              ;   in Loop: Header=BB4_137 Depth=3
	s_or_b64 exec, exec, s[26:27]
	v_lshrrev_b64 v[0:1], 21, v[0:1]
	v_cmp_gt_i32_e32 vcc, 32, v2
	v_cndmask_b32_e32 v1, 0, v1, vcc
	v_cndmask_b32_e32 v0, 3, v0, vcc
	v_cmp_eq_u64_e64 s[26:27], 0, v[0:1]
	v_min_i32_e32 v1, 31, v2
	v_lshlrev_b32_e32 v1, 2, v1
	v_cmp_eq_u32_e32 vcc, 0, v2
	v_and_b32_e32 v1, 0xfc, v1
	v_and_or_b32 v0, v0, 3, v1
	s_and_b64 s[26:27], vcc, s[26:27]
	v_cndmask_b32_e64 v0, v0, 0, s[26:27]
	v_or_b32_e32 v0, v0, v3
	buffer_store_dword v0, off, s[0:3], s33 offset:288 ; 4-byte Folded Spill
.LBB4_695:                              ;   in Loop: Header=BB4_137 Depth=3
	s_or_b64 exec, exec, s[34:35]
                                        ; implicit-def: $vgpr3
.LBB4_696:                              ;   in Loop: Header=BB4_137 Depth=3
	s_andn2_saveexec_b64 s[26:27], s[30:31]
	s_cbranch_execz .LBB4_698
; %bb.697:                              ;   in Loop: Header=BB4_137 Depth=3
	v_or_b32_e32 v0, 0x7b, v3
	buffer_store_dword v0, off, s[0:3], s33 offset:288 ; 4-byte Folded Spill
.LBB4_698:                              ;   in Loop: Header=BB4_137 Depth=3
	s_or_b64 exec, exec, s[26:27]
                                        ; implicit-def: $vgpr2
                                        ; implicit-def: $vgpr0_vgpr1
.LBB4_699:                              ;   in Loop: Header=BB4_137 Depth=3
	s_andn2_saveexec_b64 s[26:27], s[94:95]
	s_cbranch_execz .LBB4_705
; %bb.700:                              ;   in Loop: Header=BB4_137 Depth=3
	v_cmp_ne_u64_e32 vcc, 0, v[0:1]
                                        ; implicit-def: $vgpr0
                                        ; kill: killed $vgpr0
	s_and_saveexec_b64 s[94:95], vcc
	s_xor_b64 s[94:95], exec, s[94:95]
	s_cbranch_execz .LBB4_702
; %bb.701:                              ;   in Loop: Header=BB4_137 Depth=3
	v_or_b32_sdwa v0, v2, s47 dst_sel:DWORD dst_unused:UNUSED_PAD src0_sel:BYTE_3 src1_sel:DWORD
	buffer_store_dword v0, off, s[0:3], s33 offset:288 ; 4-byte Folded Spill
                                        ; implicit-def: $vgpr2
.LBB4_702:                              ;   in Loop: Header=BB4_137 Depth=3
	s_andn2_saveexec_b64 s[94:95], s[94:95]
	s_cbranch_execz .LBB4_704
; %bb.703:                              ;   in Loop: Header=BB4_137 Depth=3
	v_cmp_lt_i32_e32 vcc, -1, v2
	v_bfrev_b32_e32 v0, 0.5
	v_cndmask_b32_e32 v0, v0, v52, vcc
	buffer_store_dword v0, off, s[0:3], s33 offset:288 ; 4-byte Folded Spill
.LBB4_704:                              ;   in Loop: Header=BB4_137 Depth=3
	s_or_b64 exec, exec, s[94:95]
.LBB4_705:                              ;   in Loop: Header=BB4_137 Depth=3
	s_or_b64 exec, exec, s[26:27]
	v_mov_b32_e32 v0, v9
	v_mov_b32_e32 v1, v17
	v_cmp_ne_u16_sdwa s[94:95], v9, v17 src0_sel:BYTE_0 src1_sel:DWORD
	v_mov_b32_e32 v2, 0
	s_and_saveexec_b64 s[26:27], s[94:95]
	s_cbranch_execz .LBB4_713
; %bb.706:                              ;   in Loop: Header=BB4_137 Depth=3
	v_cmp_ne_u16_sdwa vcc, v9, s96 src0_sel:BYTE_0 src1_sel:DWORD
	v_bfrev_b32_e32 v2, 1
	s_and_saveexec_b64 s[94:95], vcc
	s_cbranch_execz .LBB4_712
; %bb.707:                              ;   in Loop: Header=BB4_137 Depth=3
	v_and_b32_e32 v2, 0x7c, v9
	v_and_b32_e32 v3, 3, v9
	v_cmp_ne_u32_e32 vcc, s85, v2
                                        ; implicit-def: $vgpr2
	s_and_saveexec_b64 s[30:31], vcc
	s_xor_b64 s[30:31], exec, s[30:31]
	s_cbranch_execz .LBB4_709
; %bb.708:                              ;   in Loop: Header=BB4_137 Depth=3
	v_ffbh_u32_e32 v2, v3
	v_min_u32_e32 v12, 32, v2
	v_subrev_u32_e32 v2, 29, v12
	v_lshlrev_b64 v[1:2], v2, v[0:1]
	v_bfe_u32 v5, v9, 2, 5
	v_and_b32_e32 v1, 3, v1
	v_cmp_eq_u32_e32 vcc, 0, v5
	v_sub_u32_e32 v2, 30, v12
	v_cndmask_b32_e32 v1, v3, v1, vcc
	v_lshlrev_b32_e32 v3, 24, v9
	v_cndmask_b32_e32 v2, v5, v2, vcc
	v_and_b32_e32 v3, 0x80000000, v3
	v_lshl_add_u32 v2, v2, 23, v3
	v_lshl_or_b32 v1, v1, 21, v2
	v_add_u32_e32 v2, 0x38000000, v1
                                        ; implicit-def: $vgpr3
.LBB4_709:                              ;   in Loop: Header=BB4_137 Depth=3
	s_andn2_saveexec_b64 s[30:31], s[30:31]
; %bb.710:                              ;   in Loop: Header=BB4_137 Depth=3
	v_mov_b32_e32 v1, -1
	v_cmp_gt_i16_sdwa vcc, sext(v9), v1 src0_sel:BYTE_0 src1_sel:DWORD
	v_mov_b32_e32 v1, 0xff800000
	v_mov_b32_e32 v2, 0x7f800000
	v_cndmask_b32_e32 v1, v1, v2, vcc
	v_cmp_eq_u32_e32 vcc, 0, v3
	v_mov_b32_e32 v2, 0x7f800001
	v_cndmask_b32_e32 v2, v2, v1, vcc
; %bb.711:                              ;   in Loop: Header=BB4_137 Depth=3
	s_or_b64 exec, exec, s[30:31]
.LBB4_712:                              ;   in Loop: Header=BB4_137 Depth=3
	s_or_b64 exec, exec, s[94:95]
.LBB4_713:                              ;   in Loop: Header=BB4_137 Depth=3
	s_or_b64 exec, exec, s[26:27]
	v_mul_f32_e32 v3, v21, v2
	v_and_b32_e32 v12, 0x7f800000, v3
	v_mov_b32_e32 v13, v17
	v_cmp_ne_u64_e32 vcc, s[76:77], v[12:13]
	v_and_b32_e32 v1, 0x7fffff, v3
	v_mov_b32_e32 v2, v17
                                        ; implicit-def: $vgpr5
                                        ; kill: killed $vgpr5
	s_and_saveexec_b64 s[26:27], vcc
	s_xor_b64 s[94:95], exec, s[26:27]
	s_cbranch_execz .LBB4_727
; %bb.714:                              ;   in Loop: Header=BB4_137 Depth=3
	v_and_b32_e32 v12, 0x7fffffff, v3
	v_mov_b32_e32 v13, v17
	v_cmp_gt_u64_e32 vcc, s[78:79], v[12:13]
	v_and_b32_sdwa v5, v3, s96 dst_sel:DWORD dst_unused:UNUSED_PAD src0_sel:BYTE_3 src1_sel:DWORD
                                        ; implicit-def: $vgpr12
                                        ; kill: killed $vgpr12
	s_and_saveexec_b64 s[26:27], vcc
	s_xor_b64 s[30:31], exec, s[26:27]
	s_cbranch_execz .LBB4_724
; %bb.715:                              ;   in Loop: Header=BB4_137 Depth=3
	v_mov_b32_e32 v12, 0
	v_cmp_ne_u32_e32 vcc, 0, v3
	buffer_store_dword v12, off, s[0:3], s33 offset:292 ; 4-byte Folded Spill
	s_and_saveexec_b64 s[34:35], vcc
	s_cbranch_execz .LBB4_723
; %bb.716:                              ;   in Loop: Header=BB4_137 Depth=3
	v_bfe_u32 v12, v3, 23, 8
	v_cmp_gt_u32_e64 s[26:27], s46, v12
	v_sub_u32_e32 v3, 0x71, v12
	v_cmp_eq_u32_e32 vcc, 0, v12
	v_cndmask_b32_e64 v3, 0, v3, s[26:27]
	v_mov_b32_e32 v13, 0x70
	v_cndmask_b32_e32 v13, v3, v13, vcc
	v_or_b32_e32 v14, 0x800000, v1
	v_add_u32_e32 v3, 21, v13
	v_cndmask_b32_e32 v1, v14, v1, vcc
	v_lshlrev_b64 v[14:15], v3, -1
	v_add_u32_e32 v3, 20, v13
	v_bfi_b32 v14, v14, 0, v1
	v_lshlrev_b64 v[19:20], v3, 1
	v_lshrrev_b64 v[1:2], v13, v[1:2]
	v_bfi_b32 v15, v15, 0, 0
	v_cmp_eq_u64_e64 s[26:27], v[14:15], v[19:20]
	v_mov_b32_e32 v3, v2
	v_mov_b32_e32 v2, v1
	s_and_saveexec_b64 s[36:37], s[26:27]
; %bb.717:                              ;   in Loop: Header=BB4_137 Depth=3
	v_bfe_u32 v2, v1, 21, 1
	v_add_co_u32_e64 v2, s[26:27], v1, v2
	v_add_co_u32_e64 v2, s[26:27], -1, v2
; %bb.718:                              ;   in Loop: Header=BB4_137 Depth=3
	s_or_b64 exec, exec, s[36:37]
	v_add_u32_e32 v3, 0xffffff81, v12
	v_mov_b32_e32 v12, 0xffffff82
	v_cndmask_b32_e32 v3, v3, v12, vcc
	v_lshrrev_b32_e32 v12, 23, v1
	v_add3_u32 v13, v13, v3, v12
	v_add_u32_e32 v12, 14, v13
	v_and_b32_e32 v2, 0x1fffff, v2
	v_add_u32_e32 v1, v2, v1
	v_mov_b32_e32 v2, v17
	v_cmp_ne_u32_e32 vcc, 0, v12
                                        ; implicit-def: $vgpr3
	s_and_saveexec_b64 s[26:27], vcc
	s_xor_b64 s[26:27], exec, s[26:27]
; %bb.719:                              ;   in Loop: Header=BB4_137 Depth=3
	v_cmp_lt_u64_e32 vcc, s[88:89], v[1:2]
	v_add_u32_e32 v3, 15, v13
	v_cndmask_b32_e32 v3, v12, v3, vcc
	v_cndmask_b32_e64 v12, 0, 1, vcc
	v_lshrrev_b64 v[1:2], v12, v[1:2]
; %bb.720:                              ;   in Loop: Header=BB4_137 Depth=3
	s_andn2_saveexec_b64 s[26:27], s[26:27]
; %bb.721:                              ;   in Loop: Header=BB4_137 Depth=3
	v_bfe_u32 v3, v1, 23, 1
; %bb.722:                              ;   in Loop: Header=BB4_137 Depth=3
	s_or_b64 exec, exec, s[26:27]
	v_lshrrev_b64 v[1:2], 21, v[1:2]
	v_cmp_gt_i32_e32 vcc, 32, v3
	v_cndmask_b32_e32 v2, 0, v2, vcc
	v_cndmask_b32_e32 v1, 3, v1, vcc
	v_cmp_eq_u64_e64 s[26:27], 0, v[1:2]
	v_min_i32_e32 v2, 31, v3
	v_lshlrev_b32_e32 v2, 2, v2
	v_cmp_eq_u32_e32 vcc, 0, v3
	v_and_b32_e32 v2, 0xfc, v2
	v_and_or_b32 v1, v1, 3, v2
	s_and_b64 s[26:27], vcc, s[26:27]
	v_cndmask_b32_e64 v1, v1, 0, s[26:27]
	v_or_b32_e32 v1, v1, v5
	buffer_store_dword v1, off, s[0:3], s33 offset:292 ; 4-byte Folded Spill
.LBB4_723:                              ;   in Loop: Header=BB4_137 Depth=3
	s_or_b64 exec, exec, s[34:35]
                                        ; implicit-def: $vgpr5
.LBB4_724:                              ;   in Loop: Header=BB4_137 Depth=3
	s_andn2_saveexec_b64 s[26:27], s[30:31]
	s_cbranch_execz .LBB4_726
; %bb.725:                              ;   in Loop: Header=BB4_137 Depth=3
	v_or_b32_e32 v1, 0x7b, v5
	buffer_store_dword v1, off, s[0:3], s33 offset:292 ; 4-byte Folded Spill
.LBB4_726:                              ;   in Loop: Header=BB4_137 Depth=3
	s_or_b64 exec, exec, s[26:27]
                                        ; implicit-def: $vgpr3
                                        ; implicit-def: $vgpr1_vgpr2
.LBB4_727:                              ;   in Loop: Header=BB4_137 Depth=3
	s_andn2_saveexec_b64 s[26:27], s[94:95]
	s_cbranch_execz .LBB4_733
; %bb.728:                              ;   in Loop: Header=BB4_137 Depth=3
	v_cmp_ne_u64_e32 vcc, 0, v[1:2]
                                        ; implicit-def: $vgpr1
                                        ; kill: killed $vgpr1
	s_and_saveexec_b64 s[94:95], vcc
	s_xor_b64 s[94:95], exec, s[94:95]
	s_cbranch_execz .LBB4_730
; %bb.729:                              ;   in Loop: Header=BB4_137 Depth=3
	v_or_b32_sdwa v1, v3, s47 dst_sel:DWORD dst_unused:UNUSED_PAD src0_sel:BYTE_3 src1_sel:DWORD
	buffer_store_dword v1, off, s[0:3], s33 offset:292 ; 4-byte Folded Spill
                                        ; implicit-def: $vgpr3
.LBB4_730:                              ;   in Loop: Header=BB4_137 Depth=3
	s_andn2_saveexec_b64 s[94:95], s[94:95]
	s_cbranch_execz .LBB4_732
; %bb.731:                              ;   in Loop: Header=BB4_137 Depth=3
	v_cmp_lt_i32_e32 vcc, -1, v3
	v_bfrev_b32_e32 v1, 0.5
	v_cndmask_b32_e32 v1, v1, v52, vcc
	buffer_store_dword v1, off, s[0:3], s33 offset:292 ; 4-byte Folded Spill
.LBB4_732:                              ;   in Loop: Header=BB4_137 Depth=3
	s_or_b64 exec, exec, s[94:95]
.LBB4_733:                              ;   in Loop: Header=BB4_137 Depth=3
	s_or_b64 exec, exec, s[26:27]
	v_lshrrev_b16_e32 v1, 8, v0
	v_cmp_ne_u16_e32 vcc, 0, v1
	v_mov_b32_e32 v2, 0
	s_and_saveexec_b64 s[26:27], vcc
	s_cbranch_execz .LBB4_741
; %bb.734:                              ;   in Loop: Header=BB4_137 Depth=3
	v_cmp_ne_u16_e32 vcc, s96, v1
	v_bfrev_b32_e32 v2, 1
	s_and_saveexec_b64 s[94:95], vcc
	s_cbranch_execz .LBB4_740
; %bb.735:                              ;   in Loop: Header=BB4_137 Depth=3
	v_and_b32_e32 v2, 0x7c, v1
	v_and_b32_e32 v3, 3, v1
	v_cmp_ne_u32_e32 vcc, s85, v2
                                        ; implicit-def: $vgpr2
	s_and_saveexec_b64 s[30:31], vcc
	s_xor_b64 s[30:31], exec, s[30:31]
	s_cbranch_execz .LBB4_737
; %bb.736:                              ;   in Loop: Header=BB4_137 Depth=3
	v_ffbh_u32_e32 v12, v3
	v_min_u32_e32 v12, 32, v12
	v_mov_b32_e32 v2, v17
	v_subrev_u32_e32 v13, 29, v12
	v_bfe_u32 v5, v1, 2, 5
	v_lshlrev_b64 v[1:2], v13, v[1:2]
	v_sub_u32_e32 v2, 30, v12
	v_cmp_eq_u32_e32 vcc, 0, v5
	v_lshlrev_b32_e32 v0, 16, v0
	v_and_b32_e32 v1, 3, v1
	v_cndmask_b32_e32 v2, v5, v2, vcc
	v_and_b32_e32 v0, 0x80000000, v0
	v_cndmask_b32_e32 v1, v3, v1, vcc
	v_lshl_add_u32 v0, v2, 23, v0
	v_lshl_or_b32 v0, v1, 21, v0
	v_add_u32_e32 v2, 0x38000000, v0
                                        ; implicit-def: $vgpr3
                                        ; implicit-def: $vgpr0_vgpr1
.LBB4_737:                              ;   in Loop: Header=BB4_137 Depth=3
	s_andn2_saveexec_b64 s[30:31], s[30:31]
; %bb.738:                              ;   in Loop: Header=BB4_137 Depth=3
	v_cmp_lt_i16_e32 vcc, -1, v0
	v_mov_b32_e32 v0, 0xff800000
	v_mov_b32_e32 v1, 0x7f800000
	v_cndmask_b32_e32 v0, v0, v1, vcc
	v_cmp_eq_u32_e32 vcc, 0, v3
	v_mov_b32_e32 v1, 0x7f800001
	v_cndmask_b32_e32 v2, v1, v0, vcc
; %bb.739:                              ;   in Loop: Header=BB4_137 Depth=3
	s_or_b64 exec, exec, s[30:31]
.LBB4_740:                              ;   in Loop: Header=BB4_137 Depth=3
	s_or_b64 exec, exec, s[94:95]
.LBB4_741:                              ;   in Loop: Header=BB4_137 Depth=3
	s_or_b64 exec, exec, s[26:27]
	v_mul_f32_e32 v2, v21, v2
	v_and_b32_e32 v12, 0x7f800000, v2
	v_mov_b32_e32 v13, v17
	v_cmp_ne_u64_e32 vcc, s[76:77], v[12:13]
	v_and_b32_e32 v0, 0x7fffff, v2
	v_mov_b32_e32 v1, v17
                                        ; implicit-def: $vgpr3
                                        ; kill: killed $vgpr3
	s_and_saveexec_b64 s[26:27], vcc
	s_xor_b64 s[94:95], exec, s[26:27]
	s_cbranch_execz .LBB4_755
; %bb.742:                              ;   in Loop: Header=BB4_137 Depth=3
	v_and_b32_e32 v12, 0x7fffffff, v2
	v_mov_b32_e32 v13, v17
	v_cmp_gt_u64_e32 vcc, s[78:79], v[12:13]
	v_and_b32_sdwa v3, v2, s96 dst_sel:DWORD dst_unused:UNUSED_PAD src0_sel:BYTE_3 src1_sel:DWORD
                                        ; implicit-def: $vgpr5
                                        ; kill: killed $vgpr5
	s_and_saveexec_b64 s[26:27], vcc
	s_xor_b64 s[30:31], exec, s[26:27]
	s_cbranch_execz .LBB4_752
; %bb.743:                              ;   in Loop: Header=BB4_137 Depth=3
	v_mov_b32_e32 v5, 0
	v_cmp_ne_u32_e32 vcc, 0, v2
	buffer_store_dword v5, off, s[0:3], s33 offset:296 ; 4-byte Folded Spill
	s_and_saveexec_b64 s[34:35], vcc
	s_cbranch_execz .LBB4_751
; %bb.744:                              ;   in Loop: Header=BB4_137 Depth=3
	v_bfe_u32 v5, v2, 23, 8
	v_cmp_gt_u32_e64 s[26:27], s46, v5
	v_sub_u32_e32 v2, 0x71, v5
	v_cmp_eq_u32_e32 vcc, 0, v5
	v_cndmask_b32_e64 v2, 0, v2, s[26:27]
	v_mov_b32_e32 v12, 0x70
	v_cndmask_b32_e32 v12, v2, v12, vcc
	v_or_b32_e32 v13, 0x800000, v0
	v_add_u32_e32 v2, 21, v12
	v_cndmask_b32_e32 v0, v13, v0, vcc
	v_lshlrev_b64 v[13:14], v2, -1
	v_add_u32_e32 v2, 20, v12
	v_bfi_b32 v13, v13, 0, v0
	v_lshlrev_b64 v[15:16], v2, 1
	v_lshrrev_b64 v[0:1], v12, v[0:1]
	v_bfi_b32 v14, v14, 0, 0
	v_cmp_eq_u64_e64 s[26:27], v[13:14], v[15:16]
	v_mov_b32_e32 v2, v1
	v_mov_b32_e32 v1, v0
	s_and_saveexec_b64 s[36:37], s[26:27]
; %bb.745:                              ;   in Loop: Header=BB4_137 Depth=3
	v_bfe_u32 v1, v0, 21, 1
	v_add_co_u32_e64 v1, s[26:27], v0, v1
	v_add_co_u32_e64 v1, s[26:27], -1, v1
; %bb.746:                              ;   in Loop: Header=BB4_137 Depth=3
	s_or_b64 exec, exec, s[36:37]
	v_add_u32_e32 v2, 0xffffff81, v5
	v_mov_b32_e32 v5, 0xffffff82
	v_cndmask_b32_e32 v2, v2, v5, vcc
	v_lshrrev_b32_e32 v5, 23, v0
	v_add3_u32 v12, v12, v2, v5
	v_add_u32_e32 v5, 14, v12
	v_and_b32_e32 v1, 0x1fffff, v1
	v_add_u32_e32 v0, v1, v0
	v_mov_b32_e32 v1, v17
	v_cmp_ne_u32_e32 vcc, 0, v5
                                        ; implicit-def: $vgpr2
	s_and_saveexec_b64 s[26:27], vcc
	s_xor_b64 s[26:27], exec, s[26:27]
; %bb.747:                              ;   in Loop: Header=BB4_137 Depth=3
	v_cmp_lt_u64_e32 vcc, s[88:89], v[0:1]
	v_add_u32_e32 v2, 15, v12
	v_cndmask_b32_e32 v2, v5, v2, vcc
	v_cndmask_b32_e64 v5, 0, 1, vcc
	v_lshrrev_b64 v[0:1], v5, v[0:1]
; %bb.748:                              ;   in Loop: Header=BB4_137 Depth=3
	s_andn2_saveexec_b64 s[26:27], s[26:27]
; %bb.749:                              ;   in Loop: Header=BB4_137 Depth=3
	v_bfe_u32 v2, v0, 23, 1
; %bb.750:                              ;   in Loop: Header=BB4_137 Depth=3
	s_or_b64 exec, exec, s[26:27]
	v_lshrrev_b64 v[0:1], 21, v[0:1]
	v_cmp_gt_i32_e32 vcc, 32, v2
	v_cndmask_b32_e32 v1, 0, v1, vcc
	v_cndmask_b32_e32 v0, 3, v0, vcc
	v_cmp_eq_u64_e64 s[26:27], 0, v[0:1]
	v_min_i32_e32 v1, 31, v2
	v_lshlrev_b32_e32 v1, 2, v1
	v_cmp_eq_u32_e32 vcc, 0, v2
	v_and_b32_e32 v1, 0xfc, v1
	v_and_or_b32 v0, v0, 3, v1
	s_and_b64 s[26:27], vcc, s[26:27]
	v_cndmask_b32_e64 v0, v0, 0, s[26:27]
	v_or_b32_e32 v0, v0, v3
	buffer_store_dword v0, off, s[0:3], s33 offset:296 ; 4-byte Folded Spill
.LBB4_751:                              ;   in Loop: Header=BB4_137 Depth=3
	s_or_b64 exec, exec, s[34:35]
                                        ; implicit-def: $vgpr3
.LBB4_752:                              ;   in Loop: Header=BB4_137 Depth=3
	s_andn2_saveexec_b64 s[26:27], s[30:31]
	s_cbranch_execz .LBB4_754
; %bb.753:                              ;   in Loop: Header=BB4_137 Depth=3
	v_or_b32_e32 v0, 0x7b, v3
	buffer_store_dword v0, off, s[0:3], s33 offset:296 ; 4-byte Folded Spill
.LBB4_754:                              ;   in Loop: Header=BB4_137 Depth=3
	s_or_b64 exec, exec, s[26:27]
                                        ; implicit-def: $vgpr2
                                        ; implicit-def: $vgpr0_vgpr1
.LBB4_755:                              ;   in Loop: Header=BB4_137 Depth=3
	s_andn2_saveexec_b64 s[26:27], s[94:95]
	s_cbranch_execz .LBB4_761
; %bb.756:                              ;   in Loop: Header=BB4_137 Depth=3
	v_cmp_ne_u64_e32 vcc, 0, v[0:1]
                                        ; implicit-def: $vgpr0
                                        ; kill: killed $vgpr0
	s_and_saveexec_b64 s[94:95], vcc
	s_xor_b64 s[94:95], exec, s[94:95]
	s_cbranch_execz .LBB4_758
; %bb.757:                              ;   in Loop: Header=BB4_137 Depth=3
	v_or_b32_sdwa v0, v2, s47 dst_sel:DWORD dst_unused:UNUSED_PAD src0_sel:BYTE_3 src1_sel:DWORD
	buffer_store_dword v0, off, s[0:3], s33 offset:296 ; 4-byte Folded Spill
                                        ; implicit-def: $vgpr2
.LBB4_758:                              ;   in Loop: Header=BB4_137 Depth=3
	s_andn2_saveexec_b64 s[94:95], s[94:95]
	s_cbranch_execz .LBB4_760
; %bb.759:                              ;   in Loop: Header=BB4_137 Depth=3
	v_cmp_lt_i32_e32 vcc, -1, v2
	v_bfrev_b32_e32 v0, 0.5
	v_cndmask_b32_e32 v0, v0, v52, vcc
	buffer_store_dword v0, off, s[0:3], s33 offset:296 ; 4-byte Folded Spill
.LBB4_760:                              ;   in Loop: Header=BB4_137 Depth=3
	s_or_b64 exec, exec, s[94:95]
.LBB4_761:                              ;   in Loop: Header=BB4_137 Depth=3
	s_or_b64 exec, exec, s[26:27]
	v_lshrrev_b32_e32 v0, 16, v9
	v_cmp_ne_u16_sdwa s[94:95], v0, v17 src0_sel:BYTE_0 src1_sel:DWORD
	v_mov_b32_e32 v1, 0
	s_and_saveexec_b64 s[26:27], s[94:95]
	s_cbranch_execz .LBB4_769
; %bb.762:                              ;   in Loop: Header=BB4_137 Depth=3
	v_cmp_ne_u16_sdwa vcc, v0, s96 src0_sel:BYTE_0 src1_sel:DWORD
	v_bfrev_b32_e32 v1, 1
	s_and_saveexec_b64 s[94:95], vcc
	s_cbranch_execz .LBB4_768
; %bb.763:                              ;   in Loop: Header=BB4_137 Depth=3
	v_and_b32_e32 v1, 0x7c0000, v9
	v_bfe_u32 v2, v9, 16, 2
	v_cmp_ne_u32_e32 vcc, s44, v1
                                        ; implicit-def: $vgpr1
	s_and_saveexec_b64 s[30:31], vcc
	s_xor_b64 s[30:31], exec, s[30:31]
	s_cbranch_execz .LBB4_765
; %bb.764:                              ;   in Loop: Header=BB4_137 Depth=3
	v_ffbh_u32_e32 v1, v2
	v_min_u32_e32 v5, 32, v1
	v_subrev_u32_e32 v1, 29, v5
	v_lshlrev_b64 v[0:1], v1, v[0:1]
	v_bfe_u32 v3, v9, 18, 5
	v_and_b32_e32 v0, 3, v0
	v_cmp_eq_u32_e32 vcc, 0, v3
	v_sub_u32_e32 v1, 30, v5
	v_cndmask_b32_e32 v0, v2, v0, vcc
	v_lshlrev_b32_e32 v2, 8, v9
	v_cndmask_b32_e32 v1, v3, v1, vcc
	v_and_b32_e32 v2, 0x80000000, v2
	v_lshl_add_u32 v1, v1, 23, v2
	v_lshl_or_b32 v0, v0, 21, v1
	v_add_u32_e32 v1, 0x38000000, v0
                                        ; implicit-def: $vgpr2
                                        ; implicit-def: $vgpr0
.LBB4_765:                              ;   in Loop: Header=BB4_137 Depth=3
	s_andn2_saveexec_b64 s[30:31], s[30:31]
; %bb.766:                              ;   in Loop: Header=BB4_137 Depth=3
	v_mov_b32_e32 v1, -1
	v_cmp_gt_i16_sdwa vcc, sext(v0), v1 src0_sel:BYTE_0 src1_sel:DWORD
	v_mov_b32_e32 v0, 0xff800000
	v_mov_b32_e32 v1, 0x7f800000
	v_cndmask_b32_e32 v0, v0, v1, vcc
	v_cmp_eq_u32_e32 vcc, 0, v2
	v_mov_b32_e32 v1, 0x7f800001
	v_cndmask_b32_e32 v1, v1, v0, vcc
; %bb.767:                              ;   in Loop: Header=BB4_137 Depth=3
	s_or_b64 exec, exec, s[30:31]
.LBB4_768:                              ;   in Loop: Header=BB4_137 Depth=3
	s_or_b64 exec, exec, s[94:95]
.LBB4_769:                              ;   in Loop: Header=BB4_137 Depth=3
	s_or_b64 exec, exec, s[26:27]
	v_mul_f32_e32 v2, v21, v1
	v_and_b32_e32 v12, 0x7f800000, v2
	v_mov_b32_e32 v13, v17
	v_cmp_ne_u64_e32 vcc, s[76:77], v[12:13]
	v_and_b32_e32 v0, 0x7fffff, v2
	v_mov_b32_e32 v1, v17
                                        ; implicit-def: $vgpr3
                                        ; kill: killed $vgpr3
	s_and_saveexec_b64 s[26:27], vcc
	s_xor_b64 s[94:95], exec, s[26:27]
	s_cbranch_execz .LBB4_783
; %bb.770:                              ;   in Loop: Header=BB4_137 Depth=3
	v_and_b32_e32 v12, 0x7fffffff, v2
	v_mov_b32_e32 v13, v17
	v_cmp_gt_u64_e32 vcc, s[78:79], v[12:13]
	v_and_b32_sdwa v3, v2, s96 dst_sel:DWORD dst_unused:UNUSED_PAD src0_sel:BYTE_3 src1_sel:DWORD
                                        ; implicit-def: $vgpr5
                                        ; kill: killed $vgpr5
	s_and_saveexec_b64 s[26:27], vcc
	s_xor_b64 s[30:31], exec, s[26:27]
	s_cbranch_execz .LBB4_780
; %bb.771:                              ;   in Loop: Header=BB4_137 Depth=3
	v_mov_b32_e32 v5, 0
	v_cmp_ne_u32_e32 vcc, 0, v2
	buffer_store_dword v5, off, s[0:3], s33 offset:300 ; 4-byte Folded Spill
	s_and_saveexec_b64 s[34:35], vcc
	s_cbranch_execz .LBB4_779
; %bb.772:                              ;   in Loop: Header=BB4_137 Depth=3
	v_bfe_u32 v5, v2, 23, 8
	v_cmp_gt_u32_e64 s[26:27], s46, v5
	v_sub_u32_e32 v2, 0x71, v5
	v_cmp_eq_u32_e32 vcc, 0, v5
	v_cndmask_b32_e64 v2, 0, v2, s[26:27]
	v_mov_b32_e32 v12, 0x70
	v_cndmask_b32_e32 v12, v2, v12, vcc
	v_or_b32_e32 v13, 0x800000, v0
	v_add_u32_e32 v2, 21, v12
	v_cndmask_b32_e32 v0, v13, v0, vcc
	v_lshlrev_b64 v[13:14], v2, -1
	v_add_u32_e32 v2, 20, v12
	v_bfi_b32 v13, v13, 0, v0
	v_lshlrev_b64 v[15:16], v2, 1
	v_lshrrev_b64 v[0:1], v12, v[0:1]
	v_bfi_b32 v14, v14, 0, 0
	v_cmp_eq_u64_e64 s[26:27], v[13:14], v[15:16]
	v_mov_b32_e32 v2, v1
	v_mov_b32_e32 v1, v0
	s_and_saveexec_b64 s[36:37], s[26:27]
; %bb.773:                              ;   in Loop: Header=BB4_137 Depth=3
	v_bfe_u32 v1, v0, 21, 1
	v_add_co_u32_e64 v1, s[26:27], v0, v1
	v_add_co_u32_e64 v1, s[26:27], -1, v1
; %bb.774:                              ;   in Loop: Header=BB4_137 Depth=3
	s_or_b64 exec, exec, s[36:37]
	v_add_u32_e32 v2, 0xffffff81, v5
	v_mov_b32_e32 v5, 0xffffff82
	v_cndmask_b32_e32 v2, v2, v5, vcc
	v_lshrrev_b32_e32 v5, 23, v0
	v_add3_u32 v12, v12, v2, v5
	v_add_u32_e32 v5, 14, v12
	v_and_b32_e32 v1, 0x1fffff, v1
	v_add_u32_e32 v0, v1, v0
	v_mov_b32_e32 v1, v17
	v_cmp_ne_u32_e32 vcc, 0, v5
                                        ; implicit-def: $vgpr2
	s_and_saveexec_b64 s[26:27], vcc
	s_xor_b64 s[26:27], exec, s[26:27]
; %bb.775:                              ;   in Loop: Header=BB4_137 Depth=3
	v_cmp_lt_u64_e32 vcc, s[88:89], v[0:1]
	v_add_u32_e32 v2, 15, v12
	v_cndmask_b32_e32 v2, v5, v2, vcc
	v_cndmask_b32_e64 v5, 0, 1, vcc
	v_lshrrev_b64 v[0:1], v5, v[0:1]
; %bb.776:                              ;   in Loop: Header=BB4_137 Depth=3
	s_andn2_saveexec_b64 s[26:27], s[26:27]
; %bb.777:                              ;   in Loop: Header=BB4_137 Depth=3
	v_bfe_u32 v2, v0, 23, 1
; %bb.778:                              ;   in Loop: Header=BB4_137 Depth=3
	s_or_b64 exec, exec, s[26:27]
	v_lshrrev_b64 v[0:1], 21, v[0:1]
	v_cmp_gt_i32_e32 vcc, 32, v2
	v_cndmask_b32_e32 v1, 0, v1, vcc
	v_cndmask_b32_e32 v0, 3, v0, vcc
	v_cmp_eq_u64_e64 s[26:27], 0, v[0:1]
	v_min_i32_e32 v1, 31, v2
	v_lshlrev_b32_e32 v1, 2, v1
	v_cmp_eq_u32_e32 vcc, 0, v2
	v_and_b32_e32 v1, 0xfc, v1
	v_and_or_b32 v0, v0, 3, v1
	s_and_b64 s[26:27], vcc, s[26:27]
	v_cndmask_b32_e64 v0, v0, 0, s[26:27]
	v_or_b32_e32 v0, v0, v3
	buffer_store_dword v0, off, s[0:3], s33 offset:300 ; 4-byte Folded Spill
.LBB4_779:                              ;   in Loop: Header=BB4_137 Depth=3
	s_or_b64 exec, exec, s[34:35]
                                        ; implicit-def: $vgpr3
.LBB4_780:                              ;   in Loop: Header=BB4_137 Depth=3
	s_andn2_saveexec_b64 s[26:27], s[30:31]
	s_cbranch_execz .LBB4_782
; %bb.781:                              ;   in Loop: Header=BB4_137 Depth=3
	v_or_b32_e32 v0, 0x7b, v3
	buffer_store_dword v0, off, s[0:3], s33 offset:300 ; 4-byte Folded Spill
.LBB4_782:                              ;   in Loop: Header=BB4_137 Depth=3
	s_or_b64 exec, exec, s[26:27]
                                        ; implicit-def: $vgpr2
                                        ; implicit-def: $vgpr0_vgpr1
.LBB4_783:                              ;   in Loop: Header=BB4_137 Depth=3
	s_andn2_saveexec_b64 s[26:27], s[94:95]
	s_cbranch_execz .LBB4_789
; %bb.784:                              ;   in Loop: Header=BB4_137 Depth=3
	v_cmp_ne_u64_e32 vcc, 0, v[0:1]
                                        ; implicit-def: $vgpr0
                                        ; kill: killed $vgpr0
	s_and_saveexec_b64 s[94:95], vcc
	s_xor_b64 s[94:95], exec, s[94:95]
	s_cbranch_execz .LBB4_786
; %bb.785:                              ;   in Loop: Header=BB4_137 Depth=3
	v_or_b32_sdwa v0, v2, s47 dst_sel:DWORD dst_unused:UNUSED_PAD src0_sel:BYTE_3 src1_sel:DWORD
	buffer_store_dword v0, off, s[0:3], s33 offset:300 ; 4-byte Folded Spill
                                        ; implicit-def: $vgpr2
.LBB4_786:                              ;   in Loop: Header=BB4_137 Depth=3
	s_andn2_saveexec_b64 s[94:95], s[94:95]
	s_cbranch_execz .LBB4_788
; %bb.787:                              ;   in Loop: Header=BB4_137 Depth=3
	v_cmp_lt_i32_e32 vcc, -1, v2
	v_bfrev_b32_e32 v0, 0.5
	v_cndmask_b32_e32 v0, v0, v52, vcc
	buffer_store_dword v0, off, s[0:3], s33 offset:300 ; 4-byte Folded Spill
.LBB4_788:                              ;   in Loop: Header=BB4_137 Depth=3
	s_or_b64 exec, exec, s[94:95]
.LBB4_789:                              ;   in Loop: Header=BB4_137 Depth=3
	s_or_b64 exec, exec, s[26:27]
	v_cmp_lt_u64_e32 vcc, s[56:57], v[8:9]
	v_mov_b32_e32 v1, 0
	s_and_saveexec_b64 s[26:27], vcc
	s_cbranch_execz .LBB4_797
; %bb.790:                              ;   in Loop: Header=BB4_137 Depth=3
	v_lshrrev_b32_e32 v0, 24, v9
	v_cmp_ne_u32_e32 vcc, s96, v0
	v_bfrev_b32_e32 v1, 1
	s_and_saveexec_b64 s[94:95], vcc
	s_cbranch_execz .LBB4_796
; %bb.791:                              ;   in Loop: Header=BB4_137 Depth=3
	v_and_b32_e32 v1, 0x7c000000, v9
	v_bfe_u32 v2, v9, 24, 2
	v_cmp_ne_u32_e32 vcc, s45, v1
                                        ; implicit-def: $vgpr1
	s_and_saveexec_b64 s[30:31], vcc
	s_xor_b64 s[30:31], exec, s[30:31]
	s_cbranch_execz .LBB4_793
; %bb.792:                              ;   in Loop: Header=BB4_137 Depth=3
	v_ffbh_u32_e32 v1, v2
	v_min_u32_e32 v5, 32, v1
	v_subrev_u32_e32 v1, 29, v5
	v_lshlrev_b64 v[0:1], v1, v[0:1]
	v_bfe_u32 v3, v9, 26, 5
	v_sub_u32_e32 v1, 30, v5
	v_and_b32_e32 v0, 3, v0
	v_cmp_eq_u32_e32 vcc, 0, v3
	v_cndmask_b32_e32 v1, v3, v1, vcc
	v_cndmask_b32_e32 v0, v2, v0, vcc
	v_and_b32_e32 v2, 0x80000000, v9
	v_lshl_add_u32 v1, v1, 23, v2
	v_lshl_or_b32 v0, v0, 21, v1
	v_add_u32_e32 v1, 0x38000000, v0
                                        ; implicit-def: $vgpr2
.LBB4_793:                              ;   in Loop: Header=BB4_137 Depth=3
	s_andn2_saveexec_b64 s[30:31], s[30:31]
; %bb.794:                              ;   in Loop: Header=BB4_137 Depth=3
	v_cmp_lt_i64_e32 vcc, -1, v[8:9]
	v_mov_b32_e32 v0, 0xff800000
	v_mov_b32_e32 v1, 0x7f800000
	v_cndmask_b32_e32 v0, v0, v1, vcc
	v_cmp_eq_u32_e32 vcc, 0, v2
	v_mov_b32_e32 v1, 0x7f800001
	v_cndmask_b32_e32 v1, v1, v0, vcc
; %bb.795:                              ;   in Loop: Header=BB4_137 Depth=3
	s_or_b64 exec, exec, s[30:31]
.LBB4_796:                              ;   in Loop: Header=BB4_137 Depth=3
	s_or_b64 exec, exec, s[94:95]
.LBB4_797:                              ;   in Loop: Header=BB4_137 Depth=3
	s_or_b64 exec, exec, s[26:27]
	v_mul_f32_e32 v2, v21, v1
	v_and_b32_e32 v8, 0x7f800000, v2
	v_mov_b32_e32 v9, v17
	v_cmp_ne_u64_e32 vcc, s[76:77], v[8:9]
	v_and_b32_e32 v0, 0x7fffff, v2
	v_mov_b32_e32 v1, v17
                                        ; implicit-def: $vgpr3
                                        ; kill: killed $vgpr3
	s_and_saveexec_b64 s[26:27], vcc
	s_xor_b64 s[94:95], exec, s[26:27]
	s_cbranch_execz .LBB4_811
; %bb.798:                              ;   in Loop: Header=BB4_137 Depth=3
	v_and_b32_e32 v8, 0x7fffffff, v2
	v_mov_b32_e32 v9, v17
	v_cmp_gt_u64_e32 vcc, s[78:79], v[8:9]
	v_and_b32_sdwa v3, v2, s96 dst_sel:DWORD dst_unused:UNUSED_PAD src0_sel:BYTE_3 src1_sel:DWORD
                                        ; implicit-def: $vgpr5
                                        ; kill: killed $vgpr5
	s_and_saveexec_b64 s[26:27], vcc
	s_xor_b64 s[30:31], exec, s[26:27]
	s_cbranch_execz .LBB4_808
; %bb.799:                              ;   in Loop: Header=BB4_137 Depth=3
	v_mov_b32_e32 v5, 0
	v_cmp_ne_u32_e32 vcc, 0, v2
	buffer_store_dword v5, off, s[0:3], s33 offset:304 ; 4-byte Folded Spill
	s_and_saveexec_b64 s[34:35], vcc
	s_cbranch_execz .LBB4_807
; %bb.800:                              ;   in Loop: Header=BB4_137 Depth=3
	v_bfe_u32 v5, v2, 23, 8
	v_cmp_gt_u32_e64 s[26:27], s46, v5
	v_sub_u32_e32 v2, 0x71, v5
	v_cmp_eq_u32_e32 vcc, 0, v5
	v_cndmask_b32_e64 v2, 0, v2, s[26:27]
	v_mov_b32_e32 v8, 0x70
	v_cndmask_b32_e32 v8, v2, v8, vcc
	v_add_u32_e32 v2, 21, v8
	v_or_b32_e32 v9, 0x800000, v0
	v_lshlrev_b64 v[12:13], v2, -1
	v_cndmask_b32_e32 v0, v9, v0, vcc
	v_add_u32_e32 v2, 20, v8
	v_bfi_b32 v12, v12, 0, v0
	v_lshlrev_b64 v[14:15], v2, 1
	v_lshrrev_b64 v[0:1], v8, v[0:1]
	v_bfi_b32 v13, v13, 0, 0
	v_cmp_eq_u64_e64 s[26:27], v[12:13], v[14:15]
	v_mov_b32_e32 v2, v1
	v_mov_b32_e32 v1, v0
	s_and_saveexec_b64 s[36:37], s[26:27]
; %bb.801:                              ;   in Loop: Header=BB4_137 Depth=3
	v_bfe_u32 v1, v0, 21, 1
	v_add_co_u32_e64 v1, s[26:27], v0, v1
	v_add_co_u32_e64 v1, s[26:27], -1, v1
; %bb.802:                              ;   in Loop: Header=BB4_137 Depth=3
	s_or_b64 exec, exec, s[36:37]
	v_add_u32_e32 v2, 0xffffff81, v5
	v_mov_b32_e32 v5, 0xffffff82
	v_cndmask_b32_e32 v2, v2, v5, vcc
	v_lshrrev_b32_e32 v5, 23, v0
	v_add3_u32 v8, v8, v2, v5
	v_add_u32_e32 v5, 14, v8
	v_and_b32_e32 v1, 0x1fffff, v1
	v_add_u32_e32 v0, v1, v0
	v_mov_b32_e32 v1, v17
	v_cmp_ne_u32_e32 vcc, 0, v5
                                        ; implicit-def: $vgpr2
	s_and_saveexec_b64 s[26:27], vcc
	s_xor_b64 s[26:27], exec, s[26:27]
; %bb.803:                              ;   in Loop: Header=BB4_137 Depth=3
	v_cmp_lt_u64_e32 vcc, s[88:89], v[0:1]
	v_add_u32_e32 v2, 15, v8
	v_cndmask_b32_e32 v2, v5, v2, vcc
	v_cndmask_b32_e64 v5, 0, 1, vcc
	v_lshrrev_b64 v[0:1], v5, v[0:1]
; %bb.804:                              ;   in Loop: Header=BB4_137 Depth=3
	s_andn2_saveexec_b64 s[26:27], s[26:27]
; %bb.805:                              ;   in Loop: Header=BB4_137 Depth=3
	v_bfe_u32 v2, v0, 23, 1
; %bb.806:                              ;   in Loop: Header=BB4_137 Depth=3
	s_or_b64 exec, exec, s[26:27]
	v_lshrrev_b64 v[0:1], 21, v[0:1]
	v_cmp_gt_i32_e32 vcc, 32, v2
	v_cndmask_b32_e32 v1, 0, v1, vcc
	v_cndmask_b32_e32 v0, 3, v0, vcc
	v_cmp_eq_u64_e64 s[26:27], 0, v[0:1]
	v_min_i32_e32 v1, 31, v2
	v_lshlrev_b32_e32 v1, 2, v1
	v_cmp_eq_u32_e32 vcc, 0, v2
	v_and_b32_e32 v1, 0xfc, v1
	v_and_or_b32 v0, v0, 3, v1
	s_and_b64 s[26:27], vcc, s[26:27]
	v_cndmask_b32_e64 v0, v0, 0, s[26:27]
	v_or_b32_e32 v0, v0, v3
	buffer_store_dword v0, off, s[0:3], s33 offset:304 ; 4-byte Folded Spill
.LBB4_807:                              ;   in Loop: Header=BB4_137 Depth=3
	s_or_b64 exec, exec, s[34:35]
                                        ; implicit-def: $vgpr3
.LBB4_808:                              ;   in Loop: Header=BB4_137 Depth=3
	s_andn2_saveexec_b64 s[26:27], s[30:31]
	s_cbranch_execz .LBB4_810
; %bb.809:                              ;   in Loop: Header=BB4_137 Depth=3
	v_or_b32_e32 v0, 0x7b, v3
	buffer_store_dword v0, off, s[0:3], s33 offset:304 ; 4-byte Folded Spill
.LBB4_810:                              ;   in Loop: Header=BB4_137 Depth=3
	s_or_b64 exec, exec, s[26:27]
                                        ; implicit-def: $vgpr2
                                        ; implicit-def: $vgpr0_vgpr1
.LBB4_811:                              ;   in Loop: Header=BB4_137 Depth=3
	s_andn2_saveexec_b64 s[26:27], s[94:95]
	s_cbranch_execz .LBB4_817
; %bb.812:                              ;   in Loop: Header=BB4_137 Depth=3
	v_cmp_ne_u64_e32 vcc, 0, v[0:1]
                                        ; implicit-def: $vgpr0
                                        ; kill: killed $vgpr0
	s_and_saveexec_b64 s[94:95], vcc
	s_xor_b64 s[94:95], exec, s[94:95]
	s_cbranch_execz .LBB4_814
; %bb.813:                              ;   in Loop: Header=BB4_137 Depth=3
	v_or_b32_sdwa v0, v2, s47 dst_sel:DWORD dst_unused:UNUSED_PAD src0_sel:BYTE_3 src1_sel:DWORD
	buffer_store_dword v0, off, s[0:3], s33 offset:304 ; 4-byte Folded Spill
                                        ; implicit-def: $vgpr2
.LBB4_814:                              ;   in Loop: Header=BB4_137 Depth=3
	s_andn2_saveexec_b64 s[94:95], s[94:95]
	s_cbranch_execz .LBB4_816
; %bb.815:                              ;   in Loop: Header=BB4_137 Depth=3
	v_cmp_lt_i32_e32 vcc, -1, v2
	v_bfrev_b32_e32 v0, 0.5
	v_cndmask_b32_e32 v0, v0, v52, vcc
	buffer_store_dword v0, off, s[0:3], s33 offset:304 ; 4-byte Folded Spill
.LBB4_816:                              ;   in Loop: Header=BB4_137 Depth=3
	s_or_b64 exec, exec, s[94:95]
.LBB4_817:                              ;   in Loop: Header=BB4_137 Depth=3
	s_or_b64 exec, exec, s[26:27]
	v_cmp_ne_u16_sdwa s[94:95], v10, v17 src0_sel:BYTE_0 src1_sel:DWORD
	v_mov_b32_e32 v0, 0
	s_and_saveexec_b64 s[26:27], s[94:95]
	s_cbranch_execz .LBB4_825
; %bb.818:                              ;   in Loop: Header=BB4_137 Depth=3
	v_cmp_ne_u16_sdwa vcc, sext(v10), s97 src0_sel:BYTE_0 src1_sel:DWORD
	v_bfrev_b32_e32 v0, 1
	s_and_saveexec_b64 s[94:95], vcc
	s_cbranch_execz .LBB4_824
; %bb.819:                              ;   in Loop: Header=BB4_137 Depth=3
	v_and_b32_e32 v0, 0x7c, v10
	v_and_b32_e32 v1, 3, v10
	v_cmp_ne_u32_e32 vcc, s85, v0
                                        ; implicit-def: $vgpr0
	s_and_saveexec_b64 s[30:31], vcc
	s_xor_b64 s[30:31], exec, s[30:31]
	s_cbranch_execz .LBB4_821
; %bb.820:                              ;   in Loop: Header=BB4_137 Depth=3
	v_ffbh_u32_e32 v2, v1
	v_min_u32_e32 v5, 32, v2
	v_subrev_u32_e32 v2, 29, v5
	v_lshlrev_b64 v[2:3], v2, v[10:11]
	v_bfe_u32 v0, v10, 2, 5
	v_and_b32_e32 v2, 3, v2
	v_cmp_eq_u32_e32 vcc, 0, v0
	v_sub_u32_e32 v3, 30, v5
	v_cndmask_b32_e32 v1, v1, v2, vcc
	v_lshlrev_b32_e32 v2, 24, v10
	v_cndmask_b32_e32 v0, v0, v3, vcc
	v_and_b32_e32 v2, 0x80000000, v2
	v_lshl_add_u32 v0, v0, 23, v2
	v_lshl_or_b32 v0, v1, 21, v0
	v_add_u32_e32 v0, 0x38000000, v0
                                        ; implicit-def: $vgpr1
.LBB4_821:                              ;   in Loop: Header=BB4_137 Depth=3
	s_andn2_saveexec_b64 s[30:31], s[30:31]
; %bb.822:                              ;   in Loop: Header=BB4_137 Depth=3
	v_mov_b32_e32 v0, -1
	v_cmp_gt_i16_sdwa vcc, sext(v10), v0 src0_sel:BYTE_0 src1_sel:DWORD
	v_mov_b32_e32 v0, 0xff800000
	v_mov_b32_e32 v2, 0x7f800000
	v_cndmask_b32_e32 v0, v0, v2, vcc
	v_cmp_eq_u32_e32 vcc, 0, v1
	v_mov_b32_e32 v1, 0x7f800001
	v_cndmask_b32_e32 v0, v1, v0, vcc
; %bb.823:                              ;   in Loop: Header=BB4_137 Depth=3
	s_or_b64 exec, exec, s[30:31]
.LBB4_824:                              ;   in Loop: Header=BB4_137 Depth=3
	s_or_b64 exec, exec, s[94:95]
.LBB4_825:                              ;   in Loop: Header=BB4_137 Depth=3
	s_or_b64 exec, exec, s[26:27]
	v_mul_f32_e32 v2, v21, v0
	v_and_b32_e32 v8, 0x7f800000, v2
	v_mov_b32_e32 v9, v17
	v_cmp_ne_u64_e32 vcc, s[76:77], v[8:9]
	v_and_b32_e32 v0, 0x7fffff, v2
	v_mov_b32_e32 v1, v17
                                        ; implicit-def: $vgpr3
                                        ; kill: killed $vgpr3
	s_and_saveexec_b64 s[26:27], vcc
	s_xor_b64 s[94:95], exec, s[26:27]
	s_cbranch_execz .LBB4_839
; %bb.826:                              ;   in Loop: Header=BB4_137 Depth=3
	v_and_b32_e32 v8, 0x7fffffff, v2
	v_mov_b32_e32 v9, v17
	v_cmp_gt_u64_e32 vcc, s[78:79], v[8:9]
	v_and_b32_sdwa v3, v2, s96 dst_sel:DWORD dst_unused:UNUSED_PAD src0_sel:BYTE_3 src1_sel:DWORD
                                        ; implicit-def: $vgpr5
                                        ; kill: killed $vgpr5
	s_and_saveexec_b64 s[26:27], vcc
	s_xor_b64 s[30:31], exec, s[26:27]
	s_cbranch_execz .LBB4_836
; %bb.827:                              ;   in Loop: Header=BB4_137 Depth=3
	v_mov_b32_e32 v5, 0
	v_cmp_ne_u32_e32 vcc, 0, v2
	buffer_store_dword v5, off, s[0:3], s33 offset:308 ; 4-byte Folded Spill
	s_and_saveexec_b64 s[34:35], vcc
	s_cbranch_execz .LBB4_835
; %bb.828:                              ;   in Loop: Header=BB4_137 Depth=3
	v_bfe_u32 v5, v2, 23, 8
	v_cmp_gt_u32_e64 s[26:27], s46, v5
	v_sub_u32_e32 v2, 0x71, v5
	v_cmp_eq_u32_e32 vcc, 0, v5
	v_cndmask_b32_e64 v2, 0, v2, s[26:27]
	v_mov_b32_e32 v8, 0x70
	v_cndmask_b32_e32 v8, v2, v8, vcc
	v_add_u32_e32 v2, 21, v8
	v_or_b32_e32 v9, 0x800000, v0
	v_lshlrev_b64 v[12:13], v2, -1
	v_cndmask_b32_e32 v0, v9, v0, vcc
	v_add_u32_e32 v2, 20, v8
	v_bfi_b32 v12, v12, 0, v0
	v_lshlrev_b64 v[14:15], v2, 1
	v_lshrrev_b64 v[0:1], v8, v[0:1]
	v_bfi_b32 v13, v13, 0, 0
	v_cmp_eq_u64_e64 s[26:27], v[12:13], v[14:15]
	v_mov_b32_e32 v2, v1
	v_mov_b32_e32 v1, v0
	s_and_saveexec_b64 s[36:37], s[26:27]
; %bb.829:                              ;   in Loop: Header=BB4_137 Depth=3
	v_bfe_u32 v1, v0, 21, 1
	v_add_co_u32_e64 v1, s[26:27], v0, v1
	v_add_co_u32_e64 v1, s[26:27], -1, v1
; %bb.830:                              ;   in Loop: Header=BB4_137 Depth=3
	s_or_b64 exec, exec, s[36:37]
	v_add_u32_e32 v2, 0xffffff81, v5
	v_mov_b32_e32 v5, 0xffffff82
	v_cndmask_b32_e32 v2, v2, v5, vcc
	v_lshrrev_b32_e32 v5, 23, v0
	v_add3_u32 v8, v8, v2, v5
	v_add_u32_e32 v5, 14, v8
	v_and_b32_e32 v1, 0x1fffff, v1
	v_add_u32_e32 v0, v1, v0
	v_mov_b32_e32 v1, v17
	v_cmp_ne_u32_e32 vcc, 0, v5
                                        ; implicit-def: $vgpr2
	s_and_saveexec_b64 s[26:27], vcc
	s_xor_b64 s[26:27], exec, s[26:27]
; %bb.831:                              ;   in Loop: Header=BB4_137 Depth=3
	v_cmp_lt_u64_e32 vcc, s[88:89], v[0:1]
	v_add_u32_e32 v2, 15, v8
	v_cndmask_b32_e32 v2, v5, v2, vcc
	v_cndmask_b32_e64 v5, 0, 1, vcc
	v_lshrrev_b64 v[0:1], v5, v[0:1]
; %bb.832:                              ;   in Loop: Header=BB4_137 Depth=3
	s_andn2_saveexec_b64 s[26:27], s[26:27]
; %bb.833:                              ;   in Loop: Header=BB4_137 Depth=3
	v_bfe_u32 v2, v0, 23, 1
; %bb.834:                              ;   in Loop: Header=BB4_137 Depth=3
	s_or_b64 exec, exec, s[26:27]
	v_lshrrev_b64 v[0:1], 21, v[0:1]
	v_cmp_gt_i32_e32 vcc, 32, v2
	v_cndmask_b32_e32 v1, 0, v1, vcc
	v_cndmask_b32_e32 v0, 3, v0, vcc
	v_cmp_eq_u64_e64 s[26:27], 0, v[0:1]
	v_min_i32_e32 v1, 31, v2
	v_lshlrev_b32_e32 v1, 2, v1
	v_cmp_eq_u32_e32 vcc, 0, v2
	v_and_b32_e32 v1, 0xfc, v1
	v_and_or_b32 v0, v0, 3, v1
	s_and_b64 s[26:27], vcc, s[26:27]
	v_cndmask_b32_e64 v0, v0, 0, s[26:27]
	v_or_b32_e32 v0, v0, v3
	buffer_store_dword v0, off, s[0:3], s33 offset:308 ; 4-byte Folded Spill
.LBB4_835:                              ;   in Loop: Header=BB4_137 Depth=3
	s_or_b64 exec, exec, s[34:35]
                                        ; implicit-def: $vgpr3
.LBB4_836:                              ;   in Loop: Header=BB4_137 Depth=3
	s_andn2_saveexec_b64 s[26:27], s[30:31]
	s_cbranch_execz .LBB4_838
; %bb.837:                              ;   in Loop: Header=BB4_137 Depth=3
	v_or_b32_e32 v0, 0x7b, v3
	buffer_store_dword v0, off, s[0:3], s33 offset:308 ; 4-byte Folded Spill
.LBB4_838:                              ;   in Loop: Header=BB4_137 Depth=3
	s_or_b64 exec, exec, s[26:27]
                                        ; implicit-def: $vgpr2
                                        ; implicit-def: $vgpr0_vgpr1
.LBB4_839:                              ;   in Loop: Header=BB4_137 Depth=3
	s_andn2_saveexec_b64 s[26:27], s[94:95]
	s_cbranch_execz .LBB4_845
; %bb.840:                              ;   in Loop: Header=BB4_137 Depth=3
	v_cmp_ne_u64_e32 vcc, 0, v[0:1]
                                        ; implicit-def: $vgpr0
                                        ; kill: killed $vgpr0
	s_and_saveexec_b64 s[94:95], vcc
	s_xor_b64 s[94:95], exec, s[94:95]
	s_cbranch_execz .LBB4_842
; %bb.841:                              ;   in Loop: Header=BB4_137 Depth=3
	v_or_b32_sdwa v0, v2, s47 dst_sel:DWORD dst_unused:UNUSED_PAD src0_sel:BYTE_3 src1_sel:DWORD
	buffer_store_dword v0, off, s[0:3], s33 offset:308 ; 4-byte Folded Spill
                                        ; implicit-def: $vgpr2
.LBB4_842:                              ;   in Loop: Header=BB4_137 Depth=3
	s_andn2_saveexec_b64 s[94:95], s[94:95]
	s_cbranch_execz .LBB4_844
; %bb.843:                              ;   in Loop: Header=BB4_137 Depth=3
	v_cmp_lt_i32_e32 vcc, -1, v2
	v_bfrev_b32_e32 v0, 0.5
	v_cndmask_b32_e32 v0, v0, v52, vcc
	buffer_store_dword v0, off, s[0:3], s33 offset:308 ; 4-byte Folded Spill
.LBB4_844:                              ;   in Loop: Header=BB4_137 Depth=3
	s_or_b64 exec, exec, s[94:95]
.LBB4_845:                              ;   in Loop: Header=BB4_137 Depth=3
	s_or_b64 exec, exec, s[26:27]
	v_lshrrev_b16_e32 v0, 8, v10
	v_cmp_ne_u16_e32 vcc, 0, v0
	v_mov_b32_e32 v1, 0
	s_and_saveexec_b64 s[26:27], vcc
	s_cbranch_execz .LBB4_853
; %bb.846:                              ;   in Loop: Header=BB4_137 Depth=3
	v_cmp_ne_u16_e32 vcc, s96, v0
	v_bfrev_b32_e32 v1, 1
	s_and_saveexec_b64 s[94:95], vcc
	s_cbranch_execz .LBB4_852
; %bb.847:                              ;   in Loop: Header=BB4_137 Depth=3
	v_and_b32_e32 v1, 0x7c, v0
	v_and_b32_e32 v2, 3, v0
	v_cmp_ne_u32_e32 vcc, s85, v1
                                        ; implicit-def: $vgpr1
	s_and_saveexec_b64 s[30:31], vcc
	s_xor_b64 s[30:31], exec, s[30:31]
	s_cbranch_execz .LBB4_849
; %bb.848:                              ;   in Loop: Header=BB4_137 Depth=3
	v_ffbh_u32_e32 v5, v2
	v_min_u32_e32 v5, 32, v5
	v_mov_b32_e32 v1, v17
	v_subrev_u32_e32 v8, 29, v5
	v_bfe_u32 v3, v0, 2, 5
	v_lshlrev_b64 v[0:1], v8, v[0:1]
	v_cmp_eq_u32_e32 vcc, 0, v3
	v_and_b32_e32 v0, 3, v0
	v_sub_u32_e32 v1, 30, v5
	v_cndmask_b32_e32 v0, v2, v0, vcc
	v_lshlrev_b32_e32 v2, 16, v10
	v_cndmask_b32_e32 v1, v3, v1, vcc
	v_and_b32_e32 v2, 0x80000000, v2
	v_lshl_add_u32 v1, v1, 23, v2
	v_lshl_or_b32 v0, v0, 21, v1
	v_add_u32_e32 v1, 0x38000000, v0
                                        ; implicit-def: $vgpr2
.LBB4_849:                              ;   in Loop: Header=BB4_137 Depth=3
	s_andn2_saveexec_b64 s[30:31], s[30:31]
; %bb.850:                              ;   in Loop: Header=BB4_137 Depth=3
	v_cmp_lt_i16_e32 vcc, -1, v10
	v_mov_b32_e32 v0, 0xff800000
	v_mov_b32_e32 v1, 0x7f800000
	v_cndmask_b32_e32 v0, v0, v1, vcc
	v_cmp_eq_u32_e32 vcc, 0, v2
	v_mov_b32_e32 v1, 0x7f800001
	v_cndmask_b32_e32 v1, v1, v0, vcc
; %bb.851:                              ;   in Loop: Header=BB4_137 Depth=3
	s_or_b64 exec, exec, s[30:31]
.LBB4_852:                              ;   in Loop: Header=BB4_137 Depth=3
	s_or_b64 exec, exec, s[94:95]
.LBB4_853:                              ;   in Loop: Header=BB4_137 Depth=3
	s_or_b64 exec, exec, s[26:27]
	v_mul_f32_e32 v2, v21, v1
	v_and_b32_e32 v8, 0x7f800000, v2
	v_mov_b32_e32 v9, v17
	v_cmp_ne_u64_e32 vcc, s[76:77], v[8:9]
	v_and_b32_e32 v0, 0x7fffff, v2
	v_mov_b32_e32 v1, v17
                                        ; implicit-def: $vgpr3
                                        ; kill: killed $vgpr3
	s_and_saveexec_b64 s[26:27], vcc
	s_xor_b64 s[94:95], exec, s[26:27]
	s_cbranch_execz .LBB4_867
; %bb.854:                              ;   in Loop: Header=BB4_137 Depth=3
	v_and_b32_e32 v8, 0x7fffffff, v2
	v_mov_b32_e32 v9, v17
	v_cmp_gt_u64_e32 vcc, s[78:79], v[8:9]
	v_and_b32_sdwa v3, v2, s96 dst_sel:DWORD dst_unused:UNUSED_PAD src0_sel:BYTE_3 src1_sel:DWORD
                                        ; implicit-def: $vgpr5
                                        ; kill: killed $vgpr5
	s_and_saveexec_b64 s[26:27], vcc
	s_xor_b64 s[30:31], exec, s[26:27]
	s_cbranch_execz .LBB4_864
; %bb.855:                              ;   in Loop: Header=BB4_137 Depth=3
	v_mov_b32_e32 v5, 0
	v_cmp_ne_u32_e32 vcc, 0, v2
	buffer_store_dword v5, off, s[0:3], s33 offset:312 ; 4-byte Folded Spill
	s_and_saveexec_b64 s[34:35], vcc
	s_cbranch_execz .LBB4_863
; %bb.856:                              ;   in Loop: Header=BB4_137 Depth=3
	v_bfe_u32 v5, v2, 23, 8
	v_cmp_gt_u32_e64 s[26:27], s46, v5
	v_sub_u32_e32 v2, 0x71, v5
	v_cmp_eq_u32_e32 vcc, 0, v5
	v_cndmask_b32_e64 v2, 0, v2, s[26:27]
	v_mov_b32_e32 v8, 0x70
	v_cndmask_b32_e32 v8, v2, v8, vcc
	v_add_u32_e32 v2, 21, v8
	v_or_b32_e32 v9, 0x800000, v0
	v_lshlrev_b64 v[12:13], v2, -1
	v_cndmask_b32_e32 v0, v9, v0, vcc
	v_add_u32_e32 v2, 20, v8
	v_bfi_b32 v12, v12, 0, v0
	v_lshlrev_b64 v[14:15], v2, 1
	v_lshrrev_b64 v[0:1], v8, v[0:1]
	v_bfi_b32 v13, v13, 0, 0
	v_cmp_eq_u64_e64 s[26:27], v[12:13], v[14:15]
	v_mov_b32_e32 v2, v1
	v_mov_b32_e32 v1, v0
	s_and_saveexec_b64 s[36:37], s[26:27]
; %bb.857:                              ;   in Loop: Header=BB4_137 Depth=3
	v_bfe_u32 v1, v0, 21, 1
	v_add_co_u32_e64 v1, s[26:27], v0, v1
	v_add_co_u32_e64 v1, s[26:27], -1, v1
; %bb.858:                              ;   in Loop: Header=BB4_137 Depth=3
	s_or_b64 exec, exec, s[36:37]
	v_add_u32_e32 v2, 0xffffff81, v5
	v_mov_b32_e32 v5, 0xffffff82
	v_cndmask_b32_e32 v2, v2, v5, vcc
	v_lshrrev_b32_e32 v5, 23, v0
	v_add3_u32 v8, v8, v2, v5
	v_add_u32_e32 v5, 14, v8
	v_and_b32_e32 v1, 0x1fffff, v1
	v_add_u32_e32 v0, v1, v0
	v_mov_b32_e32 v1, v17
	v_cmp_ne_u32_e32 vcc, 0, v5
                                        ; implicit-def: $vgpr2
	s_and_saveexec_b64 s[26:27], vcc
	s_xor_b64 s[26:27], exec, s[26:27]
; %bb.859:                              ;   in Loop: Header=BB4_137 Depth=3
	v_cmp_lt_u64_e32 vcc, s[88:89], v[0:1]
	v_add_u32_e32 v2, 15, v8
	v_cndmask_b32_e32 v2, v5, v2, vcc
	v_cndmask_b32_e64 v5, 0, 1, vcc
	v_lshrrev_b64 v[0:1], v5, v[0:1]
; %bb.860:                              ;   in Loop: Header=BB4_137 Depth=3
	s_andn2_saveexec_b64 s[26:27], s[26:27]
; %bb.861:                              ;   in Loop: Header=BB4_137 Depth=3
	v_bfe_u32 v2, v0, 23, 1
; %bb.862:                              ;   in Loop: Header=BB4_137 Depth=3
	s_or_b64 exec, exec, s[26:27]
	v_lshrrev_b64 v[0:1], 21, v[0:1]
	v_cmp_gt_i32_e32 vcc, 32, v2
	v_cndmask_b32_e32 v1, 0, v1, vcc
	v_cndmask_b32_e32 v0, 3, v0, vcc
	v_cmp_eq_u64_e64 s[26:27], 0, v[0:1]
	v_min_i32_e32 v1, 31, v2
	v_lshlrev_b32_e32 v1, 2, v1
	v_cmp_eq_u32_e32 vcc, 0, v2
	v_and_b32_e32 v1, 0xfc, v1
	v_and_or_b32 v0, v0, 3, v1
	s_and_b64 s[26:27], vcc, s[26:27]
	v_cndmask_b32_e64 v0, v0, 0, s[26:27]
	v_or_b32_e32 v0, v0, v3
	buffer_store_dword v0, off, s[0:3], s33 offset:312 ; 4-byte Folded Spill
.LBB4_863:                              ;   in Loop: Header=BB4_137 Depth=3
	s_or_b64 exec, exec, s[34:35]
                                        ; implicit-def: $vgpr3
.LBB4_864:                              ;   in Loop: Header=BB4_137 Depth=3
	s_andn2_saveexec_b64 s[26:27], s[30:31]
	s_cbranch_execz .LBB4_866
; %bb.865:                              ;   in Loop: Header=BB4_137 Depth=3
	v_or_b32_e32 v0, 0x7b, v3
	buffer_store_dword v0, off, s[0:3], s33 offset:312 ; 4-byte Folded Spill
.LBB4_866:                              ;   in Loop: Header=BB4_137 Depth=3
	s_or_b64 exec, exec, s[26:27]
                                        ; implicit-def: $vgpr2
                                        ; implicit-def: $vgpr0_vgpr1
.LBB4_867:                              ;   in Loop: Header=BB4_137 Depth=3
	s_andn2_saveexec_b64 s[26:27], s[94:95]
	s_cbranch_execz .LBB4_873
; %bb.868:                              ;   in Loop: Header=BB4_137 Depth=3
	v_cmp_ne_u64_e32 vcc, 0, v[0:1]
                                        ; implicit-def: $vgpr0
                                        ; kill: killed $vgpr0
	s_and_saveexec_b64 s[94:95], vcc
	s_xor_b64 s[94:95], exec, s[94:95]
	s_cbranch_execz .LBB4_870
; %bb.869:                              ;   in Loop: Header=BB4_137 Depth=3
	v_or_b32_sdwa v0, v2, s47 dst_sel:DWORD dst_unused:UNUSED_PAD src0_sel:BYTE_3 src1_sel:DWORD
	buffer_store_dword v0, off, s[0:3], s33 offset:312 ; 4-byte Folded Spill
                                        ; implicit-def: $vgpr2
.LBB4_870:                              ;   in Loop: Header=BB4_137 Depth=3
	s_andn2_saveexec_b64 s[94:95], s[94:95]
	s_cbranch_execz .LBB4_872
; %bb.871:                              ;   in Loop: Header=BB4_137 Depth=3
	v_cmp_lt_i32_e32 vcc, -1, v2
	v_bfrev_b32_e32 v0, 0.5
	v_cndmask_b32_e32 v0, v0, v52, vcc
	buffer_store_dword v0, off, s[0:3], s33 offset:312 ; 4-byte Folded Spill
.LBB4_872:                              ;   in Loop: Header=BB4_137 Depth=3
	s_or_b64 exec, exec, s[94:95]
.LBB4_873:                              ;   in Loop: Header=BB4_137 Depth=3
	s_or_b64 exec, exec, s[26:27]
	v_lshrrev_b32_e32 v0, 16, v10
	v_cmp_ne_u16_sdwa s[94:95], v0, v17 src0_sel:BYTE_0 src1_sel:DWORD
	v_mov_b32_e32 v1, 0
	s_and_saveexec_b64 s[26:27], s[94:95]
	s_cbranch_execz .LBB4_881
; %bb.874:                              ;   in Loop: Header=BB4_137 Depth=3
	v_cmp_ne_u16_sdwa vcc, v0, s96 src0_sel:BYTE_0 src1_sel:DWORD
	v_bfrev_b32_e32 v1, 1
	s_and_saveexec_b64 s[94:95], vcc
	s_cbranch_execz .LBB4_880
; %bb.875:                              ;   in Loop: Header=BB4_137 Depth=3
	v_and_b32_e32 v1, 0x7c0000, v10
	v_bfe_u32 v2, v10, 16, 2
	v_cmp_ne_u32_e32 vcc, s44, v1
                                        ; implicit-def: $vgpr1
	s_and_saveexec_b64 s[30:31], vcc
	s_xor_b64 s[30:31], exec, s[30:31]
	s_cbranch_execz .LBB4_877
; %bb.876:                              ;   in Loop: Header=BB4_137 Depth=3
	v_ffbh_u32_e32 v1, v2
	v_min_u32_e32 v5, 32, v1
	v_subrev_u32_e32 v1, 29, v5
	v_lshlrev_b64 v[0:1], v1, v[0:1]
	v_bfe_u32 v3, v10, 18, 5
	v_and_b32_e32 v0, 3, v0
	v_cmp_eq_u32_e32 vcc, 0, v3
	v_sub_u32_e32 v1, 30, v5
	v_cndmask_b32_e32 v0, v2, v0, vcc
	v_lshlrev_b32_e32 v2, 8, v10
	v_cndmask_b32_e32 v1, v3, v1, vcc
	v_and_b32_e32 v2, 0x80000000, v2
	v_lshl_add_u32 v1, v1, 23, v2
	v_lshl_or_b32 v0, v0, 21, v1
	v_add_u32_e32 v1, 0x38000000, v0
                                        ; implicit-def: $vgpr2
                                        ; implicit-def: $vgpr0
.LBB4_877:                              ;   in Loop: Header=BB4_137 Depth=3
	s_andn2_saveexec_b64 s[30:31], s[30:31]
; %bb.878:                              ;   in Loop: Header=BB4_137 Depth=3
	v_mov_b32_e32 v1, -1
	v_cmp_gt_i16_sdwa vcc, sext(v0), v1 src0_sel:BYTE_0 src1_sel:DWORD
	v_mov_b32_e32 v0, 0xff800000
	v_mov_b32_e32 v1, 0x7f800000
	v_cndmask_b32_e32 v0, v0, v1, vcc
	v_cmp_eq_u32_e32 vcc, 0, v2
	v_mov_b32_e32 v1, 0x7f800001
	v_cndmask_b32_e32 v1, v1, v0, vcc
; %bb.879:                              ;   in Loop: Header=BB4_137 Depth=3
	s_or_b64 exec, exec, s[30:31]
.LBB4_880:                              ;   in Loop: Header=BB4_137 Depth=3
	s_or_b64 exec, exec, s[94:95]
.LBB4_881:                              ;   in Loop: Header=BB4_137 Depth=3
	s_or_b64 exec, exec, s[26:27]
	v_mul_f32_e32 v2, v21, v1
	v_and_b32_e32 v8, 0x7f800000, v2
	v_mov_b32_e32 v9, v17
	v_cmp_ne_u64_e32 vcc, s[76:77], v[8:9]
	v_and_b32_e32 v0, 0x7fffff, v2
	v_mov_b32_e32 v1, v17
                                        ; implicit-def: $vgpr3
                                        ; kill: killed $vgpr3
	s_and_saveexec_b64 s[26:27], vcc
	s_xor_b64 s[94:95], exec, s[26:27]
	s_cbranch_execz .LBB4_895
; %bb.882:                              ;   in Loop: Header=BB4_137 Depth=3
	v_and_b32_e32 v8, 0x7fffffff, v2
	v_mov_b32_e32 v9, v17
	v_cmp_gt_u64_e32 vcc, s[78:79], v[8:9]
	v_and_b32_sdwa v3, v2, s96 dst_sel:DWORD dst_unused:UNUSED_PAD src0_sel:BYTE_3 src1_sel:DWORD
                                        ; implicit-def: $vgpr5
                                        ; kill: killed $vgpr5
	s_and_saveexec_b64 s[26:27], vcc
	s_xor_b64 s[30:31], exec, s[26:27]
	s_cbranch_execz .LBB4_892
; %bb.883:                              ;   in Loop: Header=BB4_137 Depth=3
	v_mov_b32_e32 v5, 0
	v_cmp_ne_u32_e32 vcc, 0, v2
	buffer_store_dword v5, off, s[0:3], s33 offset:316 ; 4-byte Folded Spill
	s_and_saveexec_b64 s[34:35], vcc
	s_cbranch_execz .LBB4_891
; %bb.884:                              ;   in Loop: Header=BB4_137 Depth=3
	v_bfe_u32 v5, v2, 23, 8
	v_cmp_gt_u32_e64 s[26:27], s46, v5
	v_sub_u32_e32 v2, 0x71, v5
	v_cmp_eq_u32_e32 vcc, 0, v5
	v_cndmask_b32_e64 v2, 0, v2, s[26:27]
	v_mov_b32_e32 v8, 0x70
	v_cndmask_b32_e32 v8, v2, v8, vcc
	v_add_u32_e32 v2, 21, v8
	v_or_b32_e32 v9, 0x800000, v0
	v_lshlrev_b64 v[12:13], v2, -1
	v_cndmask_b32_e32 v0, v9, v0, vcc
	v_add_u32_e32 v2, 20, v8
	v_bfi_b32 v12, v12, 0, v0
	v_lshlrev_b64 v[14:15], v2, 1
	v_lshrrev_b64 v[0:1], v8, v[0:1]
	v_bfi_b32 v13, v13, 0, 0
	v_cmp_eq_u64_e64 s[26:27], v[12:13], v[14:15]
	v_mov_b32_e32 v2, v1
	v_mov_b32_e32 v1, v0
	s_and_saveexec_b64 s[36:37], s[26:27]
; %bb.885:                              ;   in Loop: Header=BB4_137 Depth=3
	v_bfe_u32 v1, v0, 21, 1
	v_add_co_u32_e64 v1, s[26:27], v0, v1
	v_add_co_u32_e64 v1, s[26:27], -1, v1
; %bb.886:                              ;   in Loop: Header=BB4_137 Depth=3
	s_or_b64 exec, exec, s[36:37]
	v_add_u32_e32 v2, 0xffffff81, v5
	v_mov_b32_e32 v5, 0xffffff82
	v_cndmask_b32_e32 v2, v2, v5, vcc
	v_lshrrev_b32_e32 v5, 23, v0
	v_add3_u32 v8, v8, v2, v5
	v_add_u32_e32 v5, 14, v8
	v_and_b32_e32 v1, 0x1fffff, v1
	v_add_u32_e32 v0, v1, v0
	v_mov_b32_e32 v1, v17
	v_cmp_ne_u32_e32 vcc, 0, v5
                                        ; implicit-def: $vgpr2
	s_and_saveexec_b64 s[26:27], vcc
	s_xor_b64 s[26:27], exec, s[26:27]
; %bb.887:                              ;   in Loop: Header=BB4_137 Depth=3
	v_cmp_lt_u64_e32 vcc, s[88:89], v[0:1]
	v_add_u32_e32 v2, 15, v8
	v_cndmask_b32_e32 v2, v5, v2, vcc
	v_cndmask_b32_e64 v5, 0, 1, vcc
	v_lshrrev_b64 v[0:1], v5, v[0:1]
; %bb.888:                              ;   in Loop: Header=BB4_137 Depth=3
	s_andn2_saveexec_b64 s[26:27], s[26:27]
; %bb.889:                              ;   in Loop: Header=BB4_137 Depth=3
	v_bfe_u32 v2, v0, 23, 1
; %bb.890:                              ;   in Loop: Header=BB4_137 Depth=3
	s_or_b64 exec, exec, s[26:27]
	v_lshrrev_b64 v[0:1], 21, v[0:1]
	v_cmp_gt_i32_e32 vcc, 32, v2
	v_cndmask_b32_e32 v1, 0, v1, vcc
	v_cndmask_b32_e32 v0, 3, v0, vcc
	v_cmp_eq_u64_e64 s[26:27], 0, v[0:1]
	v_min_i32_e32 v1, 31, v2
	v_lshlrev_b32_e32 v1, 2, v1
	v_cmp_eq_u32_e32 vcc, 0, v2
	v_and_b32_e32 v1, 0xfc, v1
	v_and_or_b32 v0, v0, 3, v1
	s_and_b64 s[26:27], vcc, s[26:27]
	v_cndmask_b32_e64 v0, v0, 0, s[26:27]
	v_or_b32_e32 v0, v0, v3
	buffer_store_dword v0, off, s[0:3], s33 offset:316 ; 4-byte Folded Spill
.LBB4_891:                              ;   in Loop: Header=BB4_137 Depth=3
	s_or_b64 exec, exec, s[34:35]
                                        ; implicit-def: $vgpr3
.LBB4_892:                              ;   in Loop: Header=BB4_137 Depth=3
	s_andn2_saveexec_b64 s[26:27], s[30:31]
	s_cbranch_execz .LBB4_894
; %bb.893:                              ;   in Loop: Header=BB4_137 Depth=3
	v_or_b32_e32 v0, 0x7b, v3
	buffer_store_dword v0, off, s[0:3], s33 offset:316 ; 4-byte Folded Spill
.LBB4_894:                              ;   in Loop: Header=BB4_137 Depth=3
	s_or_b64 exec, exec, s[26:27]
                                        ; implicit-def: $vgpr2
                                        ; implicit-def: $vgpr0_vgpr1
.LBB4_895:                              ;   in Loop: Header=BB4_137 Depth=3
	s_andn2_saveexec_b64 s[26:27], s[94:95]
	s_cbranch_execz .LBB4_901
; %bb.896:                              ;   in Loop: Header=BB4_137 Depth=3
	v_cmp_ne_u64_e32 vcc, 0, v[0:1]
                                        ; implicit-def: $vgpr0
                                        ; kill: killed $vgpr0
	s_and_saveexec_b64 s[94:95], vcc
	s_xor_b64 s[94:95], exec, s[94:95]
	s_cbranch_execz .LBB4_898
; %bb.897:                              ;   in Loop: Header=BB4_137 Depth=3
	v_or_b32_sdwa v0, v2, s47 dst_sel:DWORD dst_unused:UNUSED_PAD src0_sel:BYTE_3 src1_sel:DWORD
	buffer_store_dword v0, off, s[0:3], s33 offset:316 ; 4-byte Folded Spill
                                        ; implicit-def: $vgpr2
.LBB4_898:                              ;   in Loop: Header=BB4_137 Depth=3
	s_andn2_saveexec_b64 s[94:95], s[94:95]
	s_cbranch_execz .LBB4_900
; %bb.899:                              ;   in Loop: Header=BB4_137 Depth=3
	v_cmp_lt_i32_e32 vcc, -1, v2
	v_bfrev_b32_e32 v0, 0.5
	v_cndmask_b32_e32 v0, v0, v52, vcc
	buffer_store_dword v0, off, s[0:3], s33 offset:316 ; 4-byte Folded Spill
.LBB4_900:                              ;   in Loop: Header=BB4_137 Depth=3
	s_or_b64 exec, exec, s[94:95]
.LBB4_901:                              ;   in Loop: Header=BB4_137 Depth=3
	s_or_b64 exec, exec, s[26:27]
	v_cmp_lt_u32_e32 vcc, s57, v10
	v_mov_b32_e32 v1, 0
	s_and_saveexec_b64 s[26:27], vcc
	s_cbranch_execz .LBB4_909
; %bb.902:                              ;   in Loop: Header=BB4_137 Depth=3
	v_lshrrev_b32_e32 v0, 24, v10
	v_cmp_ne_u32_e32 vcc, s96, v0
	v_bfrev_b32_e32 v1, 1
	s_and_saveexec_b64 s[94:95], vcc
	s_cbranch_execz .LBB4_908
; %bb.903:                              ;   in Loop: Header=BB4_137 Depth=3
	v_and_b32_e32 v1, 0x7c000000, v10
	v_bfe_u32 v2, v10, 24, 2
	v_cmp_ne_u32_e32 vcc, s45, v1
                                        ; implicit-def: $vgpr1
	s_and_saveexec_b64 s[30:31], vcc
	s_xor_b64 s[30:31], exec, s[30:31]
	s_cbranch_execz .LBB4_905
; %bb.904:                              ;   in Loop: Header=BB4_137 Depth=3
	v_ffbh_u32_e32 v1, v2
	v_min_u32_e32 v5, 32, v1
	v_subrev_u32_e32 v1, 29, v5
	v_lshlrev_b64 v[0:1], v1, v[0:1]
	v_bfe_u32 v3, v10, 26, 5
	v_sub_u32_e32 v1, 30, v5
	v_and_b32_e32 v0, 3, v0
	v_cmp_eq_u32_e32 vcc, 0, v3
	v_cndmask_b32_e32 v1, v3, v1, vcc
	v_cndmask_b32_e32 v0, v2, v0, vcc
	v_and_b32_e32 v2, 0x80000000, v10
	v_lshl_add_u32 v1, v1, 23, v2
	v_lshl_or_b32 v0, v0, 21, v1
	v_add_u32_e32 v1, 0x38000000, v0
                                        ; implicit-def: $vgpr2
.LBB4_905:                              ;   in Loop: Header=BB4_137 Depth=3
	s_andn2_saveexec_b64 s[30:31], s[30:31]
; %bb.906:                              ;   in Loop: Header=BB4_137 Depth=3
	v_cmp_lt_i32_e32 vcc, -1, v10
	v_mov_b32_e32 v0, 0xff800000
	v_mov_b32_e32 v1, 0x7f800000
	v_cndmask_b32_e32 v0, v0, v1, vcc
	v_cmp_eq_u32_e32 vcc, 0, v2
	v_mov_b32_e32 v1, 0x7f800001
	v_cndmask_b32_e32 v1, v1, v0, vcc
; %bb.907:                              ;   in Loop: Header=BB4_137 Depth=3
	s_or_b64 exec, exec, s[30:31]
.LBB4_908:                              ;   in Loop: Header=BB4_137 Depth=3
	s_or_b64 exec, exec, s[94:95]
.LBB4_909:                              ;   in Loop: Header=BB4_137 Depth=3
	s_or_b64 exec, exec, s[26:27]
	v_mul_f32_e32 v2, v21, v1
	v_and_b32_e32 v8, 0x7f800000, v2
	v_mov_b32_e32 v9, v17
	v_cmp_ne_u64_e32 vcc, s[76:77], v[8:9]
	v_and_b32_e32 v0, 0x7fffff, v2
	v_mov_b32_e32 v1, v17
                                        ; implicit-def: $vgpr3
                                        ; kill: killed $vgpr3
	s_and_saveexec_b64 s[26:27], vcc
	s_xor_b64 s[94:95], exec, s[26:27]
	s_cbranch_execz .LBB4_923
; %bb.910:                              ;   in Loop: Header=BB4_137 Depth=3
	v_and_b32_e32 v8, 0x7fffffff, v2
	v_mov_b32_e32 v9, v17
	v_cmp_gt_u64_e32 vcc, s[78:79], v[8:9]
	v_and_b32_sdwa v3, v2, s96 dst_sel:DWORD dst_unused:UNUSED_PAD src0_sel:BYTE_3 src1_sel:DWORD
                                        ; implicit-def: $vgpr5
                                        ; kill: killed $vgpr5
	s_and_saveexec_b64 s[26:27], vcc
	s_xor_b64 s[30:31], exec, s[26:27]
	s_cbranch_execz .LBB4_920
; %bb.911:                              ;   in Loop: Header=BB4_137 Depth=3
	v_mov_b32_e32 v5, 0
	v_cmp_ne_u32_e32 vcc, 0, v2
	buffer_store_dword v5, off, s[0:3], s33 offset:320 ; 4-byte Folded Spill
	s_and_saveexec_b64 s[34:35], vcc
	s_cbranch_execz .LBB4_919
; %bb.912:                              ;   in Loop: Header=BB4_137 Depth=3
	v_bfe_u32 v5, v2, 23, 8
	v_cmp_gt_u32_e64 s[26:27], s46, v5
	v_sub_u32_e32 v2, 0x71, v5
	v_cmp_eq_u32_e32 vcc, 0, v5
	v_cndmask_b32_e64 v2, 0, v2, s[26:27]
	v_mov_b32_e32 v8, 0x70
	v_cndmask_b32_e32 v8, v2, v8, vcc
	v_add_u32_e32 v2, 21, v8
	v_or_b32_e32 v9, 0x800000, v0
	v_lshlrev_b64 v[12:13], v2, -1
	v_cndmask_b32_e32 v0, v9, v0, vcc
	v_add_u32_e32 v2, 20, v8
	v_bfi_b32 v12, v12, 0, v0
	v_lshlrev_b64 v[14:15], v2, 1
	v_lshrrev_b64 v[0:1], v8, v[0:1]
	v_bfi_b32 v13, v13, 0, 0
	v_cmp_eq_u64_e64 s[26:27], v[12:13], v[14:15]
	v_mov_b32_e32 v2, v1
	v_mov_b32_e32 v1, v0
	s_and_saveexec_b64 s[36:37], s[26:27]
; %bb.913:                              ;   in Loop: Header=BB4_137 Depth=3
	v_bfe_u32 v1, v0, 21, 1
	v_add_co_u32_e64 v1, s[26:27], v0, v1
	v_add_co_u32_e64 v1, s[26:27], -1, v1
; %bb.914:                              ;   in Loop: Header=BB4_137 Depth=3
	s_or_b64 exec, exec, s[36:37]
	v_add_u32_e32 v2, 0xffffff81, v5
	v_mov_b32_e32 v5, 0xffffff82
	v_cndmask_b32_e32 v2, v2, v5, vcc
	v_lshrrev_b32_e32 v5, 23, v0
	v_add3_u32 v8, v8, v2, v5
	v_add_u32_e32 v5, 14, v8
	v_and_b32_e32 v1, 0x1fffff, v1
	v_add_u32_e32 v0, v1, v0
	v_mov_b32_e32 v1, v17
	v_cmp_ne_u32_e32 vcc, 0, v5
                                        ; implicit-def: $vgpr2
	s_and_saveexec_b64 s[26:27], vcc
	s_xor_b64 s[26:27], exec, s[26:27]
; %bb.915:                              ;   in Loop: Header=BB4_137 Depth=3
	v_cmp_lt_u64_e32 vcc, s[88:89], v[0:1]
	v_add_u32_e32 v2, 15, v8
	v_cndmask_b32_e32 v2, v5, v2, vcc
	v_cndmask_b32_e64 v5, 0, 1, vcc
	v_lshrrev_b64 v[0:1], v5, v[0:1]
; %bb.916:                              ;   in Loop: Header=BB4_137 Depth=3
	s_andn2_saveexec_b64 s[26:27], s[26:27]
; %bb.917:                              ;   in Loop: Header=BB4_137 Depth=3
	v_bfe_u32 v2, v0, 23, 1
; %bb.918:                              ;   in Loop: Header=BB4_137 Depth=3
	s_or_b64 exec, exec, s[26:27]
	v_lshrrev_b64 v[0:1], 21, v[0:1]
	v_cmp_gt_i32_e32 vcc, 32, v2
	v_cndmask_b32_e32 v1, 0, v1, vcc
	v_cndmask_b32_e32 v0, 3, v0, vcc
	v_cmp_eq_u64_e64 s[26:27], 0, v[0:1]
	v_min_i32_e32 v1, 31, v2
	v_lshlrev_b32_e32 v1, 2, v1
	v_cmp_eq_u32_e32 vcc, 0, v2
	v_and_b32_e32 v1, 0xfc, v1
	v_and_or_b32 v0, v0, 3, v1
	s_and_b64 s[26:27], vcc, s[26:27]
	v_cndmask_b32_e64 v0, v0, 0, s[26:27]
	v_or_b32_e32 v0, v0, v3
	buffer_store_dword v0, off, s[0:3], s33 offset:320 ; 4-byte Folded Spill
.LBB4_919:                              ;   in Loop: Header=BB4_137 Depth=3
	s_or_b64 exec, exec, s[34:35]
                                        ; implicit-def: $vgpr3
.LBB4_920:                              ;   in Loop: Header=BB4_137 Depth=3
	s_andn2_saveexec_b64 s[26:27], s[30:31]
	s_cbranch_execz .LBB4_922
; %bb.921:                              ;   in Loop: Header=BB4_137 Depth=3
	v_or_b32_e32 v0, 0x7b, v3
	buffer_store_dword v0, off, s[0:3], s33 offset:320 ; 4-byte Folded Spill
.LBB4_922:                              ;   in Loop: Header=BB4_137 Depth=3
	s_or_b64 exec, exec, s[26:27]
                                        ; implicit-def: $vgpr2
                                        ; implicit-def: $vgpr0_vgpr1
.LBB4_923:                              ;   in Loop: Header=BB4_137 Depth=3
	s_andn2_saveexec_b64 s[26:27], s[94:95]
	s_cbranch_execz .LBB4_929
; %bb.924:                              ;   in Loop: Header=BB4_137 Depth=3
	v_cmp_ne_u64_e32 vcc, 0, v[0:1]
                                        ; implicit-def: $vgpr0
                                        ; kill: killed $vgpr0
	s_and_saveexec_b64 s[94:95], vcc
	s_xor_b64 s[94:95], exec, s[94:95]
	s_cbranch_execz .LBB4_926
; %bb.925:                              ;   in Loop: Header=BB4_137 Depth=3
	v_or_b32_sdwa v0, v2, s47 dst_sel:DWORD dst_unused:UNUSED_PAD src0_sel:BYTE_3 src1_sel:DWORD
	buffer_store_dword v0, off, s[0:3], s33 offset:320 ; 4-byte Folded Spill
                                        ; implicit-def: $vgpr2
.LBB4_926:                              ;   in Loop: Header=BB4_137 Depth=3
	s_andn2_saveexec_b64 s[94:95], s[94:95]
	s_cbranch_execz .LBB4_928
; %bb.927:                              ;   in Loop: Header=BB4_137 Depth=3
	v_cmp_lt_i32_e32 vcc, -1, v2
	v_bfrev_b32_e32 v0, 0.5
	v_cndmask_b32_e32 v0, v0, v52, vcc
	buffer_store_dword v0, off, s[0:3], s33 offset:320 ; 4-byte Folded Spill
.LBB4_928:                              ;   in Loop: Header=BB4_137 Depth=3
	s_or_b64 exec, exec, s[94:95]
.LBB4_929:                              ;   in Loop: Header=BB4_137 Depth=3
	s_or_b64 exec, exec, s[26:27]
	v_mov_b32_e32 v0, v11
	v_mov_b32_e32 v1, v17
	v_cmp_ne_u16_sdwa s[94:95], v11, v17 src0_sel:BYTE_0 src1_sel:DWORD
	v_mov_b32_e32 v2, 0
	s_and_saveexec_b64 s[26:27], s[94:95]
	s_cbranch_execz .LBB4_937
; %bb.930:                              ;   in Loop: Header=BB4_137 Depth=3
	v_cmp_ne_u16_sdwa vcc, v11, s96 src0_sel:BYTE_0 src1_sel:DWORD
	v_bfrev_b32_e32 v2, 1
	s_and_saveexec_b64 s[94:95], vcc
	s_cbranch_execz .LBB4_936
; %bb.931:                              ;   in Loop: Header=BB4_137 Depth=3
	v_and_b32_e32 v2, 0x7c, v11
	v_and_b32_e32 v3, 3, v11
	v_cmp_ne_u32_e32 vcc, s85, v2
                                        ; implicit-def: $vgpr2
	s_and_saveexec_b64 s[30:31], vcc
	s_xor_b64 s[30:31], exec, s[30:31]
	s_cbranch_execz .LBB4_933
; %bb.932:                              ;   in Loop: Header=BB4_137 Depth=3
	v_ffbh_u32_e32 v2, v3
	v_min_u32_e32 v8, 32, v2
	v_subrev_u32_e32 v2, 29, v8
	v_lshlrev_b64 v[1:2], v2, v[0:1]
	v_bfe_u32 v5, v11, 2, 5
	v_and_b32_e32 v1, 3, v1
	v_cmp_eq_u32_e32 vcc, 0, v5
	v_sub_u32_e32 v2, 30, v8
	v_cndmask_b32_e32 v1, v3, v1, vcc
	v_lshlrev_b32_e32 v3, 24, v11
	v_cndmask_b32_e32 v2, v5, v2, vcc
	v_and_b32_e32 v3, 0x80000000, v3
	v_lshl_add_u32 v2, v2, 23, v3
	v_lshl_or_b32 v1, v1, 21, v2
	v_add_u32_e32 v2, 0x38000000, v1
                                        ; implicit-def: $vgpr3
.LBB4_933:                              ;   in Loop: Header=BB4_137 Depth=3
	s_andn2_saveexec_b64 s[30:31], s[30:31]
; %bb.934:                              ;   in Loop: Header=BB4_137 Depth=3
	v_mov_b32_e32 v1, -1
	v_cmp_gt_i16_sdwa vcc, sext(v11), v1 src0_sel:BYTE_0 src1_sel:DWORD
	v_mov_b32_e32 v1, 0xff800000
	v_mov_b32_e32 v2, 0x7f800000
	v_cndmask_b32_e32 v1, v1, v2, vcc
	v_cmp_eq_u32_e32 vcc, 0, v3
	v_mov_b32_e32 v2, 0x7f800001
	v_cndmask_b32_e32 v2, v2, v1, vcc
; %bb.935:                              ;   in Loop: Header=BB4_137 Depth=3
	s_or_b64 exec, exec, s[30:31]
.LBB4_936:                              ;   in Loop: Header=BB4_137 Depth=3
	s_or_b64 exec, exec, s[94:95]
.LBB4_937:                              ;   in Loop: Header=BB4_137 Depth=3
	s_or_b64 exec, exec, s[26:27]
	v_mul_f32_e32 v3, v21, v2
	v_and_b32_e32 v8, 0x7f800000, v3
	v_mov_b32_e32 v9, v17
	v_cmp_ne_u64_e32 vcc, s[76:77], v[8:9]
	v_and_b32_e32 v1, 0x7fffff, v3
	v_mov_b32_e32 v2, v17
                                        ; implicit-def: $vgpr5
                                        ; kill: killed $vgpr5
	s_and_saveexec_b64 s[26:27], vcc
	s_xor_b64 s[94:95], exec, s[26:27]
	s_cbranch_execz .LBB4_951
; %bb.938:                              ;   in Loop: Header=BB4_137 Depth=3
	v_and_b32_e32 v8, 0x7fffffff, v3
	v_mov_b32_e32 v9, v17
	v_cmp_gt_u64_e32 vcc, s[78:79], v[8:9]
	v_and_b32_sdwa v5, v3, s96 dst_sel:DWORD dst_unused:UNUSED_PAD src0_sel:BYTE_3 src1_sel:DWORD
                                        ; implicit-def: $vgpr8
                                        ; kill: killed $vgpr8
	s_and_saveexec_b64 s[26:27], vcc
	s_xor_b64 s[30:31], exec, s[26:27]
	s_cbranch_execz .LBB4_948
; %bb.939:                              ;   in Loop: Header=BB4_137 Depth=3
	v_mov_b32_e32 v8, 0
	v_cmp_ne_u32_e32 vcc, 0, v3
	buffer_store_dword v8, off, s[0:3], s33 offset:324 ; 4-byte Folded Spill
	s_and_saveexec_b64 s[34:35], vcc
	s_cbranch_execz .LBB4_947
; %bb.940:                              ;   in Loop: Header=BB4_137 Depth=3
	v_bfe_u32 v8, v3, 23, 8
	v_cmp_gt_u32_e64 s[26:27], s46, v8
	v_sub_u32_e32 v3, 0x71, v8
	v_cmp_eq_u32_e32 vcc, 0, v8
	v_cndmask_b32_e64 v3, 0, v3, s[26:27]
	v_mov_b32_e32 v9, 0x70
	v_cndmask_b32_e32 v9, v3, v9, vcc
	v_or_b32_e32 v12, 0x800000, v1
	v_add_u32_e32 v3, 21, v9
	v_cndmask_b32_e32 v1, v12, v1, vcc
	v_lshlrev_b64 v[12:13], v3, -1
	v_add_u32_e32 v3, 20, v9
	v_bfi_b32 v12, v12, 0, v1
	v_lshlrev_b64 v[14:15], v3, 1
	v_lshrrev_b64 v[1:2], v9, v[1:2]
	v_bfi_b32 v13, v13, 0, 0
	v_cmp_eq_u64_e64 s[26:27], v[12:13], v[14:15]
	v_mov_b32_e32 v3, v2
	v_mov_b32_e32 v2, v1
	s_and_saveexec_b64 s[36:37], s[26:27]
; %bb.941:                              ;   in Loop: Header=BB4_137 Depth=3
	v_bfe_u32 v2, v1, 21, 1
	v_add_co_u32_e64 v2, s[26:27], v1, v2
	v_add_co_u32_e64 v2, s[26:27], -1, v2
; %bb.942:                              ;   in Loop: Header=BB4_137 Depth=3
	s_or_b64 exec, exec, s[36:37]
	v_add_u32_e32 v3, 0xffffff81, v8
	v_mov_b32_e32 v8, 0xffffff82
	v_cndmask_b32_e32 v3, v3, v8, vcc
	v_lshrrev_b32_e32 v8, 23, v1
	v_add3_u32 v9, v9, v3, v8
	v_add_u32_e32 v8, 14, v9
	v_and_b32_e32 v2, 0x1fffff, v2
	v_add_u32_e32 v1, v2, v1
	v_mov_b32_e32 v2, v17
	v_cmp_ne_u32_e32 vcc, 0, v8
                                        ; implicit-def: $vgpr3
	s_and_saveexec_b64 s[26:27], vcc
	s_xor_b64 s[26:27], exec, s[26:27]
; %bb.943:                              ;   in Loop: Header=BB4_137 Depth=3
	v_cmp_lt_u64_e32 vcc, s[88:89], v[1:2]
	v_add_u32_e32 v3, 15, v9
	v_cndmask_b32_e32 v3, v8, v3, vcc
	v_cndmask_b32_e64 v8, 0, 1, vcc
	v_lshrrev_b64 v[1:2], v8, v[1:2]
; %bb.944:                              ;   in Loop: Header=BB4_137 Depth=3
	s_andn2_saveexec_b64 s[26:27], s[26:27]
; %bb.945:                              ;   in Loop: Header=BB4_137 Depth=3
	v_bfe_u32 v3, v1, 23, 1
; %bb.946:                              ;   in Loop: Header=BB4_137 Depth=3
	s_or_b64 exec, exec, s[26:27]
	v_lshrrev_b64 v[1:2], 21, v[1:2]
	v_cmp_gt_i32_e32 vcc, 32, v3
	v_cndmask_b32_e32 v2, 0, v2, vcc
	v_cndmask_b32_e32 v1, 3, v1, vcc
	v_cmp_eq_u64_e64 s[26:27], 0, v[1:2]
	v_min_i32_e32 v2, 31, v3
	v_lshlrev_b32_e32 v2, 2, v2
	v_cmp_eq_u32_e32 vcc, 0, v3
	v_and_b32_e32 v2, 0xfc, v2
	v_and_or_b32 v1, v1, 3, v2
	s_and_b64 s[26:27], vcc, s[26:27]
	v_cndmask_b32_e64 v1, v1, 0, s[26:27]
	v_or_b32_e32 v1, v1, v5
	buffer_store_dword v1, off, s[0:3], s33 offset:324 ; 4-byte Folded Spill
.LBB4_947:                              ;   in Loop: Header=BB4_137 Depth=3
	s_or_b64 exec, exec, s[34:35]
                                        ; implicit-def: $vgpr5
.LBB4_948:                              ;   in Loop: Header=BB4_137 Depth=3
	s_andn2_saveexec_b64 s[26:27], s[30:31]
	s_cbranch_execz .LBB4_950
; %bb.949:                              ;   in Loop: Header=BB4_137 Depth=3
	v_or_b32_e32 v1, 0x7b, v5
	buffer_store_dword v1, off, s[0:3], s33 offset:324 ; 4-byte Folded Spill
.LBB4_950:                              ;   in Loop: Header=BB4_137 Depth=3
	s_or_b64 exec, exec, s[26:27]
                                        ; implicit-def: $vgpr3
                                        ; implicit-def: $vgpr1_vgpr2
.LBB4_951:                              ;   in Loop: Header=BB4_137 Depth=3
	s_andn2_saveexec_b64 s[26:27], s[94:95]
	s_cbranch_execz .LBB4_957
; %bb.952:                              ;   in Loop: Header=BB4_137 Depth=3
	v_cmp_ne_u64_e32 vcc, 0, v[1:2]
                                        ; implicit-def: $vgpr1
                                        ; kill: killed $vgpr1
	s_and_saveexec_b64 s[94:95], vcc
	s_xor_b64 s[94:95], exec, s[94:95]
	s_cbranch_execz .LBB4_954
; %bb.953:                              ;   in Loop: Header=BB4_137 Depth=3
	v_or_b32_sdwa v1, v3, s47 dst_sel:DWORD dst_unused:UNUSED_PAD src0_sel:BYTE_3 src1_sel:DWORD
	buffer_store_dword v1, off, s[0:3], s33 offset:324 ; 4-byte Folded Spill
                                        ; implicit-def: $vgpr3
.LBB4_954:                              ;   in Loop: Header=BB4_137 Depth=3
	s_andn2_saveexec_b64 s[94:95], s[94:95]
	s_cbranch_execz .LBB4_956
; %bb.955:                              ;   in Loop: Header=BB4_137 Depth=3
	v_cmp_lt_i32_e32 vcc, -1, v3
	v_bfrev_b32_e32 v1, 0.5
	v_cndmask_b32_e32 v1, v1, v52, vcc
	buffer_store_dword v1, off, s[0:3], s33 offset:324 ; 4-byte Folded Spill
.LBB4_956:                              ;   in Loop: Header=BB4_137 Depth=3
	s_or_b64 exec, exec, s[94:95]
.LBB4_957:                              ;   in Loop: Header=BB4_137 Depth=3
	s_or_b64 exec, exec, s[26:27]
	v_lshrrev_b16_e32 v1, 8, v0
	v_cmp_ne_u16_e32 vcc, 0, v1
	v_mov_b32_e32 v2, 0
	s_and_saveexec_b64 s[26:27], vcc
	s_cbranch_execz .LBB4_965
; %bb.958:                              ;   in Loop: Header=BB4_137 Depth=3
	v_cmp_ne_u16_e32 vcc, s96, v1
	v_bfrev_b32_e32 v2, 1
	s_and_saveexec_b64 s[94:95], vcc
	s_cbranch_execz .LBB4_964
; %bb.959:                              ;   in Loop: Header=BB4_137 Depth=3
	v_and_b32_e32 v2, 0x7c, v1
	v_and_b32_e32 v3, 3, v1
	v_cmp_ne_u32_e32 vcc, s85, v2
                                        ; implicit-def: $vgpr2
	s_and_saveexec_b64 s[30:31], vcc
	s_xor_b64 s[30:31], exec, s[30:31]
	s_cbranch_execz .LBB4_961
; %bb.960:                              ;   in Loop: Header=BB4_137 Depth=3
	v_ffbh_u32_e32 v8, v3
	v_min_u32_e32 v8, 32, v8
	v_mov_b32_e32 v2, v17
	v_subrev_u32_e32 v9, 29, v8
	v_bfe_u32 v5, v1, 2, 5
	v_lshlrev_b64 v[1:2], v9, v[1:2]
	v_sub_u32_e32 v2, 30, v8
	v_cmp_eq_u32_e32 vcc, 0, v5
	v_lshlrev_b32_e32 v0, 16, v0
	v_and_b32_e32 v1, 3, v1
	v_cndmask_b32_e32 v2, v5, v2, vcc
	v_and_b32_e32 v0, 0x80000000, v0
	v_cndmask_b32_e32 v1, v3, v1, vcc
	v_lshl_add_u32 v0, v2, 23, v0
	v_lshl_or_b32 v0, v1, 21, v0
	v_add_u32_e32 v2, 0x38000000, v0
                                        ; implicit-def: $vgpr3
                                        ; implicit-def: $vgpr0_vgpr1
.LBB4_961:                              ;   in Loop: Header=BB4_137 Depth=3
	s_andn2_saveexec_b64 s[30:31], s[30:31]
; %bb.962:                              ;   in Loop: Header=BB4_137 Depth=3
	v_cmp_lt_i16_e32 vcc, -1, v0
	v_mov_b32_e32 v0, 0xff800000
	v_mov_b32_e32 v1, 0x7f800000
	v_cndmask_b32_e32 v0, v0, v1, vcc
	v_cmp_eq_u32_e32 vcc, 0, v3
	v_mov_b32_e32 v1, 0x7f800001
	v_cndmask_b32_e32 v2, v1, v0, vcc
; %bb.963:                              ;   in Loop: Header=BB4_137 Depth=3
	s_or_b64 exec, exec, s[30:31]
.LBB4_964:                              ;   in Loop: Header=BB4_137 Depth=3
	s_or_b64 exec, exec, s[94:95]
.LBB4_965:                              ;   in Loop: Header=BB4_137 Depth=3
	s_or_b64 exec, exec, s[26:27]
	v_mul_f32_e32 v2, v21, v2
	v_and_b32_e32 v8, 0x7f800000, v2
	v_mov_b32_e32 v9, v17
	v_cmp_ne_u64_e32 vcc, s[76:77], v[8:9]
	v_and_b32_e32 v0, 0x7fffff, v2
	v_mov_b32_e32 v1, v17
                                        ; implicit-def: $vgpr3
                                        ; kill: killed $vgpr3
	s_and_saveexec_b64 s[26:27], vcc
	s_xor_b64 s[94:95], exec, s[26:27]
	s_cbranch_execz .LBB4_979
; %bb.966:                              ;   in Loop: Header=BB4_137 Depth=3
	v_and_b32_e32 v8, 0x7fffffff, v2
	v_mov_b32_e32 v9, v17
	v_cmp_gt_u64_e32 vcc, s[78:79], v[8:9]
	v_and_b32_sdwa v3, v2, s96 dst_sel:DWORD dst_unused:UNUSED_PAD src0_sel:BYTE_3 src1_sel:DWORD
                                        ; implicit-def: $vgpr5
                                        ; kill: killed $vgpr5
	s_and_saveexec_b64 s[26:27], vcc
	s_xor_b64 s[30:31], exec, s[26:27]
	s_cbranch_execz .LBB4_976
; %bb.967:                              ;   in Loop: Header=BB4_137 Depth=3
	v_mov_b32_e32 v5, 0
	v_cmp_ne_u32_e32 vcc, 0, v2
	buffer_store_dword v5, off, s[0:3], s33 offset:328 ; 4-byte Folded Spill
	s_and_saveexec_b64 s[34:35], vcc
	s_cbranch_execz .LBB4_975
; %bb.968:                              ;   in Loop: Header=BB4_137 Depth=3
	v_bfe_u32 v5, v2, 23, 8
	v_cmp_gt_u32_e64 s[26:27], s46, v5
	v_sub_u32_e32 v2, 0x71, v5
	v_cmp_eq_u32_e32 vcc, 0, v5
	v_cndmask_b32_e64 v2, 0, v2, s[26:27]
	v_mov_b32_e32 v8, 0x70
	v_cndmask_b32_e32 v8, v2, v8, vcc
	v_add_u32_e32 v2, 21, v8
	v_or_b32_e32 v9, 0x800000, v0
	v_lshlrev_b64 v[12:13], v2, -1
	v_cndmask_b32_e32 v0, v9, v0, vcc
	v_add_u32_e32 v2, 20, v8
	v_bfi_b32 v12, v12, 0, v0
	v_lshlrev_b64 v[14:15], v2, 1
	v_lshrrev_b64 v[0:1], v8, v[0:1]
	v_bfi_b32 v13, v13, 0, 0
	v_cmp_eq_u64_e64 s[26:27], v[12:13], v[14:15]
	v_mov_b32_e32 v2, v1
	v_mov_b32_e32 v1, v0
	s_and_saveexec_b64 s[36:37], s[26:27]
; %bb.969:                              ;   in Loop: Header=BB4_137 Depth=3
	v_bfe_u32 v1, v0, 21, 1
	v_add_co_u32_e64 v1, s[26:27], v0, v1
	v_add_co_u32_e64 v1, s[26:27], -1, v1
; %bb.970:                              ;   in Loop: Header=BB4_137 Depth=3
	s_or_b64 exec, exec, s[36:37]
	v_add_u32_e32 v2, 0xffffff81, v5
	v_mov_b32_e32 v5, 0xffffff82
	v_cndmask_b32_e32 v2, v2, v5, vcc
	v_lshrrev_b32_e32 v5, 23, v0
	v_add3_u32 v8, v8, v2, v5
	v_add_u32_e32 v5, 14, v8
	v_and_b32_e32 v1, 0x1fffff, v1
	v_add_u32_e32 v0, v1, v0
	v_mov_b32_e32 v1, v17
	v_cmp_ne_u32_e32 vcc, 0, v5
                                        ; implicit-def: $vgpr2
	s_and_saveexec_b64 s[26:27], vcc
	s_xor_b64 s[26:27], exec, s[26:27]
; %bb.971:                              ;   in Loop: Header=BB4_137 Depth=3
	v_cmp_lt_u64_e32 vcc, s[88:89], v[0:1]
	v_add_u32_e32 v2, 15, v8
	v_cndmask_b32_e32 v2, v5, v2, vcc
	v_cndmask_b32_e64 v5, 0, 1, vcc
	v_lshrrev_b64 v[0:1], v5, v[0:1]
; %bb.972:                              ;   in Loop: Header=BB4_137 Depth=3
	s_andn2_saveexec_b64 s[26:27], s[26:27]
; %bb.973:                              ;   in Loop: Header=BB4_137 Depth=3
	v_bfe_u32 v2, v0, 23, 1
; %bb.974:                              ;   in Loop: Header=BB4_137 Depth=3
	s_or_b64 exec, exec, s[26:27]
	v_lshrrev_b64 v[0:1], 21, v[0:1]
	v_cmp_gt_i32_e32 vcc, 32, v2
	v_cndmask_b32_e32 v1, 0, v1, vcc
	v_cndmask_b32_e32 v0, 3, v0, vcc
	v_cmp_eq_u64_e64 s[26:27], 0, v[0:1]
	v_min_i32_e32 v1, 31, v2
	v_lshlrev_b32_e32 v1, 2, v1
	v_cmp_eq_u32_e32 vcc, 0, v2
	v_and_b32_e32 v1, 0xfc, v1
	v_and_or_b32 v0, v0, 3, v1
	s_and_b64 s[26:27], vcc, s[26:27]
	v_cndmask_b32_e64 v0, v0, 0, s[26:27]
	v_or_b32_e32 v0, v0, v3
	buffer_store_dword v0, off, s[0:3], s33 offset:328 ; 4-byte Folded Spill
.LBB4_975:                              ;   in Loop: Header=BB4_137 Depth=3
	s_or_b64 exec, exec, s[34:35]
                                        ; implicit-def: $vgpr3
.LBB4_976:                              ;   in Loop: Header=BB4_137 Depth=3
	s_andn2_saveexec_b64 s[26:27], s[30:31]
	s_cbranch_execz .LBB4_978
; %bb.977:                              ;   in Loop: Header=BB4_137 Depth=3
	v_or_b32_e32 v0, 0x7b, v3
	buffer_store_dword v0, off, s[0:3], s33 offset:328 ; 4-byte Folded Spill
.LBB4_978:                              ;   in Loop: Header=BB4_137 Depth=3
	s_or_b64 exec, exec, s[26:27]
                                        ; implicit-def: $vgpr2
                                        ; implicit-def: $vgpr0_vgpr1
.LBB4_979:                              ;   in Loop: Header=BB4_137 Depth=3
	s_andn2_saveexec_b64 s[26:27], s[94:95]
	s_cbranch_execz .LBB4_985
; %bb.980:                              ;   in Loop: Header=BB4_137 Depth=3
	v_cmp_ne_u64_e32 vcc, 0, v[0:1]
                                        ; implicit-def: $vgpr0
                                        ; kill: killed $vgpr0
	s_and_saveexec_b64 s[94:95], vcc
	s_xor_b64 s[94:95], exec, s[94:95]
	s_cbranch_execz .LBB4_982
; %bb.981:                              ;   in Loop: Header=BB4_137 Depth=3
	v_or_b32_sdwa v0, v2, s47 dst_sel:DWORD dst_unused:UNUSED_PAD src0_sel:BYTE_3 src1_sel:DWORD
	buffer_store_dword v0, off, s[0:3], s33 offset:328 ; 4-byte Folded Spill
                                        ; implicit-def: $vgpr2
.LBB4_982:                              ;   in Loop: Header=BB4_137 Depth=3
	s_andn2_saveexec_b64 s[94:95], s[94:95]
	s_cbranch_execz .LBB4_984
; %bb.983:                              ;   in Loop: Header=BB4_137 Depth=3
	v_cmp_lt_i32_e32 vcc, -1, v2
	v_bfrev_b32_e32 v0, 0.5
	v_cndmask_b32_e32 v0, v0, v52, vcc
	buffer_store_dword v0, off, s[0:3], s33 offset:328 ; 4-byte Folded Spill
.LBB4_984:                              ;   in Loop: Header=BB4_137 Depth=3
	s_or_b64 exec, exec, s[94:95]
.LBB4_985:                              ;   in Loop: Header=BB4_137 Depth=3
	s_or_b64 exec, exec, s[26:27]
	v_lshrrev_b32_e32 v0, 16, v11
	v_cmp_ne_u16_sdwa s[94:95], v0, v17 src0_sel:BYTE_0 src1_sel:DWORD
	v_mov_b32_e32 v1, 0
	s_and_saveexec_b64 s[26:27], s[94:95]
	s_cbranch_execz .LBB4_993
; %bb.986:                              ;   in Loop: Header=BB4_137 Depth=3
	v_cmp_ne_u16_sdwa vcc, v0, s96 src0_sel:BYTE_0 src1_sel:DWORD
	v_bfrev_b32_e32 v1, 1
	s_and_saveexec_b64 s[94:95], vcc
	s_cbranch_execz .LBB4_992
; %bb.987:                              ;   in Loop: Header=BB4_137 Depth=3
	v_and_b32_e32 v1, 0x7c0000, v11
	v_bfe_u32 v2, v11, 16, 2
	v_cmp_ne_u32_e32 vcc, s44, v1
                                        ; implicit-def: $vgpr1
	s_and_saveexec_b64 s[30:31], vcc
	s_xor_b64 s[30:31], exec, s[30:31]
	s_cbranch_execz .LBB4_989
; %bb.988:                              ;   in Loop: Header=BB4_137 Depth=3
	v_ffbh_u32_e32 v1, v2
	v_min_u32_e32 v5, 32, v1
	v_subrev_u32_e32 v1, 29, v5
	v_lshlrev_b64 v[0:1], v1, v[0:1]
	v_bfe_u32 v3, v11, 18, 5
	v_and_b32_e32 v0, 3, v0
	v_cmp_eq_u32_e32 vcc, 0, v3
	v_sub_u32_e32 v1, 30, v5
	v_cndmask_b32_e32 v0, v2, v0, vcc
	v_lshlrev_b32_e32 v2, 8, v11
	v_cndmask_b32_e32 v1, v3, v1, vcc
	v_and_b32_e32 v2, 0x80000000, v2
	v_lshl_add_u32 v1, v1, 23, v2
	v_lshl_or_b32 v0, v0, 21, v1
	v_add_u32_e32 v1, 0x38000000, v0
                                        ; implicit-def: $vgpr2
                                        ; implicit-def: $vgpr0
.LBB4_989:                              ;   in Loop: Header=BB4_137 Depth=3
	s_andn2_saveexec_b64 s[30:31], s[30:31]
; %bb.990:                              ;   in Loop: Header=BB4_137 Depth=3
	v_mov_b32_e32 v1, -1
	v_cmp_gt_i16_sdwa vcc, sext(v0), v1 src0_sel:BYTE_0 src1_sel:DWORD
	v_mov_b32_e32 v0, 0xff800000
	v_mov_b32_e32 v1, 0x7f800000
	v_cndmask_b32_e32 v0, v0, v1, vcc
	v_cmp_eq_u32_e32 vcc, 0, v2
	v_mov_b32_e32 v1, 0x7f800001
	v_cndmask_b32_e32 v1, v1, v0, vcc
; %bb.991:                              ;   in Loop: Header=BB4_137 Depth=3
	s_or_b64 exec, exec, s[30:31]
.LBB4_992:                              ;   in Loop: Header=BB4_137 Depth=3
	s_or_b64 exec, exec, s[94:95]
.LBB4_993:                              ;   in Loop: Header=BB4_137 Depth=3
	s_or_b64 exec, exec, s[26:27]
	v_mul_f32_e32 v2, v21, v1
	v_and_b32_e32 v8, 0x7f800000, v2
	v_mov_b32_e32 v9, v17
	v_cmp_ne_u64_e32 vcc, s[76:77], v[8:9]
	v_and_b32_e32 v0, 0x7fffff, v2
	v_mov_b32_e32 v1, v17
                                        ; implicit-def: $vgpr3
                                        ; kill: killed $vgpr3
	s_and_saveexec_b64 s[26:27], vcc
	s_xor_b64 s[94:95], exec, s[26:27]
	s_cbranch_execz .LBB4_1007
; %bb.994:                              ;   in Loop: Header=BB4_137 Depth=3
	v_and_b32_e32 v8, 0x7fffffff, v2
	v_mov_b32_e32 v9, v17
	v_cmp_gt_u64_e32 vcc, s[78:79], v[8:9]
	v_and_b32_sdwa v3, v2, s96 dst_sel:DWORD dst_unused:UNUSED_PAD src0_sel:BYTE_3 src1_sel:DWORD
                                        ; implicit-def: $vgpr5
                                        ; kill: killed $vgpr5
	s_and_saveexec_b64 s[26:27], vcc
	s_xor_b64 s[30:31], exec, s[26:27]
	s_cbranch_execz .LBB4_1004
; %bb.995:                              ;   in Loop: Header=BB4_137 Depth=3
	v_mov_b32_e32 v5, 0
	v_cmp_ne_u32_e32 vcc, 0, v2
	buffer_store_dword v5, off, s[0:3], s33 offset:332 ; 4-byte Folded Spill
	s_and_saveexec_b64 s[34:35], vcc
	s_cbranch_execz .LBB4_1003
; %bb.996:                              ;   in Loop: Header=BB4_137 Depth=3
	v_bfe_u32 v5, v2, 23, 8
	v_cmp_gt_u32_e64 s[26:27], s46, v5
	v_sub_u32_e32 v2, 0x71, v5
	v_cmp_eq_u32_e32 vcc, 0, v5
	v_cndmask_b32_e64 v2, 0, v2, s[26:27]
	v_mov_b32_e32 v8, 0x70
	v_cndmask_b32_e32 v8, v2, v8, vcc
	v_add_u32_e32 v2, 21, v8
	v_or_b32_e32 v9, 0x800000, v0
	v_lshlrev_b64 v[12:13], v2, -1
	v_cndmask_b32_e32 v0, v9, v0, vcc
	v_add_u32_e32 v2, 20, v8
	v_bfi_b32 v12, v12, 0, v0
	v_lshlrev_b64 v[14:15], v2, 1
	v_lshrrev_b64 v[0:1], v8, v[0:1]
	v_bfi_b32 v13, v13, 0, 0
	v_cmp_eq_u64_e64 s[26:27], v[12:13], v[14:15]
	v_mov_b32_e32 v2, v1
	v_mov_b32_e32 v1, v0
	s_and_saveexec_b64 s[36:37], s[26:27]
; %bb.997:                              ;   in Loop: Header=BB4_137 Depth=3
	v_bfe_u32 v1, v0, 21, 1
	v_add_co_u32_e64 v1, s[26:27], v0, v1
	v_add_co_u32_e64 v1, s[26:27], -1, v1
; %bb.998:                              ;   in Loop: Header=BB4_137 Depth=3
	s_or_b64 exec, exec, s[36:37]
	v_add_u32_e32 v2, 0xffffff81, v5
	v_mov_b32_e32 v5, 0xffffff82
	v_cndmask_b32_e32 v2, v2, v5, vcc
	v_lshrrev_b32_e32 v5, 23, v0
	v_add3_u32 v8, v8, v2, v5
	v_add_u32_e32 v5, 14, v8
	v_and_b32_e32 v1, 0x1fffff, v1
	v_add_u32_e32 v0, v1, v0
	v_mov_b32_e32 v1, v17
	v_cmp_ne_u32_e32 vcc, 0, v5
                                        ; implicit-def: $vgpr2
	s_and_saveexec_b64 s[26:27], vcc
	s_xor_b64 s[26:27], exec, s[26:27]
; %bb.999:                              ;   in Loop: Header=BB4_137 Depth=3
	v_cmp_lt_u64_e32 vcc, s[88:89], v[0:1]
	v_add_u32_e32 v2, 15, v8
	v_cndmask_b32_e32 v2, v5, v2, vcc
	v_cndmask_b32_e64 v5, 0, 1, vcc
	v_lshrrev_b64 v[0:1], v5, v[0:1]
; %bb.1000:                             ;   in Loop: Header=BB4_137 Depth=3
	s_andn2_saveexec_b64 s[26:27], s[26:27]
; %bb.1001:                             ;   in Loop: Header=BB4_137 Depth=3
	v_bfe_u32 v2, v0, 23, 1
; %bb.1002:                             ;   in Loop: Header=BB4_137 Depth=3
	s_or_b64 exec, exec, s[26:27]
	v_lshrrev_b64 v[0:1], 21, v[0:1]
	v_cmp_gt_i32_e32 vcc, 32, v2
	v_cndmask_b32_e32 v1, 0, v1, vcc
	v_cndmask_b32_e32 v0, 3, v0, vcc
	v_cmp_eq_u64_e64 s[26:27], 0, v[0:1]
	v_min_i32_e32 v1, 31, v2
	v_lshlrev_b32_e32 v1, 2, v1
	v_cmp_eq_u32_e32 vcc, 0, v2
	v_and_b32_e32 v1, 0xfc, v1
	v_and_or_b32 v0, v0, 3, v1
	s_and_b64 s[26:27], vcc, s[26:27]
	v_cndmask_b32_e64 v0, v0, 0, s[26:27]
	v_or_b32_e32 v0, v0, v3
	buffer_store_dword v0, off, s[0:3], s33 offset:332 ; 4-byte Folded Spill
.LBB4_1003:                             ;   in Loop: Header=BB4_137 Depth=3
	s_or_b64 exec, exec, s[34:35]
                                        ; implicit-def: $vgpr3
.LBB4_1004:                             ;   in Loop: Header=BB4_137 Depth=3
	s_andn2_saveexec_b64 s[26:27], s[30:31]
	s_cbranch_execz .LBB4_1006
; %bb.1005:                             ;   in Loop: Header=BB4_137 Depth=3
	v_or_b32_e32 v0, 0x7b, v3
	buffer_store_dword v0, off, s[0:3], s33 offset:332 ; 4-byte Folded Spill
.LBB4_1006:                             ;   in Loop: Header=BB4_137 Depth=3
	s_or_b64 exec, exec, s[26:27]
                                        ; implicit-def: $vgpr2
                                        ; implicit-def: $vgpr0_vgpr1
.LBB4_1007:                             ;   in Loop: Header=BB4_137 Depth=3
	s_andn2_saveexec_b64 s[26:27], s[94:95]
	s_cbranch_execz .LBB4_1013
; %bb.1008:                             ;   in Loop: Header=BB4_137 Depth=3
	v_cmp_ne_u64_e32 vcc, 0, v[0:1]
                                        ; implicit-def: $vgpr0
                                        ; kill: killed $vgpr0
	s_and_saveexec_b64 s[94:95], vcc
	s_xor_b64 s[94:95], exec, s[94:95]
	s_cbranch_execz .LBB4_1010
; %bb.1009:                             ;   in Loop: Header=BB4_137 Depth=3
	v_or_b32_sdwa v0, v2, s47 dst_sel:DWORD dst_unused:UNUSED_PAD src0_sel:BYTE_3 src1_sel:DWORD
	buffer_store_dword v0, off, s[0:3], s33 offset:332 ; 4-byte Folded Spill
                                        ; implicit-def: $vgpr2
.LBB4_1010:                             ;   in Loop: Header=BB4_137 Depth=3
	s_andn2_saveexec_b64 s[94:95], s[94:95]
	s_cbranch_execz .LBB4_1012
; %bb.1011:                             ;   in Loop: Header=BB4_137 Depth=3
	v_cmp_lt_i32_e32 vcc, -1, v2
	v_bfrev_b32_e32 v0, 0.5
	v_cndmask_b32_e32 v0, v0, v52, vcc
	buffer_store_dword v0, off, s[0:3], s33 offset:332 ; 4-byte Folded Spill
.LBB4_1012:                             ;   in Loop: Header=BB4_137 Depth=3
	s_or_b64 exec, exec, s[94:95]
.LBB4_1013:                             ;   in Loop: Header=BB4_137 Depth=3
	s_or_b64 exec, exec, s[26:27]
	v_cmp_lt_u64_e32 vcc, s[56:57], v[10:11]
	v_mov_b32_e32 v1, 0
	s_and_saveexec_b64 s[26:27], vcc
	s_cbranch_execz .LBB4_1021
; %bb.1014:                             ;   in Loop: Header=BB4_137 Depth=3
	v_lshrrev_b32_e32 v0, 24, v11
	v_cmp_ne_u32_e32 vcc, s96, v0
	v_bfrev_b32_e32 v1, 1
	s_and_saveexec_b64 s[94:95], vcc
	s_cbranch_execz .LBB4_1020
; %bb.1015:                             ;   in Loop: Header=BB4_137 Depth=3
	v_and_b32_e32 v1, 0x7c000000, v11
	v_bfe_u32 v2, v11, 24, 2
	v_cmp_ne_u32_e32 vcc, s45, v1
                                        ; implicit-def: $vgpr1
	s_and_saveexec_b64 s[30:31], vcc
	s_xor_b64 s[30:31], exec, s[30:31]
	s_cbranch_execz .LBB4_1017
; %bb.1016:                             ;   in Loop: Header=BB4_137 Depth=3
	v_ffbh_u32_e32 v1, v2
	v_min_u32_e32 v8, 32, v1
	v_subrev_u32_e32 v1, 29, v8
	v_lshlrev_b64 v[0:1], v1, v[0:1]
	v_bfe_u32 v3, v11, 26, 5
	v_sub_u32_e32 v1, 30, v8
	v_and_b32_e32 v0, 3, v0
	v_cmp_eq_u32_e32 vcc, 0, v3
	v_cndmask_b32_e32 v1, v3, v1, vcc
	v_cndmask_b32_e32 v0, v2, v0, vcc
	v_and_b32_e32 v2, 0x80000000, v11
	v_lshl_add_u32 v1, v1, 23, v2
	v_lshl_or_b32 v0, v0, 21, v1
	v_add_u32_e32 v1, 0x38000000, v0
                                        ; implicit-def: $vgpr2
                                        ; implicit-def: $vgpr10_vgpr11
.LBB4_1017:                             ;   in Loop: Header=BB4_137 Depth=3
	s_andn2_saveexec_b64 s[30:31], s[30:31]
; %bb.1018:                             ;   in Loop: Header=BB4_137 Depth=3
	v_cmp_lt_i64_e32 vcc, -1, v[10:11]
	v_mov_b32_e32 v0, 0xff800000
	v_mov_b32_e32 v1, 0x7f800000
	v_cndmask_b32_e32 v0, v0, v1, vcc
	v_cmp_eq_u32_e32 vcc, 0, v2
	v_mov_b32_e32 v1, 0x7f800001
	v_cndmask_b32_e32 v1, v1, v0, vcc
; %bb.1019:                             ;   in Loop: Header=BB4_137 Depth=3
	s_or_b64 exec, exec, s[30:31]
.LBB4_1020:                             ;   in Loop: Header=BB4_137 Depth=3
	s_or_b64 exec, exec, s[94:95]
.LBB4_1021:                             ;   in Loop: Header=BB4_137 Depth=3
	s_or_b64 exec, exec, s[26:27]
	v_mul_f32_e32 v2, v21, v1
	v_and_b32_e32 v8, 0x7f800000, v2
	v_mov_b32_e32 v9, v17
	v_cmp_ne_u64_e32 vcc, s[76:77], v[8:9]
	v_and_b32_e32 v0, 0x7fffff, v2
	v_mov_b32_e32 v1, v17
                                        ; implicit-def: $vgpr14
	s_and_saveexec_b64 s[26:27], vcc
	s_xor_b64 s[94:95], exec, s[26:27]
	s_cbranch_execz .LBB4_1035
; %bb.1022:                             ;   in Loop: Header=BB4_137 Depth=3
	v_and_b32_e32 v8, 0x7fffffff, v2
	v_mov_b32_e32 v9, v17
	v_cmp_gt_u64_e32 vcc, s[78:79], v[8:9]
	v_and_b32_sdwa v3, v2, s96 dst_sel:DWORD dst_unused:UNUSED_PAD src0_sel:BYTE_3 src1_sel:DWORD
                                        ; implicit-def: $vgpr14
	s_and_saveexec_b64 s[26:27], vcc
	s_xor_b64 s[30:31], exec, s[26:27]
	s_cbranch_execz .LBB4_1032
; %bb.1023:                             ;   in Loop: Header=BB4_137 Depth=3
	v_mov_b32_e32 v14, 0
	v_cmp_ne_u32_e32 vcc, 0, v2
	s_and_saveexec_b64 s[34:35], vcc
	s_cbranch_execz .LBB4_1031
; %bb.1024:                             ;   in Loop: Header=BB4_137 Depth=3
	v_bfe_u32 v8, v2, 23, 8
	v_cmp_gt_u32_e64 s[26:27], s46, v8
	v_sub_u32_e32 v2, 0x71, v8
	v_cmp_eq_u32_e32 vcc, 0, v8
	v_cndmask_b32_e64 v2, 0, v2, s[26:27]
	v_mov_b32_e32 v9, 0x70
	v_cndmask_b32_e32 v9, v2, v9, vcc
	v_or_b32_e32 v10, 0x800000, v0
	v_add_u32_e32 v2, 21, v9
	v_cndmask_b32_e32 v0, v10, v0, vcc
	v_lshlrev_b64 v[10:11], v2, -1
	v_add_u32_e32 v2, 20, v9
	v_bfi_b32 v10, v10, 0, v0
	v_lshlrev_b64 v[12:13], v2, 1
	v_lshrrev_b64 v[0:1], v9, v[0:1]
	v_bfi_b32 v11, v11, 0, 0
	v_cmp_eq_u64_e64 s[26:27], v[10:11], v[12:13]
	v_mov_b32_e32 v2, v1
	v_mov_b32_e32 v1, v0
	s_and_saveexec_b64 s[36:37], s[26:27]
; %bb.1025:                             ;   in Loop: Header=BB4_137 Depth=3
	v_bfe_u32 v1, v0, 21, 1
	v_add_co_u32_e64 v1, s[26:27], v0, v1
	v_add_co_u32_e64 v1, s[26:27], -1, v1
; %bb.1026:                             ;   in Loop: Header=BB4_137 Depth=3
	s_or_b64 exec, exec, s[36:37]
	v_add_u32_e32 v2, 0xffffff81, v8
	v_mov_b32_e32 v8, 0xffffff82
	v_cndmask_b32_e32 v2, v2, v8, vcc
	v_lshrrev_b32_e32 v8, 23, v0
	v_add3_u32 v9, v9, v2, v8
	v_add_u32_e32 v8, 14, v9
	v_and_b32_e32 v1, 0x1fffff, v1
	v_add_u32_e32 v0, v1, v0
	v_mov_b32_e32 v1, v17
	v_cmp_ne_u32_e32 vcc, 0, v8
                                        ; implicit-def: $vgpr2
	s_and_saveexec_b64 s[26:27], vcc
	s_xor_b64 s[26:27], exec, s[26:27]
; %bb.1027:                             ;   in Loop: Header=BB4_137 Depth=3
	v_cmp_lt_u64_e32 vcc, s[88:89], v[0:1]
	v_add_u32_e32 v2, 15, v9
	v_cndmask_b32_e32 v2, v8, v2, vcc
	v_cndmask_b32_e64 v8, 0, 1, vcc
	v_lshrrev_b64 v[0:1], v8, v[0:1]
; %bb.1028:                             ;   in Loop: Header=BB4_137 Depth=3
	s_andn2_saveexec_b64 s[26:27], s[26:27]
; %bb.1029:                             ;   in Loop: Header=BB4_137 Depth=3
	v_bfe_u32 v2, v0, 23, 1
; %bb.1030:                             ;   in Loop: Header=BB4_137 Depth=3
	s_or_b64 exec, exec, s[26:27]
	v_lshrrev_b64 v[0:1], 21, v[0:1]
	v_cmp_gt_i32_e32 vcc, 32, v2
	v_cndmask_b32_e32 v1, 0, v1, vcc
	v_cndmask_b32_e32 v0, 3, v0, vcc
	v_cmp_eq_u64_e64 s[26:27], 0, v[0:1]
	v_min_i32_e32 v1, 31, v2
	v_lshlrev_b32_e32 v1, 2, v1
	v_cmp_eq_u32_e32 vcc, 0, v2
	v_and_b32_e32 v1, 0xfc, v1
	v_and_or_b32 v0, v0, 3, v1
	s_and_b64 s[26:27], vcc, s[26:27]
	v_cndmask_b32_e64 v0, v0, 0, s[26:27]
	v_or_b32_e32 v14, v0, v3
.LBB4_1031:                             ;   in Loop: Header=BB4_137 Depth=3
	s_or_b64 exec, exec, s[34:35]
                                        ; implicit-def: $vgpr3
.LBB4_1032:                             ;   in Loop: Header=BB4_137 Depth=3
	s_andn2_saveexec_b64 s[26:27], s[30:31]
; %bb.1033:                             ;   in Loop: Header=BB4_137 Depth=3
	v_or_b32_e32 v14, 0x7b, v3
; %bb.1034:                             ;   in Loop: Header=BB4_137 Depth=3
	s_or_b64 exec, exec, s[26:27]
                                        ; implicit-def: $vgpr2
                                        ; implicit-def: $vgpr0_vgpr1
.LBB4_1035:                             ;   in Loop: Header=BB4_137 Depth=3
	s_andn2_saveexec_b64 s[26:27], s[94:95]
	s_cbranch_execz .LBB4_1041
; %bb.1036:                             ;   in Loop: Header=BB4_137 Depth=3
	v_cmp_ne_u64_e32 vcc, 0, v[0:1]
                                        ; implicit-def: $vgpr14
	s_and_saveexec_b64 s[94:95], vcc
	s_xor_b64 s[94:95], exec, s[94:95]
; %bb.1037:                             ;   in Loop: Header=BB4_137 Depth=3
	v_or_b32_sdwa v14, v2, s47 dst_sel:DWORD dst_unused:UNUSED_PAD src0_sel:BYTE_3 src1_sel:DWORD
                                        ; implicit-def: $vgpr2
; %bb.1038:                             ;   in Loop: Header=BB4_137 Depth=3
	s_andn2_saveexec_b64 s[94:95], s[94:95]
; %bb.1039:                             ;   in Loop: Header=BB4_137 Depth=3
	v_cmp_lt_i32_e32 vcc, -1, v2
	v_bfrev_b32_e32 v0, 0.5
	v_cndmask_b32_e32 v14, v0, v52, vcc
; %bb.1040:                             ;   in Loop: Header=BB4_137 Depth=3
	s_or_b64 exec, exec, s[94:95]
.LBB4_1041:                             ;   in Loop: Header=BB4_137 Depth=3
	s_or_b64 exec, exec, s[26:27]
	global_load_dwordx4 v[8:11], v[44:45], off offset:2048 glc slc
	v_mov_b32_e32 v0, 0
	s_waitcnt vmcnt(0)
	v_cmp_ne_u16_sdwa s[94:95], v8, v17 src0_sel:BYTE_0 src1_sel:DWORD
	s_and_saveexec_b64 s[26:27], s[94:95]
	s_cbranch_execz .LBB4_1049
; %bb.1042:                             ;   in Loop: Header=BB4_137 Depth=3
	v_cmp_ne_u16_sdwa vcc, sext(v8), s97 src0_sel:BYTE_0 src1_sel:DWORD
	v_bfrev_b32_e32 v0, 1
	s_and_saveexec_b64 s[94:95], vcc
	s_cbranch_execz .LBB4_1048
; %bb.1043:                             ;   in Loop: Header=BB4_137 Depth=3
	v_and_b32_e32 v0, 0x7c, v8
	v_and_b32_e32 v1, 3, v8
	v_cmp_ne_u32_e32 vcc, s85, v0
                                        ; implicit-def: $vgpr0
	s_and_saveexec_b64 s[30:31], vcc
	s_xor_b64 s[30:31], exec, s[30:31]
	s_cbranch_execz .LBB4_1045
; %bb.1044:                             ;   in Loop: Header=BB4_137 Depth=3
	v_ffbh_u32_e32 v2, v1
	v_min_u32_e32 v12, 32, v2
	v_subrev_u32_e32 v2, 29, v12
	v_lshlrev_b64 v[2:3], v2, v[8:9]
	v_bfe_u32 v0, v8, 2, 5
	v_and_b32_e32 v2, 3, v2
	v_cmp_eq_u32_e32 vcc, 0, v0
	v_sub_u32_e32 v3, 30, v12
	v_cndmask_b32_e32 v1, v1, v2, vcc
	v_lshlrev_b32_e32 v2, 24, v8
	v_cndmask_b32_e32 v0, v0, v3, vcc
	v_and_b32_e32 v2, 0x80000000, v2
	v_lshl_add_u32 v0, v0, 23, v2
	v_lshl_or_b32 v0, v1, 21, v0
	v_add_u32_e32 v0, 0x38000000, v0
                                        ; implicit-def: $vgpr1
.LBB4_1045:                             ;   in Loop: Header=BB4_137 Depth=3
	s_andn2_saveexec_b64 s[30:31], s[30:31]
; %bb.1046:                             ;   in Loop: Header=BB4_137 Depth=3
	v_mov_b32_e32 v0, -1
	v_cmp_gt_i16_sdwa vcc, sext(v8), v0 src0_sel:BYTE_0 src1_sel:DWORD
	v_mov_b32_e32 v0, 0xff800000
	v_mov_b32_e32 v2, 0x7f800000
	v_cndmask_b32_e32 v0, v0, v2, vcc
	v_cmp_eq_u32_e32 vcc, 0, v1
	v_mov_b32_e32 v1, 0x7f800001
	v_cndmask_b32_e32 v0, v1, v0, vcc
; %bb.1047:                             ;   in Loop: Header=BB4_137 Depth=3
	s_or_b64 exec, exec, s[30:31]
.LBB4_1048:                             ;   in Loop: Header=BB4_137 Depth=3
	s_or_b64 exec, exec, s[94:95]
.LBB4_1049:                             ;   in Loop: Header=BB4_137 Depth=3
	s_or_b64 exec, exec, s[26:27]
	v_mul_f32_e32 v2, v21, v0
	v_and_b32_e32 v12, 0x7f800000, v2
	v_mov_b32_e32 v13, v17
	v_cmp_ne_u64_e32 vcc, s[76:77], v[12:13]
	v_and_b32_e32 v0, 0x7fffff, v2
	v_mov_b32_e32 v1, v17
                                        ; implicit-def: $vgpr15
	s_and_saveexec_b64 s[26:27], vcc
	s_xor_b64 s[94:95], exec, s[26:27]
	s_cbranch_execz .LBB4_1063
; %bb.1050:                             ;   in Loop: Header=BB4_137 Depth=3
	v_and_b32_e32 v12, 0x7fffffff, v2
	v_mov_b32_e32 v13, v17
	v_cmp_gt_u64_e32 vcc, s[78:79], v[12:13]
	v_and_b32_sdwa v3, v2, s96 dst_sel:DWORD dst_unused:UNUSED_PAD src0_sel:BYTE_3 src1_sel:DWORD
                                        ; implicit-def: $vgpr15
	s_and_saveexec_b64 s[26:27], vcc
	s_xor_b64 s[30:31], exec, s[26:27]
	s_cbranch_execz .LBB4_1060
; %bb.1051:                             ;   in Loop: Header=BB4_137 Depth=3
	v_mov_b32_e32 v15, 0
	v_cmp_ne_u32_e32 vcc, 0, v2
	s_and_saveexec_b64 s[34:35], vcc
	s_cbranch_execz .LBB4_1059
; %bb.1052:                             ;   in Loop: Header=BB4_137 Depth=3
	v_bfe_u32 v12, v2, 23, 8
	v_cmp_gt_u32_e64 s[26:27], s46, v12
	v_sub_u32_e32 v2, 0x71, v12
	v_cmp_eq_u32_e32 vcc, 0, v12
	v_cndmask_b32_e64 v2, 0, v2, s[26:27]
	v_mov_b32_e32 v13, 0x70
	v_cndmask_b32_e32 v13, v2, v13, vcc
	v_or_b32_e32 v15, 0x800000, v0
	v_add_u32_e32 v2, 21, v13
	v_cndmask_b32_e32 v0, v15, v0, vcc
	v_lshlrev_b64 v[15:16], v2, -1
	v_add_u32_e32 v2, 20, v13
	v_bfi_b32 v15, v15, 0, v0
	v_lshlrev_b64 v[19:20], v2, 1
	v_lshrrev_b64 v[0:1], v13, v[0:1]
	v_bfi_b32 v16, v16, 0, 0
	v_cmp_eq_u64_e64 s[26:27], v[15:16], v[19:20]
	v_mov_b32_e32 v2, v1
	v_mov_b32_e32 v1, v0
	s_and_saveexec_b64 s[36:37], s[26:27]
; %bb.1053:                             ;   in Loop: Header=BB4_137 Depth=3
	v_bfe_u32 v1, v0, 21, 1
	v_add_co_u32_e64 v1, s[26:27], v0, v1
	v_add_co_u32_e64 v1, s[26:27], -1, v1
; %bb.1054:                             ;   in Loop: Header=BB4_137 Depth=3
	s_or_b64 exec, exec, s[36:37]
	v_add_u32_e32 v2, 0xffffff81, v12
	v_mov_b32_e32 v12, 0xffffff82
	v_cndmask_b32_e32 v2, v2, v12, vcc
	v_lshrrev_b32_e32 v12, 23, v0
	v_add3_u32 v13, v13, v2, v12
	v_add_u32_e32 v12, 14, v13
	v_and_b32_e32 v1, 0x1fffff, v1
	v_add_u32_e32 v0, v1, v0
	v_mov_b32_e32 v1, v17
	v_cmp_ne_u32_e32 vcc, 0, v12
                                        ; implicit-def: $vgpr2
	s_and_saveexec_b64 s[26:27], vcc
	s_xor_b64 s[26:27], exec, s[26:27]
; %bb.1055:                             ;   in Loop: Header=BB4_137 Depth=3
	v_cmp_lt_u64_e32 vcc, s[88:89], v[0:1]
	v_add_u32_e32 v2, 15, v13
	v_cndmask_b32_e32 v2, v12, v2, vcc
	v_cndmask_b32_e64 v12, 0, 1, vcc
	v_lshrrev_b64 v[0:1], v12, v[0:1]
; %bb.1056:                             ;   in Loop: Header=BB4_137 Depth=3
	s_andn2_saveexec_b64 s[26:27], s[26:27]
; %bb.1057:                             ;   in Loop: Header=BB4_137 Depth=3
	v_bfe_u32 v2, v0, 23, 1
; %bb.1058:                             ;   in Loop: Header=BB4_137 Depth=3
	s_or_b64 exec, exec, s[26:27]
	v_lshrrev_b64 v[0:1], 21, v[0:1]
	v_cmp_gt_i32_e32 vcc, 32, v2
	v_cndmask_b32_e32 v1, 0, v1, vcc
	v_cndmask_b32_e32 v0, 3, v0, vcc
	v_cmp_eq_u64_e64 s[26:27], 0, v[0:1]
	v_min_i32_e32 v1, 31, v2
	v_lshlrev_b32_e32 v1, 2, v1
	v_cmp_eq_u32_e32 vcc, 0, v2
	v_and_b32_e32 v1, 0xfc, v1
	v_and_or_b32 v0, v0, 3, v1
	s_and_b64 s[26:27], vcc, s[26:27]
	v_cndmask_b32_e64 v0, v0, 0, s[26:27]
	v_or_b32_e32 v15, v0, v3
.LBB4_1059:                             ;   in Loop: Header=BB4_137 Depth=3
	s_or_b64 exec, exec, s[34:35]
                                        ; implicit-def: $vgpr3
.LBB4_1060:                             ;   in Loop: Header=BB4_137 Depth=3
	s_andn2_saveexec_b64 s[26:27], s[30:31]
; %bb.1061:                             ;   in Loop: Header=BB4_137 Depth=3
	v_or_b32_e32 v15, 0x7b, v3
; %bb.1062:                             ;   in Loop: Header=BB4_137 Depth=3
	s_or_b64 exec, exec, s[26:27]
                                        ; implicit-def: $vgpr2
                                        ; implicit-def: $vgpr0_vgpr1
.LBB4_1063:                             ;   in Loop: Header=BB4_137 Depth=3
	s_andn2_saveexec_b64 s[26:27], s[94:95]
	s_cbranch_execz .LBB4_1069
; %bb.1064:                             ;   in Loop: Header=BB4_137 Depth=3
	v_cmp_ne_u64_e32 vcc, 0, v[0:1]
                                        ; implicit-def: $vgpr15
	s_and_saveexec_b64 s[94:95], vcc
	s_xor_b64 s[94:95], exec, s[94:95]
; %bb.1065:                             ;   in Loop: Header=BB4_137 Depth=3
	v_or_b32_sdwa v15, v2, s47 dst_sel:DWORD dst_unused:UNUSED_PAD src0_sel:BYTE_3 src1_sel:DWORD
                                        ; implicit-def: $vgpr2
; %bb.1066:                             ;   in Loop: Header=BB4_137 Depth=3
	s_andn2_saveexec_b64 s[94:95], s[94:95]
; %bb.1067:                             ;   in Loop: Header=BB4_137 Depth=3
	v_cmp_lt_i32_e32 vcc, -1, v2
	v_bfrev_b32_e32 v0, 0.5
	v_cndmask_b32_e32 v15, v0, v52, vcc
; %bb.1068:                             ;   in Loop: Header=BB4_137 Depth=3
	s_or_b64 exec, exec, s[94:95]
.LBB4_1069:                             ;   in Loop: Header=BB4_137 Depth=3
	s_or_b64 exec, exec, s[26:27]
	v_lshrrev_b16_e32 v0, 8, v8
	v_cmp_ne_u16_e32 vcc, 0, v0
	v_mov_b32_e32 v1, 0
	s_and_saveexec_b64 s[26:27], vcc
	s_cbranch_execz .LBB4_1077
; %bb.1070:                             ;   in Loop: Header=BB4_137 Depth=3
	v_cmp_ne_u16_e32 vcc, s96, v0
	v_bfrev_b32_e32 v1, 1
	s_and_saveexec_b64 s[94:95], vcc
	s_cbranch_execz .LBB4_1076
; %bb.1071:                             ;   in Loop: Header=BB4_137 Depth=3
	v_and_b32_e32 v1, 0x7c, v0
	v_and_b32_e32 v2, 3, v0
	v_cmp_ne_u32_e32 vcc, s85, v1
                                        ; implicit-def: $vgpr1
	s_and_saveexec_b64 s[30:31], vcc
	s_xor_b64 s[30:31], exec, s[30:31]
	s_cbranch_execz .LBB4_1073
; %bb.1072:                             ;   in Loop: Header=BB4_137 Depth=3
	v_ffbh_u32_e32 v12, v2
	v_min_u32_e32 v12, 32, v12
	v_mov_b32_e32 v1, v17
	v_subrev_u32_e32 v13, 29, v12
	v_bfe_u32 v3, v0, 2, 5
	v_lshlrev_b64 v[0:1], v13, v[0:1]
	v_cmp_eq_u32_e32 vcc, 0, v3
	v_and_b32_e32 v0, 3, v0
	v_sub_u32_e32 v1, 30, v12
	v_cndmask_b32_e32 v0, v2, v0, vcc
	v_lshlrev_b32_e32 v2, 16, v8
	v_cndmask_b32_e32 v1, v3, v1, vcc
	v_and_b32_e32 v2, 0x80000000, v2
	v_lshl_add_u32 v1, v1, 23, v2
	v_lshl_or_b32 v0, v0, 21, v1
	v_add_u32_e32 v1, 0x38000000, v0
                                        ; implicit-def: $vgpr2
.LBB4_1073:                             ;   in Loop: Header=BB4_137 Depth=3
	s_andn2_saveexec_b64 s[30:31], s[30:31]
; %bb.1074:                             ;   in Loop: Header=BB4_137 Depth=3
	v_cmp_lt_i16_e32 vcc, -1, v8
	v_mov_b32_e32 v0, 0xff800000
	v_mov_b32_e32 v1, 0x7f800000
	v_cndmask_b32_e32 v0, v0, v1, vcc
	v_cmp_eq_u32_e32 vcc, 0, v2
	v_mov_b32_e32 v1, 0x7f800001
	v_cndmask_b32_e32 v1, v1, v0, vcc
; %bb.1075:                             ;   in Loop: Header=BB4_137 Depth=3
	s_or_b64 exec, exec, s[30:31]
.LBB4_1076:                             ;   in Loop: Header=BB4_137 Depth=3
	s_or_b64 exec, exec, s[94:95]
.LBB4_1077:                             ;   in Loop: Header=BB4_137 Depth=3
	s_or_b64 exec, exec, s[26:27]
	v_mul_f32_e32 v2, v21, v1
	v_and_b32_e32 v12, 0x7f800000, v2
	v_mov_b32_e32 v13, v17
	v_cmp_ne_u64_e32 vcc, s[76:77], v[12:13]
	v_and_b32_e32 v0, 0x7fffff, v2
	v_mov_b32_e32 v1, v17
                                        ; implicit-def: $vgpr13
	s_and_saveexec_b64 s[26:27], vcc
	s_xor_b64 s[94:95], exec, s[26:27]
	s_cbranch_execz .LBB4_1091
; %bb.1078:                             ;   in Loop: Header=BB4_137 Depth=3
	v_and_b32_e32 v12, 0x7fffffff, v2
	v_mov_b32_e32 v13, v17
	v_cmp_gt_u64_e32 vcc, s[78:79], v[12:13]
	v_and_b32_sdwa v3, v2, s96 dst_sel:DWORD dst_unused:UNUSED_PAD src0_sel:BYTE_3 src1_sel:DWORD
                                        ; implicit-def: $vgpr13
	s_and_saveexec_b64 s[26:27], vcc
	s_xor_b64 s[30:31], exec, s[26:27]
	s_cbranch_execz .LBB4_1088
; %bb.1079:                             ;   in Loop: Header=BB4_137 Depth=3
	v_mov_b32_e32 v13, 0
	v_cmp_ne_u32_e32 vcc, 0, v2
	s_and_saveexec_b64 s[34:35], vcc
	s_cbranch_execz .LBB4_1087
; %bb.1080:                             ;   in Loop: Header=BB4_137 Depth=3
	v_bfe_u32 v12, v2, 23, 8
	v_cmp_gt_u32_e64 s[26:27], s46, v12
	v_sub_u32_e32 v2, 0x71, v12
	v_cmp_eq_u32_e32 vcc, 0, v12
	v_cndmask_b32_e64 v2, 0, v2, s[26:27]
	v_mov_b32_e32 v13, 0x70
	v_cndmask_b32_e32 v13, v2, v13, vcc
	v_add_u32_e32 v2, 21, v13
	v_or_b32_e32 v16, 0x800000, v0
	v_lshlrev_b64 v[19:20], v2, -1
	v_cndmask_b32_e32 v0, v16, v0, vcc
	v_add_u32_e32 v2, 20, v13
	v_bfi_b32 v19, v19, 0, v0
	v_lshlrev_b64 v[22:23], v2, 1
	v_lshrrev_b64 v[0:1], v13, v[0:1]
	v_bfi_b32 v20, v20, 0, 0
	v_cmp_eq_u64_e64 s[26:27], v[19:20], v[22:23]
	v_mov_b32_e32 v2, v1
	v_mov_b32_e32 v1, v0
	s_and_saveexec_b64 s[36:37], s[26:27]
; %bb.1081:                             ;   in Loop: Header=BB4_137 Depth=3
	v_bfe_u32 v1, v0, 21, 1
	v_add_co_u32_e64 v1, s[26:27], v0, v1
	v_add_co_u32_e64 v1, s[26:27], -1, v1
; %bb.1082:                             ;   in Loop: Header=BB4_137 Depth=3
	s_or_b64 exec, exec, s[36:37]
	v_add_u32_e32 v2, 0xffffff81, v12
	v_mov_b32_e32 v12, 0xffffff82
	v_cndmask_b32_e32 v2, v2, v12, vcc
	v_lshrrev_b32_e32 v12, 23, v0
	v_add3_u32 v13, v13, v2, v12
	v_add_u32_e32 v12, 14, v13
	v_and_b32_e32 v1, 0x1fffff, v1
	v_add_u32_e32 v0, v1, v0
	v_mov_b32_e32 v1, v17
	v_cmp_ne_u32_e32 vcc, 0, v12
                                        ; implicit-def: $vgpr2
	s_and_saveexec_b64 s[26:27], vcc
	s_xor_b64 s[26:27], exec, s[26:27]
; %bb.1083:                             ;   in Loop: Header=BB4_137 Depth=3
	v_cmp_lt_u64_e32 vcc, s[88:89], v[0:1]
	v_add_u32_e32 v2, 15, v13
	v_cndmask_b32_e32 v2, v12, v2, vcc
	v_cndmask_b32_e64 v12, 0, 1, vcc
	v_lshrrev_b64 v[0:1], v12, v[0:1]
; %bb.1084:                             ;   in Loop: Header=BB4_137 Depth=3
	s_andn2_saveexec_b64 s[26:27], s[26:27]
; %bb.1085:                             ;   in Loop: Header=BB4_137 Depth=3
	v_bfe_u32 v2, v0, 23, 1
; %bb.1086:                             ;   in Loop: Header=BB4_137 Depth=3
	s_or_b64 exec, exec, s[26:27]
	v_lshrrev_b64 v[0:1], 21, v[0:1]
	v_cmp_gt_i32_e32 vcc, 32, v2
	v_cndmask_b32_e32 v1, 0, v1, vcc
	v_cndmask_b32_e32 v0, 3, v0, vcc
	v_cmp_eq_u64_e64 s[26:27], 0, v[0:1]
	v_min_i32_e32 v1, 31, v2
	v_lshlrev_b32_e32 v1, 2, v1
	v_cmp_eq_u32_e32 vcc, 0, v2
	v_and_b32_e32 v1, 0xfc, v1
	v_and_or_b32 v0, v0, 3, v1
	s_and_b64 s[26:27], vcc, s[26:27]
	v_cndmask_b32_e64 v0, v0, 0, s[26:27]
	v_or_b32_e32 v13, v0, v3
.LBB4_1087:                             ;   in Loop: Header=BB4_137 Depth=3
	s_or_b64 exec, exec, s[34:35]
                                        ; implicit-def: $vgpr3
.LBB4_1088:                             ;   in Loop: Header=BB4_137 Depth=3
	s_andn2_saveexec_b64 s[26:27], s[30:31]
; %bb.1089:                             ;   in Loop: Header=BB4_137 Depth=3
	v_or_b32_e32 v13, 0x7b, v3
; %bb.1090:                             ;   in Loop: Header=BB4_137 Depth=3
	s_or_b64 exec, exec, s[26:27]
                                        ; implicit-def: $vgpr2
                                        ; implicit-def: $vgpr0_vgpr1
.LBB4_1091:                             ;   in Loop: Header=BB4_137 Depth=3
	s_andn2_saveexec_b64 s[26:27], s[94:95]
	s_cbranch_execz .LBB4_1097
; %bb.1092:                             ;   in Loop: Header=BB4_137 Depth=3
	v_cmp_ne_u64_e32 vcc, 0, v[0:1]
                                        ; implicit-def: $vgpr13
	s_and_saveexec_b64 s[94:95], vcc
	s_xor_b64 s[94:95], exec, s[94:95]
; %bb.1093:                             ;   in Loop: Header=BB4_137 Depth=3
	v_or_b32_sdwa v13, v2, s47 dst_sel:DWORD dst_unused:UNUSED_PAD src0_sel:BYTE_3 src1_sel:DWORD
                                        ; implicit-def: $vgpr2
; %bb.1094:                             ;   in Loop: Header=BB4_137 Depth=3
	s_andn2_saveexec_b64 s[94:95], s[94:95]
; %bb.1095:                             ;   in Loop: Header=BB4_137 Depth=3
	v_cmp_lt_i32_e32 vcc, -1, v2
	v_bfrev_b32_e32 v0, 0.5
	v_cndmask_b32_e32 v13, v0, v52, vcc
; %bb.1096:                             ;   in Loop: Header=BB4_137 Depth=3
	s_or_b64 exec, exec, s[94:95]
.LBB4_1097:                             ;   in Loop: Header=BB4_137 Depth=3
	s_or_b64 exec, exec, s[26:27]
	v_lshrrev_b32_e32 v0, 16, v8
	v_cmp_ne_u16_sdwa s[94:95], v0, v17 src0_sel:BYTE_0 src1_sel:DWORD
	v_mov_b32_e32 v1, 0
	s_and_saveexec_b64 s[26:27], s[94:95]
	s_cbranch_execz .LBB4_1105
; %bb.1098:                             ;   in Loop: Header=BB4_137 Depth=3
	v_cmp_ne_u16_sdwa vcc, v0, s96 src0_sel:BYTE_0 src1_sel:DWORD
	v_bfrev_b32_e32 v1, 1
	s_and_saveexec_b64 s[94:95], vcc
	s_cbranch_execz .LBB4_1104
; %bb.1099:                             ;   in Loop: Header=BB4_137 Depth=3
	v_and_b32_e32 v1, 0x7c0000, v8
	v_bfe_u32 v2, v8, 16, 2
	v_cmp_ne_u32_e32 vcc, s44, v1
                                        ; implicit-def: $vgpr1
	s_and_saveexec_b64 s[30:31], vcc
	s_xor_b64 s[30:31], exec, s[30:31]
	s_cbranch_execz .LBB4_1101
; %bb.1100:                             ;   in Loop: Header=BB4_137 Depth=3
	v_ffbh_u32_e32 v1, v2
	v_min_u32_e32 v12, 32, v1
	v_subrev_u32_e32 v1, 29, v12
	v_lshlrev_b64 v[0:1], v1, v[0:1]
	v_bfe_u32 v3, v8, 18, 5
	v_and_b32_e32 v0, 3, v0
	v_cmp_eq_u32_e32 vcc, 0, v3
	v_sub_u32_e32 v1, 30, v12
	v_cndmask_b32_e32 v0, v2, v0, vcc
	v_lshlrev_b32_e32 v2, 8, v8
	v_cndmask_b32_e32 v1, v3, v1, vcc
	v_and_b32_e32 v2, 0x80000000, v2
	v_lshl_add_u32 v1, v1, 23, v2
	v_lshl_or_b32 v0, v0, 21, v1
	v_add_u32_e32 v1, 0x38000000, v0
                                        ; implicit-def: $vgpr2
                                        ; implicit-def: $vgpr0
.LBB4_1101:                             ;   in Loop: Header=BB4_137 Depth=3
	s_andn2_saveexec_b64 s[30:31], s[30:31]
; %bb.1102:                             ;   in Loop: Header=BB4_137 Depth=3
	v_mov_b32_e32 v1, -1
	v_cmp_gt_i16_sdwa vcc, sext(v0), v1 src0_sel:BYTE_0 src1_sel:DWORD
	v_mov_b32_e32 v0, 0xff800000
	v_mov_b32_e32 v1, 0x7f800000
	v_cndmask_b32_e32 v0, v0, v1, vcc
	v_cmp_eq_u32_e32 vcc, 0, v2
	v_mov_b32_e32 v1, 0x7f800001
	v_cndmask_b32_e32 v1, v1, v0, vcc
; %bb.1103:                             ;   in Loop: Header=BB4_137 Depth=3
	s_or_b64 exec, exec, s[30:31]
.LBB4_1104:                             ;   in Loop: Header=BB4_137 Depth=3
	s_or_b64 exec, exec, s[94:95]
.LBB4_1105:                             ;   in Loop: Header=BB4_137 Depth=3
	s_or_b64 exec, exec, s[26:27]
	v_mul_f32_e32 v2, v21, v1
	v_and_b32_e32 v19, 0x7f800000, v2
	v_mov_b32_e32 v20, v17
	v_cmp_ne_u64_e32 vcc, s[76:77], v[19:20]
	v_and_b32_e32 v0, 0x7fffff, v2
	v_mov_b32_e32 v1, v17
                                        ; implicit-def: $vgpr19
	s_and_saveexec_b64 s[26:27], vcc
	s_xor_b64 s[94:95], exec, s[26:27]
	s_cbranch_execz .LBB4_1119
; %bb.1106:                             ;   in Loop: Header=BB4_137 Depth=3
	v_and_b32_e32 v19, 0x7fffffff, v2
	v_mov_b32_e32 v20, v17
	v_cmp_gt_u64_e32 vcc, s[78:79], v[19:20]
	v_and_b32_sdwa v3, v2, s96 dst_sel:DWORD dst_unused:UNUSED_PAD src0_sel:BYTE_3 src1_sel:DWORD
                                        ; implicit-def: $vgpr19
	s_and_saveexec_b64 s[26:27], vcc
	s_xor_b64 s[30:31], exec, s[26:27]
	s_cbranch_execz .LBB4_1116
; %bb.1107:                             ;   in Loop: Header=BB4_137 Depth=3
	v_mov_b32_e32 v19, 0
	v_cmp_ne_u32_e32 vcc, 0, v2
	s_and_saveexec_b64 s[34:35], vcc
	s_cbranch_execz .LBB4_1115
; %bb.1108:                             ;   in Loop: Header=BB4_137 Depth=3
	v_bfe_u32 v12, v2, 23, 8
	v_cmp_gt_u32_e64 s[26:27], s46, v12
	v_sub_u32_e32 v2, 0x71, v12
	v_cmp_eq_u32_e32 vcc, 0, v12
	v_cndmask_b32_e64 v2, 0, v2, s[26:27]
	v_mov_b32_e32 v16, 0x70
	v_cndmask_b32_e32 v16, v2, v16, vcc
	v_or_b32_e32 v19, 0x800000, v0
	v_add_u32_e32 v2, 21, v16
	v_cndmask_b32_e32 v0, v19, v0, vcc
	v_lshlrev_b64 v[19:20], v2, -1
	v_add_u32_e32 v2, 20, v16
	v_bfi_b32 v19, v19, 0, v0
	v_lshlrev_b64 v[22:23], v2, 1
	v_lshrrev_b64 v[0:1], v16, v[0:1]
	v_bfi_b32 v20, v20, 0, 0
	v_cmp_eq_u64_e64 s[26:27], v[19:20], v[22:23]
	v_mov_b32_e32 v2, v1
	v_mov_b32_e32 v1, v0
	s_and_saveexec_b64 s[36:37], s[26:27]
; %bb.1109:                             ;   in Loop: Header=BB4_137 Depth=3
	v_bfe_u32 v1, v0, 21, 1
	v_add_co_u32_e64 v1, s[26:27], v0, v1
	v_add_co_u32_e64 v1, s[26:27], -1, v1
; %bb.1110:                             ;   in Loop: Header=BB4_137 Depth=3
	s_or_b64 exec, exec, s[36:37]
	v_add_u32_e32 v2, 0xffffff81, v12
	v_mov_b32_e32 v12, 0xffffff82
	v_cndmask_b32_e32 v2, v2, v12, vcc
	v_lshrrev_b32_e32 v12, 23, v0
	v_add3_u32 v16, v16, v2, v12
	v_add_u32_e32 v12, 14, v16
	v_and_b32_e32 v1, 0x1fffff, v1
	v_add_u32_e32 v0, v1, v0
	v_mov_b32_e32 v1, v17
	v_cmp_ne_u32_e32 vcc, 0, v12
                                        ; implicit-def: $vgpr2
	s_and_saveexec_b64 s[26:27], vcc
	s_xor_b64 s[26:27], exec, s[26:27]
; %bb.1111:                             ;   in Loop: Header=BB4_137 Depth=3
	v_cmp_lt_u64_e32 vcc, s[88:89], v[0:1]
	v_add_u32_e32 v2, 15, v16
	v_cndmask_b32_e32 v2, v12, v2, vcc
	v_cndmask_b32_e64 v12, 0, 1, vcc
	v_lshrrev_b64 v[0:1], v12, v[0:1]
; %bb.1112:                             ;   in Loop: Header=BB4_137 Depth=3
	s_andn2_saveexec_b64 s[26:27], s[26:27]
; %bb.1113:                             ;   in Loop: Header=BB4_137 Depth=3
	v_bfe_u32 v2, v0, 23, 1
; %bb.1114:                             ;   in Loop: Header=BB4_137 Depth=3
	s_or_b64 exec, exec, s[26:27]
	v_lshrrev_b64 v[0:1], 21, v[0:1]
	v_cmp_gt_i32_e32 vcc, 32, v2
	v_cndmask_b32_e32 v1, 0, v1, vcc
	v_cndmask_b32_e32 v0, 3, v0, vcc
	v_cmp_eq_u64_e64 s[26:27], 0, v[0:1]
	v_min_i32_e32 v1, 31, v2
	v_lshlrev_b32_e32 v1, 2, v1
	v_cmp_eq_u32_e32 vcc, 0, v2
	v_and_b32_e32 v1, 0xfc, v1
	v_and_or_b32 v0, v0, 3, v1
	s_and_b64 s[26:27], vcc, s[26:27]
	v_cndmask_b32_e64 v0, v0, 0, s[26:27]
	v_or_b32_e32 v19, v0, v3
.LBB4_1115:                             ;   in Loop: Header=BB4_137 Depth=3
	s_or_b64 exec, exec, s[34:35]
                                        ; implicit-def: $vgpr3
.LBB4_1116:                             ;   in Loop: Header=BB4_137 Depth=3
	s_andn2_saveexec_b64 s[26:27], s[30:31]
; %bb.1117:                             ;   in Loop: Header=BB4_137 Depth=3
	v_or_b32_e32 v19, 0x7b, v3
; %bb.1118:                             ;   in Loop: Header=BB4_137 Depth=3
	s_or_b64 exec, exec, s[26:27]
                                        ; implicit-def: $vgpr2
                                        ; implicit-def: $vgpr0_vgpr1
.LBB4_1119:                             ;   in Loop: Header=BB4_137 Depth=3
	s_andn2_saveexec_b64 s[26:27], s[94:95]
	s_cbranch_execz .LBB4_1125
; %bb.1120:                             ;   in Loop: Header=BB4_137 Depth=3
	v_cmp_ne_u64_e32 vcc, 0, v[0:1]
                                        ; implicit-def: $vgpr19
	s_and_saveexec_b64 s[94:95], vcc
	s_xor_b64 s[94:95], exec, s[94:95]
; %bb.1121:                             ;   in Loop: Header=BB4_137 Depth=3
	v_or_b32_sdwa v19, v2, s47 dst_sel:DWORD dst_unused:UNUSED_PAD src0_sel:BYTE_3 src1_sel:DWORD
                                        ; implicit-def: $vgpr2
; %bb.1122:                             ;   in Loop: Header=BB4_137 Depth=3
	s_andn2_saveexec_b64 s[94:95], s[94:95]
; %bb.1123:                             ;   in Loop: Header=BB4_137 Depth=3
	v_cmp_lt_i32_e32 vcc, -1, v2
	v_bfrev_b32_e32 v0, 0.5
	v_cndmask_b32_e32 v19, v0, v52, vcc
; %bb.1124:                             ;   in Loop: Header=BB4_137 Depth=3
	s_or_b64 exec, exec, s[94:95]
.LBB4_1125:                             ;   in Loop: Header=BB4_137 Depth=3
	s_or_b64 exec, exec, s[26:27]
	v_cmp_lt_u32_e32 vcc, s57, v8
	v_mov_b32_e32 v1, 0
	s_and_saveexec_b64 s[26:27], vcc
	s_cbranch_execz .LBB4_1133
; %bb.1126:                             ;   in Loop: Header=BB4_137 Depth=3
	v_lshrrev_b32_e32 v0, 24, v8
	v_cmp_ne_u32_e32 vcc, s96, v0
	v_bfrev_b32_e32 v1, 1
	s_and_saveexec_b64 s[94:95], vcc
	s_cbranch_execz .LBB4_1132
; %bb.1127:                             ;   in Loop: Header=BB4_137 Depth=3
	v_and_b32_e32 v1, 0x7c000000, v8
	v_bfe_u32 v2, v8, 24, 2
	v_cmp_ne_u32_e32 vcc, s45, v1
                                        ; implicit-def: $vgpr1
	s_and_saveexec_b64 s[30:31], vcc
	s_xor_b64 s[30:31], exec, s[30:31]
	s_cbranch_execz .LBB4_1129
; %bb.1128:                             ;   in Loop: Header=BB4_137 Depth=3
	v_ffbh_u32_e32 v1, v2
	v_min_u32_e32 v12, 32, v1
	v_subrev_u32_e32 v1, 29, v12
	v_lshlrev_b64 v[0:1], v1, v[0:1]
	v_bfe_u32 v3, v8, 26, 5
	v_sub_u32_e32 v1, 30, v12
	v_and_b32_e32 v0, 3, v0
	v_cmp_eq_u32_e32 vcc, 0, v3
	v_cndmask_b32_e32 v1, v3, v1, vcc
	v_cndmask_b32_e32 v0, v2, v0, vcc
	v_and_b32_e32 v2, 0x80000000, v8
	v_lshl_add_u32 v1, v1, 23, v2
	v_lshl_or_b32 v0, v0, 21, v1
	v_add_u32_e32 v1, 0x38000000, v0
                                        ; implicit-def: $vgpr2
.LBB4_1129:                             ;   in Loop: Header=BB4_137 Depth=3
	s_andn2_saveexec_b64 s[30:31], s[30:31]
; %bb.1130:                             ;   in Loop: Header=BB4_137 Depth=3
	v_cmp_lt_i32_e32 vcc, -1, v8
	v_mov_b32_e32 v0, 0xff800000
	v_mov_b32_e32 v1, 0x7f800000
	v_cndmask_b32_e32 v0, v0, v1, vcc
	v_cmp_eq_u32_e32 vcc, 0, v2
	v_mov_b32_e32 v1, 0x7f800001
	v_cndmask_b32_e32 v1, v1, v0, vcc
; %bb.1131:                             ;   in Loop: Header=BB4_137 Depth=3
	s_or_b64 exec, exec, s[30:31]
.LBB4_1132:                             ;   in Loop: Header=BB4_137 Depth=3
	s_or_b64 exec, exec, s[94:95]
.LBB4_1133:                             ;   in Loop: Header=BB4_137 Depth=3
	s_or_b64 exec, exec, s[26:27]
	v_mul_f32_e32 v2, v21, v1
	v_and_b32_e32 v22, 0x7f800000, v2
	v_mov_b32_e32 v23, v17
	v_cmp_ne_u64_e32 vcc, s[76:77], v[22:23]
	v_and_b32_e32 v0, 0x7fffff, v2
	v_mov_b32_e32 v1, v17
                                        ; implicit-def: $vgpr16
	s_and_saveexec_b64 s[26:27], vcc
	s_xor_b64 s[94:95], exec, s[26:27]
	s_cbranch_execz .LBB4_1147
; %bb.1134:                             ;   in Loop: Header=BB4_137 Depth=3
	v_and_b32_e32 v22, 0x7fffffff, v2
	v_mov_b32_e32 v23, v17
	v_cmp_gt_u64_e32 vcc, s[78:79], v[22:23]
	v_and_b32_sdwa v3, v2, s96 dst_sel:DWORD dst_unused:UNUSED_PAD src0_sel:BYTE_3 src1_sel:DWORD
                                        ; implicit-def: $vgpr16
	s_and_saveexec_b64 s[26:27], vcc
	s_xor_b64 s[30:31], exec, s[26:27]
	s_cbranch_execz .LBB4_1144
; %bb.1135:                             ;   in Loop: Header=BB4_137 Depth=3
	v_mov_b32_e32 v16, 0
	v_cmp_ne_u32_e32 vcc, 0, v2
	s_and_saveexec_b64 s[34:35], vcc
	s_cbranch_execz .LBB4_1143
; %bb.1136:                             ;   in Loop: Header=BB4_137 Depth=3
	v_bfe_u32 v12, v2, 23, 8
	v_cmp_gt_u32_e64 s[26:27], s46, v12
	v_sub_u32_e32 v2, 0x71, v12
	v_cmp_eq_u32_e32 vcc, 0, v12
	v_cndmask_b32_e64 v2, 0, v2, s[26:27]
	v_mov_b32_e32 v16, 0x70
	v_cndmask_b32_e32 v16, v2, v16, vcc
	v_add_u32_e32 v2, 21, v16
	v_or_b32_e32 v20, 0x800000, v0
	v_lshlrev_b64 v[22:23], v2, -1
	v_cndmask_b32_e32 v0, v20, v0, vcc
	v_add_u32_e32 v2, 20, v16
	v_bfi_b32 v22, v22, 0, v0
	v_lshlrev_b64 v[24:25], v2, 1
	v_lshrrev_b64 v[0:1], v16, v[0:1]
	v_bfi_b32 v23, v23, 0, 0
	v_cmp_eq_u64_e64 s[26:27], v[22:23], v[24:25]
	v_mov_b32_e32 v2, v1
	v_mov_b32_e32 v1, v0
	s_and_saveexec_b64 s[36:37], s[26:27]
; %bb.1137:                             ;   in Loop: Header=BB4_137 Depth=3
	v_bfe_u32 v1, v0, 21, 1
	v_add_co_u32_e64 v1, s[26:27], v0, v1
	v_add_co_u32_e64 v1, s[26:27], -1, v1
; %bb.1138:                             ;   in Loop: Header=BB4_137 Depth=3
	s_or_b64 exec, exec, s[36:37]
	v_add_u32_e32 v2, 0xffffff81, v12
	v_mov_b32_e32 v12, 0xffffff82
	v_cndmask_b32_e32 v2, v2, v12, vcc
	v_lshrrev_b32_e32 v12, 23, v0
	v_add3_u32 v16, v16, v2, v12
	v_add_u32_e32 v12, 14, v16
	v_and_b32_e32 v1, 0x1fffff, v1
	v_add_u32_e32 v0, v1, v0
	v_mov_b32_e32 v1, v17
	v_cmp_ne_u32_e32 vcc, 0, v12
                                        ; implicit-def: $vgpr2
	s_and_saveexec_b64 s[26:27], vcc
	s_xor_b64 s[26:27], exec, s[26:27]
; %bb.1139:                             ;   in Loop: Header=BB4_137 Depth=3
	v_cmp_lt_u64_e32 vcc, s[88:89], v[0:1]
	v_add_u32_e32 v2, 15, v16
	v_cndmask_b32_e32 v2, v12, v2, vcc
	v_cndmask_b32_e64 v12, 0, 1, vcc
	v_lshrrev_b64 v[0:1], v12, v[0:1]
; %bb.1140:                             ;   in Loop: Header=BB4_137 Depth=3
	s_andn2_saveexec_b64 s[26:27], s[26:27]
; %bb.1141:                             ;   in Loop: Header=BB4_137 Depth=3
	v_bfe_u32 v2, v0, 23, 1
; %bb.1142:                             ;   in Loop: Header=BB4_137 Depth=3
	s_or_b64 exec, exec, s[26:27]
	v_lshrrev_b64 v[0:1], 21, v[0:1]
	v_cmp_gt_i32_e32 vcc, 32, v2
	v_cndmask_b32_e32 v1, 0, v1, vcc
	v_cndmask_b32_e32 v0, 3, v0, vcc
	v_cmp_eq_u64_e64 s[26:27], 0, v[0:1]
	v_min_i32_e32 v1, 31, v2
	v_lshlrev_b32_e32 v1, 2, v1
	v_cmp_eq_u32_e32 vcc, 0, v2
	v_and_b32_e32 v1, 0xfc, v1
	v_and_or_b32 v0, v0, 3, v1
	s_and_b64 s[26:27], vcc, s[26:27]
	v_cndmask_b32_e64 v0, v0, 0, s[26:27]
	v_or_b32_e32 v16, v0, v3
.LBB4_1143:                             ;   in Loop: Header=BB4_137 Depth=3
	s_or_b64 exec, exec, s[34:35]
                                        ; implicit-def: $vgpr3
.LBB4_1144:                             ;   in Loop: Header=BB4_137 Depth=3
	s_andn2_saveexec_b64 s[26:27], s[30:31]
; %bb.1145:                             ;   in Loop: Header=BB4_137 Depth=3
	v_or_b32_e32 v16, 0x7b, v3
; %bb.1146:                             ;   in Loop: Header=BB4_137 Depth=3
	s_or_b64 exec, exec, s[26:27]
                                        ; implicit-def: $vgpr2
                                        ; implicit-def: $vgpr0_vgpr1
.LBB4_1147:                             ;   in Loop: Header=BB4_137 Depth=3
	s_andn2_saveexec_b64 s[26:27], s[94:95]
	s_cbranch_execz .LBB4_1153
; %bb.1148:                             ;   in Loop: Header=BB4_137 Depth=3
	v_cmp_ne_u64_e32 vcc, 0, v[0:1]
                                        ; implicit-def: $vgpr16
	s_and_saveexec_b64 s[94:95], vcc
	s_xor_b64 s[94:95], exec, s[94:95]
; %bb.1149:                             ;   in Loop: Header=BB4_137 Depth=3
	v_or_b32_sdwa v16, v2, s47 dst_sel:DWORD dst_unused:UNUSED_PAD src0_sel:BYTE_3 src1_sel:DWORD
                                        ; implicit-def: $vgpr2
; %bb.1150:                             ;   in Loop: Header=BB4_137 Depth=3
	s_andn2_saveexec_b64 s[94:95], s[94:95]
; %bb.1151:                             ;   in Loop: Header=BB4_137 Depth=3
	v_cmp_lt_i32_e32 vcc, -1, v2
	v_bfrev_b32_e32 v0, 0.5
	v_cndmask_b32_e32 v16, v0, v52, vcc
; %bb.1152:                             ;   in Loop: Header=BB4_137 Depth=3
	s_or_b64 exec, exec, s[94:95]
.LBB4_1153:                             ;   in Loop: Header=BB4_137 Depth=3
	s_or_b64 exec, exec, s[26:27]
	v_mov_b32_e32 v0, v9
	v_mov_b32_e32 v1, v17
	v_cmp_ne_u16_sdwa s[94:95], v9, v17 src0_sel:BYTE_0 src1_sel:DWORD
	v_mov_b32_e32 v2, 0
	s_and_saveexec_b64 s[26:27], s[94:95]
	s_cbranch_execz .LBB4_1161
; %bb.1154:                             ;   in Loop: Header=BB4_137 Depth=3
	v_cmp_ne_u16_sdwa vcc, v9, s96 src0_sel:BYTE_0 src1_sel:DWORD
	v_bfrev_b32_e32 v2, 1
	s_and_saveexec_b64 s[94:95], vcc
	s_cbranch_execz .LBB4_1160
; %bb.1155:                             ;   in Loop: Header=BB4_137 Depth=3
	v_and_b32_e32 v2, 0x7c, v9
	v_and_b32_e32 v3, 3, v9
	v_cmp_ne_u32_e32 vcc, s85, v2
                                        ; implicit-def: $vgpr2
	s_and_saveexec_b64 s[30:31], vcc
	s_xor_b64 s[30:31], exec, s[30:31]
	s_cbranch_execz .LBB4_1157
; %bb.1156:                             ;   in Loop: Header=BB4_137 Depth=3
	v_ffbh_u32_e32 v2, v3
	v_min_u32_e32 v20, 32, v2
	v_subrev_u32_e32 v2, 29, v20
	v_lshlrev_b64 v[1:2], v2, v[0:1]
	v_bfe_u32 v12, v9, 2, 5
	v_and_b32_e32 v1, 3, v1
	v_cmp_eq_u32_e32 vcc, 0, v12
	v_sub_u32_e32 v2, 30, v20
	v_cndmask_b32_e32 v1, v3, v1, vcc
	v_lshlrev_b32_e32 v3, 24, v9
	v_cndmask_b32_e32 v2, v12, v2, vcc
	v_and_b32_e32 v3, 0x80000000, v3
	v_lshl_add_u32 v2, v2, 23, v3
	v_lshl_or_b32 v1, v1, 21, v2
	v_add_u32_e32 v2, 0x38000000, v1
                                        ; implicit-def: $vgpr3
.LBB4_1157:                             ;   in Loop: Header=BB4_137 Depth=3
	s_andn2_saveexec_b64 s[30:31], s[30:31]
; %bb.1158:                             ;   in Loop: Header=BB4_137 Depth=3
	v_mov_b32_e32 v1, -1
	v_cmp_gt_i16_sdwa vcc, sext(v9), v1 src0_sel:BYTE_0 src1_sel:DWORD
	v_mov_b32_e32 v1, 0xff800000
	v_mov_b32_e32 v2, 0x7f800000
	v_cndmask_b32_e32 v1, v1, v2, vcc
	v_cmp_eq_u32_e32 vcc, 0, v3
	v_mov_b32_e32 v2, 0x7f800001
	v_cndmask_b32_e32 v2, v2, v1, vcc
; %bb.1159:                             ;   in Loop: Header=BB4_137 Depth=3
	s_or_b64 exec, exec, s[30:31]
.LBB4_1160:                             ;   in Loop: Header=BB4_137 Depth=3
	s_or_b64 exec, exec, s[94:95]
.LBB4_1161:                             ;   in Loop: Header=BB4_137 Depth=3
	s_or_b64 exec, exec, s[26:27]
	v_mul_f32_e32 v3, v21, v2
	v_and_b32_e32 v22, 0x7f800000, v3
	v_mov_b32_e32 v23, v17
	v_cmp_ne_u64_e32 vcc, s[76:77], v[22:23]
	v_and_b32_e32 v1, 0x7fffff, v3
	v_mov_b32_e32 v2, v17
                                        ; implicit-def: $vgpr20
	s_and_saveexec_b64 s[26:27], vcc
	s_xor_b64 s[94:95], exec, s[26:27]
	s_cbranch_execz .LBB4_1175
; %bb.1162:                             ;   in Loop: Header=BB4_137 Depth=3
	v_and_b32_e32 v22, 0x7fffffff, v3
	v_mov_b32_e32 v23, v17
	v_cmp_gt_u64_e32 vcc, s[78:79], v[22:23]
	v_and_b32_sdwa v12, v3, s96 dst_sel:DWORD dst_unused:UNUSED_PAD src0_sel:BYTE_3 src1_sel:DWORD
                                        ; implicit-def: $vgpr20
	s_and_saveexec_b64 s[26:27], vcc
	s_xor_b64 s[30:31], exec, s[26:27]
	s_cbranch_execz .LBB4_1172
; %bb.1163:                             ;   in Loop: Header=BB4_137 Depth=3
	v_mov_b32_e32 v20, 0
	v_cmp_ne_u32_e32 vcc, 0, v3
	s_and_saveexec_b64 s[34:35], vcc
	s_cbranch_execz .LBB4_1171
; %bb.1164:                             ;   in Loop: Header=BB4_137 Depth=3
	v_bfe_u32 v20, v3, 23, 8
	v_cmp_gt_u32_e64 s[26:27], s46, v20
	v_sub_u32_e32 v3, 0x71, v20
	v_cmp_eq_u32_e32 vcc, 0, v20
	v_cndmask_b32_e64 v3, 0, v3, s[26:27]
	v_mov_b32_e32 v22, 0x70
	v_cndmask_b32_e32 v22, v3, v22, vcc
	v_or_b32_e32 v23, 0x800000, v1
	v_add_u32_e32 v3, 21, v22
	v_cndmask_b32_e32 v1, v23, v1, vcc
	v_lshlrev_b64 v[23:24], v3, -1
	v_add_u32_e32 v3, 20, v22
	v_bfi_b32 v23, v23, 0, v1
	v_lshlrev_b64 v[25:26], v3, 1
	v_lshrrev_b64 v[1:2], v22, v[1:2]
	v_bfi_b32 v24, v24, 0, 0
	v_cmp_eq_u64_e64 s[26:27], v[23:24], v[25:26]
	v_mov_b32_e32 v3, v2
	v_mov_b32_e32 v2, v1
	s_and_saveexec_b64 s[36:37], s[26:27]
; %bb.1165:                             ;   in Loop: Header=BB4_137 Depth=3
	v_bfe_u32 v2, v1, 21, 1
	v_add_co_u32_e64 v2, s[26:27], v1, v2
	v_add_co_u32_e64 v2, s[26:27], -1, v2
; %bb.1166:                             ;   in Loop: Header=BB4_137 Depth=3
	s_or_b64 exec, exec, s[36:37]
	v_add_u32_e32 v3, 0xffffff81, v20
	v_mov_b32_e32 v20, 0xffffff82
	v_cndmask_b32_e32 v3, v3, v20, vcc
	v_lshrrev_b32_e32 v20, 23, v1
	v_add3_u32 v22, v22, v3, v20
	v_add_u32_e32 v20, 14, v22
	v_and_b32_e32 v2, 0x1fffff, v2
	v_add_u32_e32 v1, v2, v1
	v_mov_b32_e32 v2, v17
	v_cmp_ne_u32_e32 vcc, 0, v20
                                        ; implicit-def: $vgpr3
	s_and_saveexec_b64 s[26:27], vcc
	s_xor_b64 s[26:27], exec, s[26:27]
; %bb.1167:                             ;   in Loop: Header=BB4_137 Depth=3
	v_cmp_lt_u64_e32 vcc, s[88:89], v[1:2]
	v_add_u32_e32 v3, 15, v22
	v_cndmask_b32_e32 v3, v20, v3, vcc
	v_cndmask_b32_e64 v20, 0, 1, vcc
	v_lshrrev_b64 v[1:2], v20, v[1:2]
; %bb.1168:                             ;   in Loop: Header=BB4_137 Depth=3
	s_andn2_saveexec_b64 s[26:27], s[26:27]
; %bb.1169:                             ;   in Loop: Header=BB4_137 Depth=3
	v_bfe_u32 v3, v1, 23, 1
; %bb.1170:                             ;   in Loop: Header=BB4_137 Depth=3
	s_or_b64 exec, exec, s[26:27]
	v_lshrrev_b64 v[1:2], 21, v[1:2]
	v_cmp_gt_i32_e32 vcc, 32, v3
	v_cndmask_b32_e32 v2, 0, v2, vcc
	v_cndmask_b32_e32 v1, 3, v1, vcc
	v_cmp_eq_u64_e64 s[26:27], 0, v[1:2]
	v_min_i32_e32 v2, 31, v3
	v_lshlrev_b32_e32 v2, 2, v2
	v_cmp_eq_u32_e32 vcc, 0, v3
	v_and_b32_e32 v2, 0xfc, v2
	v_and_or_b32 v1, v1, 3, v2
	s_and_b64 s[26:27], vcc, s[26:27]
	v_cndmask_b32_e64 v1, v1, 0, s[26:27]
	v_or_b32_e32 v20, v1, v12
.LBB4_1171:                             ;   in Loop: Header=BB4_137 Depth=3
	s_or_b64 exec, exec, s[34:35]
                                        ; implicit-def: $vgpr12
.LBB4_1172:                             ;   in Loop: Header=BB4_137 Depth=3
	s_andn2_saveexec_b64 s[26:27], s[30:31]
; %bb.1173:                             ;   in Loop: Header=BB4_137 Depth=3
	v_or_b32_e32 v20, 0x7b, v12
; %bb.1174:                             ;   in Loop: Header=BB4_137 Depth=3
	s_or_b64 exec, exec, s[26:27]
                                        ; implicit-def: $vgpr3
                                        ; implicit-def: $vgpr1_vgpr2
.LBB4_1175:                             ;   in Loop: Header=BB4_137 Depth=3
	s_andn2_saveexec_b64 s[26:27], s[94:95]
	s_cbranch_execz .LBB4_1181
; %bb.1176:                             ;   in Loop: Header=BB4_137 Depth=3
	v_cmp_ne_u64_e32 vcc, 0, v[1:2]
                                        ; implicit-def: $vgpr20
	s_and_saveexec_b64 s[94:95], vcc
	s_xor_b64 s[94:95], exec, s[94:95]
; %bb.1177:                             ;   in Loop: Header=BB4_137 Depth=3
	v_or_b32_sdwa v20, v3, s47 dst_sel:DWORD dst_unused:UNUSED_PAD src0_sel:BYTE_3 src1_sel:DWORD
                                        ; implicit-def: $vgpr3
; %bb.1178:                             ;   in Loop: Header=BB4_137 Depth=3
	s_andn2_saveexec_b64 s[94:95], s[94:95]
; %bb.1179:                             ;   in Loop: Header=BB4_137 Depth=3
	v_cmp_lt_i32_e32 vcc, -1, v3
	v_bfrev_b32_e32 v1, 0.5
	v_cndmask_b32_e32 v20, v1, v52, vcc
; %bb.1180:                             ;   in Loop: Header=BB4_137 Depth=3
	s_or_b64 exec, exec, s[94:95]
.LBB4_1181:                             ;   in Loop: Header=BB4_137 Depth=3
	s_or_b64 exec, exec, s[26:27]
	v_lshrrev_b16_e32 v1, 8, v0
	v_cmp_ne_u16_e32 vcc, 0, v1
	v_mov_b32_e32 v2, 0
	s_and_saveexec_b64 s[26:27], vcc
	s_cbranch_execz .LBB4_1189
; %bb.1182:                             ;   in Loop: Header=BB4_137 Depth=3
	v_cmp_ne_u16_e32 vcc, s96, v1
	v_bfrev_b32_e32 v2, 1
	s_and_saveexec_b64 s[94:95], vcc
	s_cbranch_execz .LBB4_1188
; %bb.1183:                             ;   in Loop: Header=BB4_137 Depth=3
	v_and_b32_e32 v2, 0x7c, v1
	v_and_b32_e32 v3, 3, v1
	v_cmp_ne_u32_e32 vcc, s85, v2
                                        ; implicit-def: $vgpr2
	s_and_saveexec_b64 s[30:31], vcc
	s_xor_b64 s[30:31], exec, s[30:31]
	s_cbranch_execz .LBB4_1185
; %bb.1184:                             ;   in Loop: Header=BB4_137 Depth=3
	v_ffbh_u32_e32 v22, v3
	v_min_u32_e32 v22, 32, v22
	v_mov_b32_e32 v2, v17
	v_subrev_u32_e32 v23, 29, v22
	v_bfe_u32 v12, v1, 2, 5
	v_lshlrev_b64 v[1:2], v23, v[1:2]
	v_sub_u32_e32 v2, 30, v22
	v_cmp_eq_u32_e32 vcc, 0, v12
	v_lshlrev_b32_e32 v0, 16, v0
	v_and_b32_e32 v1, 3, v1
	v_cndmask_b32_e32 v2, v12, v2, vcc
	v_and_b32_e32 v0, 0x80000000, v0
	v_cndmask_b32_e32 v1, v3, v1, vcc
	v_lshl_add_u32 v0, v2, 23, v0
	v_lshl_or_b32 v0, v1, 21, v0
	v_add_u32_e32 v2, 0x38000000, v0
                                        ; implicit-def: $vgpr3
                                        ; implicit-def: $vgpr0_vgpr1
.LBB4_1185:                             ;   in Loop: Header=BB4_137 Depth=3
	s_andn2_saveexec_b64 s[30:31], s[30:31]
; %bb.1186:                             ;   in Loop: Header=BB4_137 Depth=3
	v_cmp_lt_i16_e32 vcc, -1, v0
	v_mov_b32_e32 v0, 0xff800000
	v_mov_b32_e32 v1, 0x7f800000
	v_cndmask_b32_e32 v0, v0, v1, vcc
	v_cmp_eq_u32_e32 vcc, 0, v3
	v_mov_b32_e32 v1, 0x7f800001
	v_cndmask_b32_e32 v2, v1, v0, vcc
; %bb.1187:                             ;   in Loop: Header=BB4_137 Depth=3
	s_or_b64 exec, exec, s[30:31]
.LBB4_1188:                             ;   in Loop: Header=BB4_137 Depth=3
	s_or_b64 exec, exec, s[94:95]
.LBB4_1189:                             ;   in Loop: Header=BB4_137 Depth=3
	s_or_b64 exec, exec, s[26:27]
	v_mul_f32_e32 v2, v21, v2
	v_and_b32_e32 v22, 0x7f800000, v2
	v_mov_b32_e32 v23, v17
	v_cmp_ne_u64_e32 vcc, s[76:77], v[22:23]
	v_and_b32_e32 v0, 0x7fffff, v2
	v_mov_b32_e32 v1, v17
                                        ; implicit-def: $vgpr12
	s_and_saveexec_b64 s[26:27], vcc
	s_xor_b64 s[94:95], exec, s[26:27]
	s_cbranch_execz .LBB4_1203
; %bb.1190:                             ;   in Loop: Header=BB4_137 Depth=3
	v_and_b32_e32 v22, 0x7fffffff, v2
	v_mov_b32_e32 v23, v17
	v_cmp_gt_u64_e32 vcc, s[78:79], v[22:23]
	v_and_b32_sdwa v3, v2, s96 dst_sel:DWORD dst_unused:UNUSED_PAD src0_sel:BYTE_3 src1_sel:DWORD
                                        ; implicit-def: $vgpr12
	s_and_saveexec_b64 s[26:27], vcc
	s_xor_b64 s[30:31], exec, s[26:27]
	s_cbranch_execz .LBB4_1200
; %bb.1191:                             ;   in Loop: Header=BB4_137 Depth=3
	v_mov_b32_e32 v12, 0
	v_cmp_ne_u32_e32 vcc, 0, v2
	s_and_saveexec_b64 s[34:35], vcc
	s_cbranch_execz .LBB4_1199
; %bb.1192:                             ;   in Loop: Header=BB4_137 Depth=3
	v_bfe_u32 v12, v2, 23, 8
	v_cmp_gt_u32_e64 s[26:27], s46, v12
	v_sub_u32_e32 v2, 0x71, v12
	v_cmp_eq_u32_e32 vcc, 0, v12
	v_cndmask_b32_e64 v2, 0, v2, s[26:27]
	v_mov_b32_e32 v22, 0x70
	v_cndmask_b32_e32 v22, v2, v22, vcc
	v_or_b32_e32 v23, 0x800000, v0
	v_add_u32_e32 v2, 21, v22
	v_cndmask_b32_e32 v0, v23, v0, vcc
	v_lshlrev_b64 v[23:24], v2, -1
	v_add_u32_e32 v2, 20, v22
	v_bfi_b32 v23, v23, 0, v0
	v_lshlrev_b64 v[25:26], v2, 1
	v_lshrrev_b64 v[0:1], v22, v[0:1]
	v_bfi_b32 v24, v24, 0, 0
	v_cmp_eq_u64_e64 s[26:27], v[23:24], v[25:26]
	v_mov_b32_e32 v2, v1
	v_mov_b32_e32 v1, v0
	s_and_saveexec_b64 s[36:37], s[26:27]
; %bb.1193:                             ;   in Loop: Header=BB4_137 Depth=3
	v_bfe_u32 v1, v0, 21, 1
	v_add_co_u32_e64 v1, s[26:27], v0, v1
	v_add_co_u32_e64 v1, s[26:27], -1, v1
; %bb.1194:                             ;   in Loop: Header=BB4_137 Depth=3
	s_or_b64 exec, exec, s[36:37]
	v_add_u32_e32 v2, 0xffffff81, v12
	v_mov_b32_e32 v12, 0xffffff82
	v_cndmask_b32_e32 v2, v2, v12, vcc
	v_lshrrev_b32_e32 v12, 23, v0
	v_add3_u32 v22, v22, v2, v12
	v_add_u32_e32 v12, 14, v22
	v_and_b32_e32 v1, 0x1fffff, v1
	v_add_u32_e32 v0, v1, v0
	v_mov_b32_e32 v1, v17
	v_cmp_ne_u32_e32 vcc, 0, v12
                                        ; implicit-def: $vgpr2
	s_and_saveexec_b64 s[26:27], vcc
	s_xor_b64 s[26:27], exec, s[26:27]
; %bb.1195:                             ;   in Loop: Header=BB4_137 Depth=3
	v_cmp_lt_u64_e32 vcc, s[88:89], v[0:1]
	v_add_u32_e32 v2, 15, v22
	v_cndmask_b32_e32 v2, v12, v2, vcc
	v_cndmask_b32_e64 v12, 0, 1, vcc
	v_lshrrev_b64 v[0:1], v12, v[0:1]
; %bb.1196:                             ;   in Loop: Header=BB4_137 Depth=3
	s_andn2_saveexec_b64 s[26:27], s[26:27]
; %bb.1197:                             ;   in Loop: Header=BB4_137 Depth=3
	v_bfe_u32 v2, v0, 23, 1
; %bb.1198:                             ;   in Loop: Header=BB4_137 Depth=3
	s_or_b64 exec, exec, s[26:27]
	v_lshrrev_b64 v[0:1], 21, v[0:1]
	v_cmp_gt_i32_e32 vcc, 32, v2
	v_cndmask_b32_e32 v1, 0, v1, vcc
	v_cndmask_b32_e32 v0, 3, v0, vcc
	v_cmp_eq_u64_e64 s[26:27], 0, v[0:1]
	v_min_i32_e32 v1, 31, v2
	v_lshlrev_b32_e32 v1, 2, v1
	v_cmp_eq_u32_e32 vcc, 0, v2
	v_and_b32_e32 v1, 0xfc, v1
	v_and_or_b32 v0, v0, 3, v1
	s_and_b64 s[26:27], vcc, s[26:27]
	v_cndmask_b32_e64 v0, v0, 0, s[26:27]
	v_or_b32_e32 v12, v0, v3
.LBB4_1199:                             ;   in Loop: Header=BB4_137 Depth=3
	s_or_b64 exec, exec, s[34:35]
                                        ; implicit-def: $vgpr3
.LBB4_1200:                             ;   in Loop: Header=BB4_137 Depth=3
	s_andn2_saveexec_b64 s[26:27], s[30:31]
; %bb.1201:                             ;   in Loop: Header=BB4_137 Depth=3
	v_or_b32_e32 v12, 0x7b, v3
; %bb.1202:                             ;   in Loop: Header=BB4_137 Depth=3
	s_or_b64 exec, exec, s[26:27]
                                        ; implicit-def: $vgpr2
                                        ; implicit-def: $vgpr0_vgpr1
.LBB4_1203:                             ;   in Loop: Header=BB4_137 Depth=3
	s_andn2_saveexec_b64 s[26:27], s[94:95]
	s_cbranch_execz .LBB4_1209
; %bb.1204:                             ;   in Loop: Header=BB4_137 Depth=3
	v_cmp_ne_u64_e32 vcc, 0, v[0:1]
                                        ; implicit-def: $vgpr12
	s_and_saveexec_b64 s[94:95], vcc
	s_xor_b64 s[94:95], exec, s[94:95]
; %bb.1205:                             ;   in Loop: Header=BB4_137 Depth=3
	v_or_b32_sdwa v12, v2, s47 dst_sel:DWORD dst_unused:UNUSED_PAD src0_sel:BYTE_3 src1_sel:DWORD
                                        ; implicit-def: $vgpr2
; %bb.1206:                             ;   in Loop: Header=BB4_137 Depth=3
	s_andn2_saveexec_b64 s[94:95], s[94:95]
; %bb.1207:                             ;   in Loop: Header=BB4_137 Depth=3
	v_cmp_lt_i32_e32 vcc, -1, v2
	v_bfrev_b32_e32 v0, 0.5
	v_cndmask_b32_e32 v12, v0, v52, vcc
; %bb.1208:                             ;   in Loop: Header=BB4_137 Depth=3
	s_or_b64 exec, exec, s[94:95]
.LBB4_1209:                             ;   in Loop: Header=BB4_137 Depth=3
	s_or_b64 exec, exec, s[26:27]
	v_lshrrev_b32_e32 v0, 16, v9
	v_cmp_ne_u16_sdwa s[94:95], v0, v17 src0_sel:BYTE_0 src1_sel:DWORD
	v_mov_b32_e32 v1, 0
	s_and_saveexec_b64 s[26:27], s[94:95]
	s_cbranch_execz .LBB4_1217
; %bb.1210:                             ;   in Loop: Header=BB4_137 Depth=3
	v_cmp_ne_u16_sdwa vcc, v0, s96 src0_sel:BYTE_0 src1_sel:DWORD
	v_bfrev_b32_e32 v1, 1
	s_and_saveexec_b64 s[94:95], vcc
	s_cbranch_execz .LBB4_1216
; %bb.1211:                             ;   in Loop: Header=BB4_137 Depth=3
	v_and_b32_e32 v1, 0x7c0000, v9
	v_bfe_u32 v2, v9, 16, 2
	v_cmp_ne_u32_e32 vcc, s44, v1
                                        ; implicit-def: $vgpr1
	s_and_saveexec_b64 s[30:31], vcc
	s_xor_b64 s[30:31], exec, s[30:31]
	s_cbranch_execz .LBB4_1213
; %bb.1212:                             ;   in Loop: Header=BB4_137 Depth=3
	v_ffbh_u32_e32 v1, v2
	v_min_u32_e32 v22, 32, v1
	v_subrev_u32_e32 v1, 29, v22
	v_lshlrev_b64 v[0:1], v1, v[0:1]
	v_bfe_u32 v3, v9, 18, 5
	v_and_b32_e32 v0, 3, v0
	v_cmp_eq_u32_e32 vcc, 0, v3
	v_sub_u32_e32 v1, 30, v22
	v_cndmask_b32_e32 v0, v2, v0, vcc
	v_lshlrev_b32_e32 v2, 8, v9
	v_cndmask_b32_e32 v1, v3, v1, vcc
	v_and_b32_e32 v2, 0x80000000, v2
	v_lshl_add_u32 v1, v1, 23, v2
	v_lshl_or_b32 v0, v0, 21, v1
	v_add_u32_e32 v1, 0x38000000, v0
                                        ; implicit-def: $vgpr2
                                        ; implicit-def: $vgpr0
.LBB4_1213:                             ;   in Loop: Header=BB4_137 Depth=3
	s_andn2_saveexec_b64 s[30:31], s[30:31]
; %bb.1214:                             ;   in Loop: Header=BB4_137 Depth=3
	v_mov_b32_e32 v1, -1
	v_cmp_gt_i16_sdwa vcc, sext(v0), v1 src0_sel:BYTE_0 src1_sel:DWORD
	v_mov_b32_e32 v0, 0xff800000
	v_mov_b32_e32 v1, 0x7f800000
	v_cndmask_b32_e32 v0, v0, v1, vcc
	v_cmp_eq_u32_e32 vcc, 0, v2
	v_mov_b32_e32 v1, 0x7f800001
	v_cndmask_b32_e32 v1, v1, v0, vcc
; %bb.1215:                             ;   in Loop: Header=BB4_137 Depth=3
	s_or_b64 exec, exec, s[30:31]
.LBB4_1216:                             ;   in Loop: Header=BB4_137 Depth=3
	s_or_b64 exec, exec, s[94:95]
.LBB4_1217:                             ;   in Loop: Header=BB4_137 Depth=3
	s_or_b64 exec, exec, s[26:27]
	v_mul_f32_e32 v2, v21, v1
	v_and_b32_e32 v22, 0x7f800000, v2
	v_mov_b32_e32 v23, v17
	v_cmp_ne_u64_e32 vcc, s[76:77], v[22:23]
	v_and_b32_e32 v0, 0x7fffff, v2
	v_mov_b32_e32 v1, v17
                                        ; implicit-def: $vgpr22
	s_and_saveexec_b64 s[26:27], vcc
	s_xor_b64 s[94:95], exec, s[26:27]
	s_cbranch_execz .LBB4_1231
; %bb.1218:                             ;   in Loop: Header=BB4_137 Depth=3
	v_and_b32_e32 v22, 0x7fffffff, v2
	v_mov_b32_e32 v23, v17
	v_cmp_gt_u64_e32 vcc, s[78:79], v[22:23]
	v_and_b32_sdwa v3, v2, s96 dst_sel:DWORD dst_unused:UNUSED_PAD src0_sel:BYTE_3 src1_sel:DWORD
                                        ; implicit-def: $vgpr22
	s_and_saveexec_b64 s[26:27], vcc
	s_xor_b64 s[30:31], exec, s[26:27]
	s_cbranch_execz .LBB4_1228
; %bb.1219:                             ;   in Loop: Header=BB4_137 Depth=3
	v_mov_b32_e32 v22, 0
	v_cmp_ne_u32_e32 vcc, 0, v2
	s_and_saveexec_b64 s[34:35], vcc
	s_cbranch_execz .LBB4_1227
; %bb.1220:                             ;   in Loop: Header=BB4_137 Depth=3
	v_bfe_u32 v22, v2, 23, 8
	v_cmp_gt_u32_e64 s[26:27], s46, v22
	v_sub_u32_e32 v2, 0x71, v22
	v_cmp_eq_u32_e32 vcc, 0, v22
	v_cndmask_b32_e64 v2, 0, v2, s[26:27]
	v_mov_b32_e32 v23, 0x70
	v_cndmask_b32_e32 v23, v2, v23, vcc
	v_or_b32_e32 v24, 0x800000, v0
	v_add_u32_e32 v2, 21, v23
	v_cndmask_b32_e32 v0, v24, v0, vcc
	v_lshlrev_b64 v[24:25], v2, -1
	v_add_u32_e32 v2, 20, v23
	v_bfi_b32 v24, v24, 0, v0
	v_lshlrev_b64 v[26:27], v2, 1
	v_lshrrev_b64 v[0:1], v23, v[0:1]
	v_bfi_b32 v25, v25, 0, 0
	v_cmp_eq_u64_e64 s[26:27], v[24:25], v[26:27]
	v_mov_b32_e32 v2, v1
	v_mov_b32_e32 v1, v0
	s_and_saveexec_b64 s[36:37], s[26:27]
; %bb.1221:                             ;   in Loop: Header=BB4_137 Depth=3
	v_bfe_u32 v1, v0, 21, 1
	v_add_co_u32_e64 v1, s[26:27], v0, v1
	v_add_co_u32_e64 v1, s[26:27], -1, v1
; %bb.1222:                             ;   in Loop: Header=BB4_137 Depth=3
	s_or_b64 exec, exec, s[36:37]
	v_add_u32_e32 v2, 0xffffff81, v22
	v_mov_b32_e32 v22, 0xffffff82
	v_cndmask_b32_e32 v2, v2, v22, vcc
	v_lshrrev_b32_e32 v22, 23, v0
	v_add3_u32 v23, v23, v2, v22
	v_add_u32_e32 v22, 14, v23
	v_and_b32_e32 v1, 0x1fffff, v1
	v_add_u32_e32 v0, v1, v0
	v_mov_b32_e32 v1, v17
	v_cmp_ne_u32_e32 vcc, 0, v22
                                        ; implicit-def: $vgpr2
	s_and_saveexec_b64 s[26:27], vcc
	s_xor_b64 s[26:27], exec, s[26:27]
; %bb.1223:                             ;   in Loop: Header=BB4_137 Depth=3
	v_cmp_lt_u64_e32 vcc, s[88:89], v[0:1]
	v_add_u32_e32 v2, 15, v23
	v_cndmask_b32_e32 v2, v22, v2, vcc
	v_cndmask_b32_e64 v22, 0, 1, vcc
	v_lshrrev_b64 v[0:1], v22, v[0:1]
; %bb.1224:                             ;   in Loop: Header=BB4_137 Depth=3
	s_andn2_saveexec_b64 s[26:27], s[26:27]
; %bb.1225:                             ;   in Loop: Header=BB4_137 Depth=3
	v_bfe_u32 v2, v0, 23, 1
; %bb.1226:                             ;   in Loop: Header=BB4_137 Depth=3
	s_or_b64 exec, exec, s[26:27]
	v_lshrrev_b64 v[0:1], 21, v[0:1]
	v_cmp_gt_i32_e32 vcc, 32, v2
	v_cndmask_b32_e32 v1, 0, v1, vcc
	v_cndmask_b32_e32 v0, 3, v0, vcc
	v_cmp_eq_u64_e64 s[26:27], 0, v[0:1]
	v_min_i32_e32 v1, 31, v2
	v_lshlrev_b32_e32 v1, 2, v1
	v_cmp_eq_u32_e32 vcc, 0, v2
	v_and_b32_e32 v1, 0xfc, v1
	v_and_or_b32 v0, v0, 3, v1
	s_and_b64 s[26:27], vcc, s[26:27]
	v_cndmask_b32_e64 v0, v0, 0, s[26:27]
	v_or_b32_e32 v22, v0, v3
.LBB4_1227:                             ;   in Loop: Header=BB4_137 Depth=3
	s_or_b64 exec, exec, s[34:35]
                                        ; implicit-def: $vgpr3
.LBB4_1228:                             ;   in Loop: Header=BB4_137 Depth=3
	s_andn2_saveexec_b64 s[26:27], s[30:31]
; %bb.1229:                             ;   in Loop: Header=BB4_137 Depth=3
	v_or_b32_e32 v22, 0x7b, v3
; %bb.1230:                             ;   in Loop: Header=BB4_137 Depth=3
	s_or_b64 exec, exec, s[26:27]
                                        ; implicit-def: $vgpr2
                                        ; implicit-def: $vgpr0_vgpr1
.LBB4_1231:                             ;   in Loop: Header=BB4_137 Depth=3
	s_andn2_saveexec_b64 s[26:27], s[94:95]
	s_cbranch_execz .LBB4_1237
; %bb.1232:                             ;   in Loop: Header=BB4_137 Depth=3
	v_cmp_ne_u64_e32 vcc, 0, v[0:1]
                                        ; implicit-def: $vgpr22
	s_and_saveexec_b64 s[94:95], vcc
	s_xor_b64 s[94:95], exec, s[94:95]
; %bb.1233:                             ;   in Loop: Header=BB4_137 Depth=3
	v_or_b32_sdwa v22, v2, s47 dst_sel:DWORD dst_unused:UNUSED_PAD src0_sel:BYTE_3 src1_sel:DWORD
                                        ; implicit-def: $vgpr2
; %bb.1234:                             ;   in Loop: Header=BB4_137 Depth=3
	s_andn2_saveexec_b64 s[94:95], s[94:95]
; %bb.1235:                             ;   in Loop: Header=BB4_137 Depth=3
	v_cmp_lt_i32_e32 vcc, -1, v2
	v_bfrev_b32_e32 v0, 0.5
	v_cndmask_b32_e32 v22, v0, v52, vcc
; %bb.1236:                             ;   in Loop: Header=BB4_137 Depth=3
	s_or_b64 exec, exec, s[94:95]
.LBB4_1237:                             ;   in Loop: Header=BB4_137 Depth=3
	s_or_b64 exec, exec, s[26:27]
	v_cmp_lt_u64_e32 vcc, s[56:57], v[8:9]
	v_mov_b32_e32 v1, 0
	s_and_saveexec_b64 s[26:27], vcc
	s_cbranch_execz .LBB4_1245
; %bb.1238:                             ;   in Loop: Header=BB4_137 Depth=3
	v_lshrrev_b32_e32 v0, 24, v9
	v_cmp_ne_u32_e32 vcc, s96, v0
	v_bfrev_b32_e32 v1, 1
	s_and_saveexec_b64 s[94:95], vcc
	s_cbranch_execz .LBB4_1244
; %bb.1239:                             ;   in Loop: Header=BB4_137 Depth=3
	v_and_b32_e32 v1, 0x7c000000, v9
	v_bfe_u32 v2, v9, 24, 2
	v_cmp_ne_u32_e32 vcc, s45, v1
                                        ; implicit-def: $vgpr1
	s_and_saveexec_b64 s[30:31], vcc
	s_xor_b64 s[30:31], exec, s[30:31]
	s_cbranch_execz .LBB4_1241
; %bb.1240:                             ;   in Loop: Header=BB4_137 Depth=3
	v_ffbh_u32_e32 v1, v2
	v_min_u32_e32 v23, 32, v1
	v_subrev_u32_e32 v1, 29, v23
	v_lshlrev_b64 v[0:1], v1, v[0:1]
	v_bfe_u32 v3, v9, 26, 5
	v_sub_u32_e32 v1, 30, v23
	v_and_b32_e32 v0, 3, v0
	v_cmp_eq_u32_e32 vcc, 0, v3
	v_cndmask_b32_e32 v1, v3, v1, vcc
	v_cndmask_b32_e32 v0, v2, v0, vcc
	v_and_b32_e32 v2, 0x80000000, v9
	v_lshl_add_u32 v1, v1, 23, v2
	v_lshl_or_b32 v0, v0, 21, v1
	v_add_u32_e32 v1, 0x38000000, v0
                                        ; implicit-def: $vgpr2
.LBB4_1241:                             ;   in Loop: Header=BB4_137 Depth=3
	s_andn2_saveexec_b64 s[30:31], s[30:31]
; %bb.1242:                             ;   in Loop: Header=BB4_137 Depth=3
	v_cmp_lt_i64_e32 vcc, -1, v[8:9]
	v_mov_b32_e32 v0, 0xff800000
	v_mov_b32_e32 v1, 0x7f800000
	v_cndmask_b32_e32 v0, v0, v1, vcc
	v_cmp_eq_u32_e32 vcc, 0, v2
	v_mov_b32_e32 v1, 0x7f800001
	v_cndmask_b32_e32 v1, v1, v0, vcc
; %bb.1243:                             ;   in Loop: Header=BB4_137 Depth=3
	s_or_b64 exec, exec, s[30:31]
.LBB4_1244:                             ;   in Loop: Header=BB4_137 Depth=3
	s_or_b64 exec, exec, s[94:95]
.LBB4_1245:                             ;   in Loop: Header=BB4_137 Depth=3
	s_or_b64 exec, exec, s[26:27]
	v_mul_f32_e32 v2, v21, v1
	v_and_b32_e32 v8, 0x7f800000, v2
	v_mov_b32_e32 v9, v17
	v_cmp_ne_u64_e32 vcc, s[76:77], v[8:9]
	v_and_b32_e32 v0, 0x7fffff, v2
	v_mov_b32_e32 v1, v17
                                        ; implicit-def: $vgpr23
	s_and_saveexec_b64 s[26:27], vcc
	s_xor_b64 s[94:95], exec, s[26:27]
	s_cbranch_execz .LBB4_1259
; %bb.1246:                             ;   in Loop: Header=BB4_137 Depth=3
	v_and_b32_e32 v8, 0x7fffffff, v2
	v_mov_b32_e32 v9, v17
	v_cmp_gt_u64_e32 vcc, s[78:79], v[8:9]
	v_and_b32_sdwa v3, v2, s96 dst_sel:DWORD dst_unused:UNUSED_PAD src0_sel:BYTE_3 src1_sel:DWORD
                                        ; implicit-def: $vgpr23
	s_and_saveexec_b64 s[26:27], vcc
	s_xor_b64 s[30:31], exec, s[26:27]
	s_cbranch_execz .LBB4_1256
; %bb.1247:                             ;   in Loop: Header=BB4_137 Depth=3
	v_mov_b32_e32 v23, 0
	v_cmp_ne_u32_e32 vcc, 0, v2
	s_and_saveexec_b64 s[34:35], vcc
	s_cbranch_execz .LBB4_1255
; %bb.1248:                             ;   in Loop: Header=BB4_137 Depth=3
	v_bfe_u32 v8, v2, 23, 8
	v_cmp_gt_u32_e64 s[26:27], s46, v8
	v_sub_u32_e32 v2, 0x71, v8
	v_cmp_eq_u32_e32 vcc, 0, v8
	v_cndmask_b32_e64 v2, 0, v2, s[26:27]
	v_mov_b32_e32 v9, 0x70
	v_cndmask_b32_e32 v9, v2, v9, vcc
	v_or_b32_e32 v23, 0x800000, v0
	v_add_u32_e32 v2, 21, v9
	v_cndmask_b32_e32 v0, v23, v0, vcc
	v_lshlrev_b64 v[23:24], v2, -1
	v_add_u32_e32 v2, 20, v9
	v_bfi_b32 v23, v23, 0, v0
	v_lshlrev_b64 v[25:26], v2, 1
	v_lshrrev_b64 v[0:1], v9, v[0:1]
	v_bfi_b32 v24, v24, 0, 0
	v_cmp_eq_u64_e64 s[26:27], v[23:24], v[25:26]
	v_mov_b32_e32 v2, v1
	v_mov_b32_e32 v1, v0
	s_and_saveexec_b64 s[36:37], s[26:27]
; %bb.1249:                             ;   in Loop: Header=BB4_137 Depth=3
	v_bfe_u32 v1, v0, 21, 1
	v_add_co_u32_e64 v1, s[26:27], v0, v1
	v_add_co_u32_e64 v1, s[26:27], -1, v1
; %bb.1250:                             ;   in Loop: Header=BB4_137 Depth=3
	s_or_b64 exec, exec, s[36:37]
	v_add_u32_e32 v2, 0xffffff81, v8
	v_mov_b32_e32 v8, 0xffffff82
	v_cndmask_b32_e32 v2, v2, v8, vcc
	v_lshrrev_b32_e32 v8, 23, v0
	v_add3_u32 v9, v9, v2, v8
	v_add_u32_e32 v8, 14, v9
	v_and_b32_e32 v1, 0x1fffff, v1
	v_add_u32_e32 v0, v1, v0
	v_mov_b32_e32 v1, v17
	v_cmp_ne_u32_e32 vcc, 0, v8
                                        ; implicit-def: $vgpr2
	s_and_saveexec_b64 s[26:27], vcc
	s_xor_b64 s[26:27], exec, s[26:27]
; %bb.1251:                             ;   in Loop: Header=BB4_137 Depth=3
	v_cmp_lt_u64_e32 vcc, s[88:89], v[0:1]
	v_add_u32_e32 v2, 15, v9
	v_cndmask_b32_e32 v2, v8, v2, vcc
	v_cndmask_b32_e64 v8, 0, 1, vcc
	v_lshrrev_b64 v[0:1], v8, v[0:1]
; %bb.1252:                             ;   in Loop: Header=BB4_137 Depth=3
	s_andn2_saveexec_b64 s[26:27], s[26:27]
; %bb.1253:                             ;   in Loop: Header=BB4_137 Depth=3
	v_bfe_u32 v2, v0, 23, 1
; %bb.1254:                             ;   in Loop: Header=BB4_137 Depth=3
	s_or_b64 exec, exec, s[26:27]
	v_lshrrev_b64 v[0:1], 21, v[0:1]
	v_cmp_gt_i32_e32 vcc, 32, v2
	v_cndmask_b32_e32 v1, 0, v1, vcc
	v_cndmask_b32_e32 v0, 3, v0, vcc
	v_cmp_eq_u64_e64 s[26:27], 0, v[0:1]
	v_min_i32_e32 v1, 31, v2
	v_lshlrev_b32_e32 v1, 2, v1
	v_cmp_eq_u32_e32 vcc, 0, v2
	v_and_b32_e32 v1, 0xfc, v1
	v_and_or_b32 v0, v0, 3, v1
	s_and_b64 s[26:27], vcc, s[26:27]
	v_cndmask_b32_e64 v0, v0, 0, s[26:27]
	v_or_b32_e32 v23, v0, v3
.LBB4_1255:                             ;   in Loop: Header=BB4_137 Depth=3
	s_or_b64 exec, exec, s[34:35]
                                        ; implicit-def: $vgpr3
.LBB4_1256:                             ;   in Loop: Header=BB4_137 Depth=3
	s_andn2_saveexec_b64 s[26:27], s[30:31]
; %bb.1257:                             ;   in Loop: Header=BB4_137 Depth=3
	v_or_b32_e32 v23, 0x7b, v3
; %bb.1258:                             ;   in Loop: Header=BB4_137 Depth=3
	s_or_b64 exec, exec, s[26:27]
                                        ; implicit-def: $vgpr2
                                        ; implicit-def: $vgpr0_vgpr1
.LBB4_1259:                             ;   in Loop: Header=BB4_137 Depth=3
	s_andn2_saveexec_b64 s[26:27], s[94:95]
	s_cbranch_execz .LBB4_1265
; %bb.1260:                             ;   in Loop: Header=BB4_137 Depth=3
	v_cmp_ne_u64_e32 vcc, 0, v[0:1]
                                        ; implicit-def: $vgpr23
	s_and_saveexec_b64 s[94:95], vcc
	s_xor_b64 s[94:95], exec, s[94:95]
; %bb.1261:                             ;   in Loop: Header=BB4_137 Depth=3
	v_or_b32_sdwa v23, v2, s47 dst_sel:DWORD dst_unused:UNUSED_PAD src0_sel:BYTE_3 src1_sel:DWORD
                                        ; implicit-def: $vgpr2
; %bb.1262:                             ;   in Loop: Header=BB4_137 Depth=3
	s_andn2_saveexec_b64 s[94:95], s[94:95]
; %bb.1263:                             ;   in Loop: Header=BB4_137 Depth=3
	v_cmp_lt_i32_e32 vcc, -1, v2
	v_bfrev_b32_e32 v0, 0.5
	v_cndmask_b32_e32 v23, v0, v52, vcc
; %bb.1264:                             ;   in Loop: Header=BB4_137 Depth=3
	s_or_b64 exec, exec, s[94:95]
.LBB4_1265:                             ;   in Loop: Header=BB4_137 Depth=3
	s_or_b64 exec, exec, s[26:27]
	v_cmp_ne_u16_sdwa s[94:95], v10, v17 src0_sel:BYTE_0 src1_sel:DWORD
	v_mov_b32_e32 v0, 0
	s_and_saveexec_b64 s[26:27], s[94:95]
	s_cbranch_execz .LBB4_1273
; %bb.1266:                             ;   in Loop: Header=BB4_137 Depth=3
	v_cmp_ne_u16_sdwa vcc, sext(v10), s97 src0_sel:BYTE_0 src1_sel:DWORD
	v_bfrev_b32_e32 v0, 1
	s_and_saveexec_b64 s[94:95], vcc
	s_cbranch_execz .LBB4_1272
; %bb.1267:                             ;   in Loop: Header=BB4_137 Depth=3
	v_and_b32_e32 v0, 0x7c, v10
	v_and_b32_e32 v1, 3, v10
	v_cmp_ne_u32_e32 vcc, s85, v0
                                        ; implicit-def: $vgpr0
	s_and_saveexec_b64 s[30:31], vcc
	s_xor_b64 s[30:31], exec, s[30:31]
	s_cbranch_execz .LBB4_1269
; %bb.1268:                             ;   in Loop: Header=BB4_137 Depth=3
	v_ffbh_u32_e32 v2, v1
	v_min_u32_e32 v8, 32, v2
	v_subrev_u32_e32 v2, 29, v8
	v_lshlrev_b64 v[2:3], v2, v[10:11]
	v_bfe_u32 v0, v10, 2, 5
	v_and_b32_e32 v2, 3, v2
	v_cmp_eq_u32_e32 vcc, 0, v0
	v_sub_u32_e32 v3, 30, v8
	v_cndmask_b32_e32 v1, v1, v2, vcc
	v_lshlrev_b32_e32 v2, 24, v10
	v_cndmask_b32_e32 v0, v0, v3, vcc
	v_and_b32_e32 v2, 0x80000000, v2
	v_lshl_add_u32 v0, v0, 23, v2
	v_lshl_or_b32 v0, v1, 21, v0
	v_add_u32_e32 v0, 0x38000000, v0
                                        ; implicit-def: $vgpr1
.LBB4_1269:                             ;   in Loop: Header=BB4_137 Depth=3
	s_andn2_saveexec_b64 s[30:31], s[30:31]
; %bb.1270:                             ;   in Loop: Header=BB4_137 Depth=3
	v_mov_b32_e32 v0, -1
	v_cmp_gt_i16_sdwa vcc, sext(v10), v0 src0_sel:BYTE_0 src1_sel:DWORD
	v_mov_b32_e32 v0, 0xff800000
	v_mov_b32_e32 v2, 0x7f800000
	v_cndmask_b32_e32 v0, v0, v2, vcc
	v_cmp_eq_u32_e32 vcc, 0, v1
	v_mov_b32_e32 v1, 0x7f800001
	v_cndmask_b32_e32 v0, v1, v0, vcc
; %bb.1271:                             ;   in Loop: Header=BB4_137 Depth=3
	s_or_b64 exec, exec, s[30:31]
.LBB4_1272:                             ;   in Loop: Header=BB4_137 Depth=3
	s_or_b64 exec, exec, s[94:95]
.LBB4_1273:                             ;   in Loop: Header=BB4_137 Depth=3
	s_or_b64 exec, exec, s[26:27]
	v_mul_f32_e32 v2, v21, v0
	v_and_b32_e32 v8, 0x7f800000, v2
	v_mov_b32_e32 v9, v17
	v_cmp_ne_u64_e32 vcc, s[76:77], v[8:9]
	v_and_b32_e32 v0, 0x7fffff, v2
	v_mov_b32_e32 v1, v17
                                        ; implicit-def: $vgpr24
	s_and_saveexec_b64 s[26:27], vcc
	s_xor_b64 s[94:95], exec, s[26:27]
	s_cbranch_execz .LBB4_1287
; %bb.1274:                             ;   in Loop: Header=BB4_137 Depth=3
	v_and_b32_e32 v8, 0x7fffffff, v2
	v_mov_b32_e32 v9, v17
	v_cmp_gt_u64_e32 vcc, s[78:79], v[8:9]
	v_and_b32_sdwa v3, v2, s96 dst_sel:DWORD dst_unused:UNUSED_PAD src0_sel:BYTE_3 src1_sel:DWORD
                                        ; implicit-def: $vgpr24
	s_and_saveexec_b64 s[26:27], vcc
	s_xor_b64 s[30:31], exec, s[26:27]
	s_cbranch_execz .LBB4_1284
; %bb.1275:                             ;   in Loop: Header=BB4_137 Depth=3
	v_mov_b32_e32 v24, 0
	v_cmp_ne_u32_e32 vcc, 0, v2
	s_and_saveexec_b64 s[34:35], vcc
	s_cbranch_execz .LBB4_1283
; %bb.1276:                             ;   in Loop: Header=BB4_137 Depth=3
	v_bfe_u32 v8, v2, 23, 8
	v_cmp_gt_u32_e64 s[26:27], s46, v8
	v_sub_u32_e32 v2, 0x71, v8
	v_cmp_eq_u32_e32 vcc, 0, v8
	v_cndmask_b32_e64 v2, 0, v2, s[26:27]
	v_mov_b32_e32 v9, 0x70
	v_cndmask_b32_e32 v9, v2, v9, vcc
	v_or_b32_e32 v24, 0x800000, v0
	v_add_u32_e32 v2, 21, v9
	v_cndmask_b32_e32 v0, v24, v0, vcc
	v_lshlrev_b64 v[24:25], v2, -1
	v_add_u32_e32 v2, 20, v9
	v_bfi_b32 v24, v24, 0, v0
	v_lshlrev_b64 v[26:27], v2, 1
	v_lshrrev_b64 v[0:1], v9, v[0:1]
	v_bfi_b32 v25, v25, 0, 0
	v_cmp_eq_u64_e64 s[26:27], v[24:25], v[26:27]
	v_mov_b32_e32 v2, v1
	v_mov_b32_e32 v1, v0
	s_and_saveexec_b64 s[36:37], s[26:27]
; %bb.1277:                             ;   in Loop: Header=BB4_137 Depth=3
	v_bfe_u32 v1, v0, 21, 1
	v_add_co_u32_e64 v1, s[26:27], v0, v1
	v_add_co_u32_e64 v1, s[26:27], -1, v1
; %bb.1278:                             ;   in Loop: Header=BB4_137 Depth=3
	s_or_b64 exec, exec, s[36:37]
	v_add_u32_e32 v2, 0xffffff81, v8
	v_mov_b32_e32 v8, 0xffffff82
	v_cndmask_b32_e32 v2, v2, v8, vcc
	v_lshrrev_b32_e32 v8, 23, v0
	v_add3_u32 v9, v9, v2, v8
	v_add_u32_e32 v8, 14, v9
	v_and_b32_e32 v1, 0x1fffff, v1
	v_add_u32_e32 v0, v1, v0
	v_mov_b32_e32 v1, v17
	v_cmp_ne_u32_e32 vcc, 0, v8
                                        ; implicit-def: $vgpr2
	s_and_saveexec_b64 s[26:27], vcc
	s_xor_b64 s[26:27], exec, s[26:27]
; %bb.1279:                             ;   in Loop: Header=BB4_137 Depth=3
	v_cmp_lt_u64_e32 vcc, s[88:89], v[0:1]
	v_add_u32_e32 v2, 15, v9
	v_cndmask_b32_e32 v2, v8, v2, vcc
	v_cndmask_b32_e64 v8, 0, 1, vcc
	v_lshrrev_b64 v[0:1], v8, v[0:1]
; %bb.1280:                             ;   in Loop: Header=BB4_137 Depth=3
	s_andn2_saveexec_b64 s[26:27], s[26:27]
; %bb.1281:                             ;   in Loop: Header=BB4_137 Depth=3
	v_bfe_u32 v2, v0, 23, 1
; %bb.1282:                             ;   in Loop: Header=BB4_137 Depth=3
	s_or_b64 exec, exec, s[26:27]
	v_lshrrev_b64 v[0:1], 21, v[0:1]
	v_cmp_gt_i32_e32 vcc, 32, v2
	v_cndmask_b32_e32 v1, 0, v1, vcc
	v_cndmask_b32_e32 v0, 3, v0, vcc
	v_cmp_eq_u64_e64 s[26:27], 0, v[0:1]
	v_min_i32_e32 v1, 31, v2
	v_lshlrev_b32_e32 v1, 2, v1
	v_cmp_eq_u32_e32 vcc, 0, v2
	v_and_b32_e32 v1, 0xfc, v1
	v_and_or_b32 v0, v0, 3, v1
	s_and_b64 s[26:27], vcc, s[26:27]
	v_cndmask_b32_e64 v0, v0, 0, s[26:27]
	v_or_b32_e32 v24, v0, v3
.LBB4_1283:                             ;   in Loop: Header=BB4_137 Depth=3
	s_or_b64 exec, exec, s[34:35]
                                        ; implicit-def: $vgpr3
.LBB4_1284:                             ;   in Loop: Header=BB4_137 Depth=3
	s_andn2_saveexec_b64 s[26:27], s[30:31]
; %bb.1285:                             ;   in Loop: Header=BB4_137 Depth=3
	v_or_b32_e32 v24, 0x7b, v3
; %bb.1286:                             ;   in Loop: Header=BB4_137 Depth=3
	s_or_b64 exec, exec, s[26:27]
                                        ; implicit-def: $vgpr2
                                        ; implicit-def: $vgpr0_vgpr1
.LBB4_1287:                             ;   in Loop: Header=BB4_137 Depth=3
	s_andn2_saveexec_b64 s[26:27], s[94:95]
	s_cbranch_execz .LBB4_1293
; %bb.1288:                             ;   in Loop: Header=BB4_137 Depth=3
	v_cmp_ne_u64_e32 vcc, 0, v[0:1]
                                        ; implicit-def: $vgpr24
	s_and_saveexec_b64 s[94:95], vcc
	s_xor_b64 s[94:95], exec, s[94:95]
; %bb.1289:                             ;   in Loop: Header=BB4_137 Depth=3
	v_or_b32_sdwa v24, v2, s47 dst_sel:DWORD dst_unused:UNUSED_PAD src0_sel:BYTE_3 src1_sel:DWORD
                                        ; implicit-def: $vgpr2
; %bb.1290:                             ;   in Loop: Header=BB4_137 Depth=3
	s_andn2_saveexec_b64 s[94:95], s[94:95]
; %bb.1291:                             ;   in Loop: Header=BB4_137 Depth=3
	v_cmp_lt_i32_e32 vcc, -1, v2
	v_bfrev_b32_e32 v0, 0.5
	v_cndmask_b32_e32 v24, v0, v52, vcc
; %bb.1292:                             ;   in Loop: Header=BB4_137 Depth=3
	s_or_b64 exec, exec, s[94:95]
.LBB4_1293:                             ;   in Loop: Header=BB4_137 Depth=3
	s_or_b64 exec, exec, s[26:27]
	v_lshrrev_b16_e32 v0, 8, v10
	v_cmp_ne_u16_e32 vcc, 0, v0
	v_mov_b32_e32 v1, 0
	s_and_saveexec_b64 s[26:27], vcc
	s_cbranch_execz .LBB4_1301
; %bb.1294:                             ;   in Loop: Header=BB4_137 Depth=3
	v_cmp_ne_u16_e32 vcc, s96, v0
	v_bfrev_b32_e32 v1, 1
	s_and_saveexec_b64 s[94:95], vcc
	s_cbranch_execz .LBB4_1300
; %bb.1295:                             ;   in Loop: Header=BB4_137 Depth=3
	v_and_b32_e32 v1, 0x7c, v0
	v_and_b32_e32 v2, 3, v0
	v_cmp_ne_u32_e32 vcc, s85, v1
                                        ; implicit-def: $vgpr1
	s_and_saveexec_b64 s[30:31], vcc
	s_xor_b64 s[30:31], exec, s[30:31]
	s_cbranch_execz .LBB4_1297
; %bb.1296:                             ;   in Loop: Header=BB4_137 Depth=3
	v_ffbh_u32_e32 v8, v2
	v_min_u32_e32 v8, 32, v8
	v_mov_b32_e32 v1, v17
	v_subrev_u32_e32 v9, 29, v8
	v_bfe_u32 v3, v0, 2, 5
	v_lshlrev_b64 v[0:1], v9, v[0:1]
	v_cmp_eq_u32_e32 vcc, 0, v3
	v_and_b32_e32 v0, 3, v0
	v_sub_u32_e32 v1, 30, v8
	v_cndmask_b32_e32 v0, v2, v0, vcc
	v_lshlrev_b32_e32 v2, 16, v10
	v_cndmask_b32_e32 v1, v3, v1, vcc
	v_and_b32_e32 v2, 0x80000000, v2
	v_lshl_add_u32 v1, v1, 23, v2
	v_lshl_or_b32 v0, v0, 21, v1
	v_add_u32_e32 v1, 0x38000000, v0
                                        ; implicit-def: $vgpr2
.LBB4_1297:                             ;   in Loop: Header=BB4_137 Depth=3
	s_andn2_saveexec_b64 s[30:31], s[30:31]
; %bb.1298:                             ;   in Loop: Header=BB4_137 Depth=3
	v_cmp_lt_i16_e32 vcc, -1, v10
	v_mov_b32_e32 v0, 0xff800000
	v_mov_b32_e32 v1, 0x7f800000
	v_cndmask_b32_e32 v0, v0, v1, vcc
	v_cmp_eq_u32_e32 vcc, 0, v2
	v_mov_b32_e32 v1, 0x7f800001
	v_cndmask_b32_e32 v1, v1, v0, vcc
; %bb.1299:                             ;   in Loop: Header=BB4_137 Depth=3
	s_or_b64 exec, exec, s[30:31]
.LBB4_1300:                             ;   in Loop: Header=BB4_137 Depth=3
	s_or_b64 exec, exec, s[94:95]
.LBB4_1301:                             ;   in Loop: Header=BB4_137 Depth=3
	s_or_b64 exec, exec, s[26:27]
	v_mul_f32_e32 v2, v21, v1
	v_and_b32_e32 v8, 0x7f800000, v2
	v_mov_b32_e32 v9, v17
	v_cmp_ne_u64_e32 vcc, s[76:77], v[8:9]
	v_and_b32_e32 v0, 0x7fffff, v2
	v_mov_b32_e32 v1, v17
                                        ; implicit-def: $vgpr25
	s_and_saveexec_b64 s[26:27], vcc
	s_xor_b64 s[94:95], exec, s[26:27]
	s_cbranch_execz .LBB4_1315
; %bb.1302:                             ;   in Loop: Header=BB4_137 Depth=3
	v_and_b32_e32 v8, 0x7fffffff, v2
	v_mov_b32_e32 v9, v17
	v_cmp_gt_u64_e32 vcc, s[78:79], v[8:9]
	v_and_b32_sdwa v3, v2, s96 dst_sel:DWORD dst_unused:UNUSED_PAD src0_sel:BYTE_3 src1_sel:DWORD
                                        ; implicit-def: $vgpr25
	s_and_saveexec_b64 s[26:27], vcc
	s_xor_b64 s[30:31], exec, s[26:27]
	s_cbranch_execz .LBB4_1312
; %bb.1303:                             ;   in Loop: Header=BB4_137 Depth=3
	v_mov_b32_e32 v25, 0
	v_cmp_ne_u32_e32 vcc, 0, v2
	s_and_saveexec_b64 s[34:35], vcc
	s_cbranch_execz .LBB4_1311
; %bb.1304:                             ;   in Loop: Header=BB4_137 Depth=3
	v_bfe_u32 v8, v2, 23, 8
	v_cmp_gt_u32_e64 s[26:27], s46, v8
	v_sub_u32_e32 v2, 0x71, v8
	v_cmp_eq_u32_e32 vcc, 0, v8
	v_cndmask_b32_e64 v2, 0, v2, s[26:27]
	v_mov_b32_e32 v9, 0x70
	v_cndmask_b32_e32 v9, v2, v9, vcc
	v_or_b32_e32 v25, 0x800000, v0
	v_add_u32_e32 v2, 21, v9
	v_cndmask_b32_e32 v0, v25, v0, vcc
	v_lshlrev_b64 v[25:26], v2, -1
	v_add_u32_e32 v2, 20, v9
	v_bfi_b32 v25, v25, 0, v0
	v_lshlrev_b64 v[30:31], v2, 1
	v_lshrrev_b64 v[0:1], v9, v[0:1]
	v_bfi_b32 v26, v26, 0, 0
	v_cmp_eq_u64_e64 s[26:27], v[25:26], v[30:31]
	v_mov_b32_e32 v2, v1
	v_mov_b32_e32 v1, v0
	s_and_saveexec_b64 s[36:37], s[26:27]
; %bb.1305:                             ;   in Loop: Header=BB4_137 Depth=3
	v_bfe_u32 v1, v0, 21, 1
	v_add_co_u32_e64 v1, s[26:27], v0, v1
	v_add_co_u32_e64 v1, s[26:27], -1, v1
; %bb.1306:                             ;   in Loop: Header=BB4_137 Depth=3
	s_or_b64 exec, exec, s[36:37]
	v_add_u32_e32 v2, 0xffffff81, v8
	v_mov_b32_e32 v8, 0xffffff82
	v_cndmask_b32_e32 v2, v2, v8, vcc
	v_lshrrev_b32_e32 v8, 23, v0
	v_add3_u32 v9, v9, v2, v8
	v_add_u32_e32 v8, 14, v9
	v_and_b32_e32 v1, 0x1fffff, v1
	v_add_u32_e32 v0, v1, v0
	v_mov_b32_e32 v1, v17
	v_cmp_ne_u32_e32 vcc, 0, v8
                                        ; implicit-def: $vgpr2
	s_and_saveexec_b64 s[26:27], vcc
	s_xor_b64 s[26:27], exec, s[26:27]
; %bb.1307:                             ;   in Loop: Header=BB4_137 Depth=3
	v_cmp_lt_u64_e32 vcc, s[88:89], v[0:1]
	v_add_u32_e32 v2, 15, v9
	v_cndmask_b32_e32 v2, v8, v2, vcc
	v_cndmask_b32_e64 v8, 0, 1, vcc
	v_lshrrev_b64 v[0:1], v8, v[0:1]
; %bb.1308:                             ;   in Loop: Header=BB4_137 Depth=3
	s_andn2_saveexec_b64 s[26:27], s[26:27]
; %bb.1309:                             ;   in Loop: Header=BB4_137 Depth=3
	v_bfe_u32 v2, v0, 23, 1
; %bb.1310:                             ;   in Loop: Header=BB4_137 Depth=3
	s_or_b64 exec, exec, s[26:27]
	v_lshrrev_b64 v[0:1], 21, v[0:1]
	v_cmp_gt_i32_e32 vcc, 32, v2
	v_cndmask_b32_e32 v1, 0, v1, vcc
	v_cndmask_b32_e32 v0, 3, v0, vcc
	v_cmp_eq_u64_e64 s[26:27], 0, v[0:1]
	v_min_i32_e32 v1, 31, v2
	v_lshlrev_b32_e32 v1, 2, v1
	v_cmp_eq_u32_e32 vcc, 0, v2
	v_and_b32_e32 v1, 0xfc, v1
	v_and_or_b32 v0, v0, 3, v1
	s_and_b64 s[26:27], vcc, s[26:27]
	v_cndmask_b32_e64 v0, v0, 0, s[26:27]
	v_or_b32_e32 v25, v0, v3
.LBB4_1311:                             ;   in Loop: Header=BB4_137 Depth=3
	s_or_b64 exec, exec, s[34:35]
                                        ; implicit-def: $vgpr3
.LBB4_1312:                             ;   in Loop: Header=BB4_137 Depth=3
	s_andn2_saveexec_b64 s[26:27], s[30:31]
; %bb.1313:                             ;   in Loop: Header=BB4_137 Depth=3
	v_or_b32_e32 v25, 0x7b, v3
; %bb.1314:                             ;   in Loop: Header=BB4_137 Depth=3
	s_or_b64 exec, exec, s[26:27]
                                        ; implicit-def: $vgpr2
                                        ; implicit-def: $vgpr0_vgpr1
.LBB4_1315:                             ;   in Loop: Header=BB4_137 Depth=3
	s_andn2_saveexec_b64 s[26:27], s[94:95]
	s_cbranch_execz .LBB4_1321
; %bb.1316:                             ;   in Loop: Header=BB4_137 Depth=3
	v_cmp_ne_u64_e32 vcc, 0, v[0:1]
                                        ; implicit-def: $vgpr25
	s_and_saveexec_b64 s[94:95], vcc
	s_xor_b64 s[94:95], exec, s[94:95]
; %bb.1317:                             ;   in Loop: Header=BB4_137 Depth=3
	v_or_b32_sdwa v25, v2, s47 dst_sel:DWORD dst_unused:UNUSED_PAD src0_sel:BYTE_3 src1_sel:DWORD
                                        ; implicit-def: $vgpr2
; %bb.1318:                             ;   in Loop: Header=BB4_137 Depth=3
	s_andn2_saveexec_b64 s[94:95], s[94:95]
; %bb.1319:                             ;   in Loop: Header=BB4_137 Depth=3
	v_cmp_lt_i32_e32 vcc, -1, v2
	v_bfrev_b32_e32 v0, 0.5
	v_cndmask_b32_e32 v25, v0, v52, vcc
; %bb.1320:                             ;   in Loop: Header=BB4_137 Depth=3
	s_or_b64 exec, exec, s[94:95]
.LBB4_1321:                             ;   in Loop: Header=BB4_137 Depth=3
	s_or_b64 exec, exec, s[26:27]
	v_lshrrev_b32_e32 v0, 16, v10
	v_cmp_ne_u16_sdwa s[94:95], v0, v17 src0_sel:BYTE_0 src1_sel:DWORD
	v_mov_b32_e32 v1, 0
	s_and_saveexec_b64 s[26:27], s[94:95]
	s_cbranch_execz .LBB4_1329
; %bb.1322:                             ;   in Loop: Header=BB4_137 Depth=3
	v_cmp_ne_u16_sdwa vcc, v0, s96 src0_sel:BYTE_0 src1_sel:DWORD
	v_bfrev_b32_e32 v1, 1
	s_and_saveexec_b64 s[94:95], vcc
	s_cbranch_execz .LBB4_1328
; %bb.1323:                             ;   in Loop: Header=BB4_137 Depth=3
	v_and_b32_e32 v1, 0x7c0000, v10
	v_bfe_u32 v2, v10, 16, 2
	v_cmp_ne_u32_e32 vcc, s44, v1
                                        ; implicit-def: $vgpr1
	s_and_saveexec_b64 s[30:31], vcc
	s_xor_b64 s[30:31], exec, s[30:31]
	s_cbranch_execz .LBB4_1325
; %bb.1324:                             ;   in Loop: Header=BB4_137 Depth=3
	v_ffbh_u32_e32 v1, v2
	v_min_u32_e32 v8, 32, v1
	v_subrev_u32_e32 v1, 29, v8
	v_lshlrev_b64 v[0:1], v1, v[0:1]
	v_bfe_u32 v3, v10, 18, 5
	v_and_b32_e32 v0, 3, v0
	v_cmp_eq_u32_e32 vcc, 0, v3
	v_sub_u32_e32 v1, 30, v8
	v_cndmask_b32_e32 v0, v2, v0, vcc
	v_lshlrev_b32_e32 v2, 8, v10
	v_cndmask_b32_e32 v1, v3, v1, vcc
	v_and_b32_e32 v2, 0x80000000, v2
	v_lshl_add_u32 v1, v1, 23, v2
	v_lshl_or_b32 v0, v0, 21, v1
	v_add_u32_e32 v1, 0x38000000, v0
                                        ; implicit-def: $vgpr2
                                        ; implicit-def: $vgpr0
.LBB4_1325:                             ;   in Loop: Header=BB4_137 Depth=3
	s_andn2_saveexec_b64 s[30:31], s[30:31]
; %bb.1326:                             ;   in Loop: Header=BB4_137 Depth=3
	v_mov_b32_e32 v1, -1
	v_cmp_gt_i16_sdwa vcc, sext(v0), v1 src0_sel:BYTE_0 src1_sel:DWORD
	v_mov_b32_e32 v0, 0xff800000
	v_mov_b32_e32 v1, 0x7f800000
	v_cndmask_b32_e32 v0, v0, v1, vcc
	v_cmp_eq_u32_e32 vcc, 0, v2
	v_mov_b32_e32 v1, 0x7f800001
	v_cndmask_b32_e32 v1, v1, v0, vcc
; %bb.1327:                             ;   in Loop: Header=BB4_137 Depth=3
	s_or_b64 exec, exec, s[30:31]
.LBB4_1328:                             ;   in Loop: Header=BB4_137 Depth=3
	s_or_b64 exec, exec, s[94:95]
.LBB4_1329:                             ;   in Loop: Header=BB4_137 Depth=3
	s_or_b64 exec, exec, s[26:27]
	v_mul_f32_e32 v2, v21, v1
	v_and_b32_e32 v8, 0x7f800000, v2
	v_mov_b32_e32 v9, v17
	v_cmp_ne_u64_e32 vcc, s[76:77], v[8:9]
	v_and_b32_e32 v0, 0x7fffff, v2
	v_mov_b32_e32 v1, v17
                                        ; implicit-def: $vgpr26
	s_and_saveexec_b64 s[26:27], vcc
	s_xor_b64 s[94:95], exec, s[26:27]
	s_cbranch_execz .LBB4_1343
; %bb.1330:                             ;   in Loop: Header=BB4_137 Depth=3
	v_and_b32_e32 v8, 0x7fffffff, v2
	v_mov_b32_e32 v9, v17
	v_cmp_gt_u64_e32 vcc, s[78:79], v[8:9]
	v_and_b32_sdwa v3, v2, s96 dst_sel:DWORD dst_unused:UNUSED_PAD src0_sel:BYTE_3 src1_sel:DWORD
                                        ; implicit-def: $vgpr26
	s_and_saveexec_b64 s[26:27], vcc
	s_xor_b64 s[30:31], exec, s[26:27]
	s_cbranch_execz .LBB4_1340
; %bb.1331:                             ;   in Loop: Header=BB4_137 Depth=3
	v_mov_b32_e32 v26, 0
	v_cmp_ne_u32_e32 vcc, 0, v2
	s_and_saveexec_b64 s[34:35], vcc
	s_cbranch_execz .LBB4_1339
; %bb.1332:                             ;   in Loop: Header=BB4_137 Depth=3
	v_bfe_u32 v8, v2, 23, 8
	v_cmp_gt_u32_e64 s[26:27], s46, v8
	v_sub_u32_e32 v2, 0x71, v8
	v_cmp_eq_u32_e32 vcc, 0, v8
	v_cndmask_b32_e64 v2, 0, v2, s[26:27]
	v_mov_b32_e32 v9, 0x70
	v_cndmask_b32_e32 v9, v2, v9, vcc
	v_or_b32_e32 v26, 0x800000, v0
	v_add_u32_e32 v2, 21, v9
	v_cndmask_b32_e32 v0, v26, v0, vcc
	v_lshlrev_b64 v[26:27], v2, -1
	v_add_u32_e32 v2, 20, v9
	v_bfi_b32 v26, v26, 0, v0
	v_lshlrev_b64 v[30:31], v2, 1
	v_lshrrev_b64 v[0:1], v9, v[0:1]
	v_bfi_b32 v27, v27, 0, 0
	v_cmp_eq_u64_e64 s[26:27], v[26:27], v[30:31]
	v_mov_b32_e32 v2, v1
	v_mov_b32_e32 v1, v0
	s_and_saveexec_b64 s[36:37], s[26:27]
; %bb.1333:                             ;   in Loop: Header=BB4_137 Depth=3
	v_bfe_u32 v1, v0, 21, 1
	v_add_co_u32_e64 v1, s[26:27], v0, v1
	v_add_co_u32_e64 v1, s[26:27], -1, v1
; %bb.1334:                             ;   in Loop: Header=BB4_137 Depth=3
	s_or_b64 exec, exec, s[36:37]
	v_add_u32_e32 v2, 0xffffff81, v8
	v_mov_b32_e32 v8, 0xffffff82
	v_cndmask_b32_e32 v2, v2, v8, vcc
	v_lshrrev_b32_e32 v8, 23, v0
	v_add3_u32 v9, v9, v2, v8
	v_add_u32_e32 v8, 14, v9
	v_and_b32_e32 v1, 0x1fffff, v1
	v_add_u32_e32 v0, v1, v0
	v_mov_b32_e32 v1, v17
	v_cmp_ne_u32_e32 vcc, 0, v8
                                        ; implicit-def: $vgpr2
	s_and_saveexec_b64 s[26:27], vcc
	s_xor_b64 s[26:27], exec, s[26:27]
; %bb.1335:                             ;   in Loop: Header=BB4_137 Depth=3
	v_cmp_lt_u64_e32 vcc, s[88:89], v[0:1]
	v_add_u32_e32 v2, 15, v9
	v_cndmask_b32_e32 v2, v8, v2, vcc
	v_cndmask_b32_e64 v8, 0, 1, vcc
	v_lshrrev_b64 v[0:1], v8, v[0:1]
; %bb.1336:                             ;   in Loop: Header=BB4_137 Depth=3
	s_andn2_saveexec_b64 s[26:27], s[26:27]
; %bb.1337:                             ;   in Loop: Header=BB4_137 Depth=3
	v_bfe_u32 v2, v0, 23, 1
; %bb.1338:                             ;   in Loop: Header=BB4_137 Depth=3
	s_or_b64 exec, exec, s[26:27]
	v_lshrrev_b64 v[0:1], 21, v[0:1]
	v_cmp_gt_i32_e32 vcc, 32, v2
	v_cndmask_b32_e32 v1, 0, v1, vcc
	v_cndmask_b32_e32 v0, 3, v0, vcc
	v_cmp_eq_u64_e64 s[26:27], 0, v[0:1]
	v_min_i32_e32 v1, 31, v2
	v_lshlrev_b32_e32 v1, 2, v1
	v_cmp_eq_u32_e32 vcc, 0, v2
	v_and_b32_e32 v1, 0xfc, v1
	v_and_or_b32 v0, v0, 3, v1
	s_and_b64 s[26:27], vcc, s[26:27]
	v_cndmask_b32_e64 v0, v0, 0, s[26:27]
	v_or_b32_e32 v26, v0, v3
.LBB4_1339:                             ;   in Loop: Header=BB4_137 Depth=3
	s_or_b64 exec, exec, s[34:35]
                                        ; implicit-def: $vgpr3
.LBB4_1340:                             ;   in Loop: Header=BB4_137 Depth=3
	s_andn2_saveexec_b64 s[26:27], s[30:31]
; %bb.1341:                             ;   in Loop: Header=BB4_137 Depth=3
	v_or_b32_e32 v26, 0x7b, v3
; %bb.1342:                             ;   in Loop: Header=BB4_137 Depth=3
	s_or_b64 exec, exec, s[26:27]
                                        ; implicit-def: $vgpr2
                                        ; implicit-def: $vgpr0_vgpr1
.LBB4_1343:                             ;   in Loop: Header=BB4_137 Depth=3
	s_andn2_saveexec_b64 s[26:27], s[94:95]
	s_cbranch_execz .LBB4_1349
; %bb.1344:                             ;   in Loop: Header=BB4_137 Depth=3
	v_cmp_ne_u64_e32 vcc, 0, v[0:1]
                                        ; implicit-def: $vgpr26
	s_and_saveexec_b64 s[94:95], vcc
	s_xor_b64 s[94:95], exec, s[94:95]
; %bb.1345:                             ;   in Loop: Header=BB4_137 Depth=3
	v_or_b32_sdwa v26, v2, s47 dst_sel:DWORD dst_unused:UNUSED_PAD src0_sel:BYTE_3 src1_sel:DWORD
                                        ; implicit-def: $vgpr2
; %bb.1346:                             ;   in Loop: Header=BB4_137 Depth=3
	s_andn2_saveexec_b64 s[94:95], s[94:95]
; %bb.1347:                             ;   in Loop: Header=BB4_137 Depth=3
	v_cmp_lt_i32_e32 vcc, -1, v2
	v_bfrev_b32_e32 v0, 0.5
	v_cndmask_b32_e32 v26, v0, v52, vcc
; %bb.1348:                             ;   in Loop: Header=BB4_137 Depth=3
	s_or_b64 exec, exec, s[94:95]
.LBB4_1349:                             ;   in Loop: Header=BB4_137 Depth=3
	s_or_b64 exec, exec, s[26:27]
	v_cmp_lt_u32_e32 vcc, s57, v10
	v_mov_b32_e32 v1, 0
	s_and_saveexec_b64 s[26:27], vcc
	s_cbranch_execz .LBB4_1357
; %bb.1350:                             ;   in Loop: Header=BB4_137 Depth=3
	v_lshrrev_b32_e32 v0, 24, v10
	v_cmp_ne_u32_e32 vcc, s96, v0
	v_bfrev_b32_e32 v1, 1
	s_and_saveexec_b64 s[94:95], vcc
	s_cbranch_execz .LBB4_1356
; %bb.1351:                             ;   in Loop: Header=BB4_137 Depth=3
	v_and_b32_e32 v1, 0x7c000000, v10
	v_bfe_u32 v2, v10, 24, 2
	v_cmp_ne_u32_e32 vcc, s45, v1
                                        ; implicit-def: $vgpr1
	s_and_saveexec_b64 s[30:31], vcc
	s_xor_b64 s[30:31], exec, s[30:31]
	s_cbranch_execz .LBB4_1353
; %bb.1352:                             ;   in Loop: Header=BB4_137 Depth=3
	v_ffbh_u32_e32 v1, v2
	v_min_u32_e32 v8, 32, v1
	v_subrev_u32_e32 v1, 29, v8
	v_lshlrev_b64 v[0:1], v1, v[0:1]
	v_bfe_u32 v3, v10, 26, 5
	v_sub_u32_e32 v1, 30, v8
	v_and_b32_e32 v0, 3, v0
	v_cmp_eq_u32_e32 vcc, 0, v3
	v_cndmask_b32_e32 v1, v3, v1, vcc
	v_cndmask_b32_e32 v0, v2, v0, vcc
	v_and_b32_e32 v2, 0x80000000, v10
	v_lshl_add_u32 v1, v1, 23, v2
	v_lshl_or_b32 v0, v0, 21, v1
	v_add_u32_e32 v1, 0x38000000, v0
                                        ; implicit-def: $vgpr2
.LBB4_1353:                             ;   in Loop: Header=BB4_137 Depth=3
	s_andn2_saveexec_b64 s[30:31], s[30:31]
; %bb.1354:                             ;   in Loop: Header=BB4_137 Depth=3
	v_cmp_lt_i32_e32 vcc, -1, v10
	v_mov_b32_e32 v0, 0xff800000
	v_mov_b32_e32 v1, 0x7f800000
	v_cndmask_b32_e32 v0, v0, v1, vcc
	v_cmp_eq_u32_e32 vcc, 0, v2
	v_mov_b32_e32 v1, 0x7f800001
	v_cndmask_b32_e32 v1, v1, v0, vcc
; %bb.1355:                             ;   in Loop: Header=BB4_137 Depth=3
	s_or_b64 exec, exec, s[30:31]
.LBB4_1356:                             ;   in Loop: Header=BB4_137 Depth=3
	s_or_b64 exec, exec, s[94:95]
.LBB4_1357:                             ;   in Loop: Header=BB4_137 Depth=3
	s_or_b64 exec, exec, s[26:27]
	v_mul_f32_e32 v2, v21, v1
	v_and_b32_e32 v8, 0x7f800000, v2
	v_mov_b32_e32 v9, v17
	v_cmp_ne_u64_e32 vcc, s[76:77], v[8:9]
	v_and_b32_e32 v0, 0x7fffff, v2
	v_mov_b32_e32 v1, v17
                                        ; implicit-def: $vgpr27
	s_and_saveexec_b64 s[26:27], vcc
	s_xor_b64 s[94:95], exec, s[26:27]
	s_cbranch_execz .LBB4_1371
; %bb.1358:                             ;   in Loop: Header=BB4_137 Depth=3
	v_and_b32_e32 v8, 0x7fffffff, v2
	v_mov_b32_e32 v9, v17
	v_cmp_gt_u64_e32 vcc, s[78:79], v[8:9]
	v_and_b32_sdwa v3, v2, s96 dst_sel:DWORD dst_unused:UNUSED_PAD src0_sel:BYTE_3 src1_sel:DWORD
                                        ; implicit-def: $vgpr27
	s_and_saveexec_b64 s[26:27], vcc
	s_xor_b64 s[30:31], exec, s[26:27]
	s_cbranch_execz .LBB4_1368
; %bb.1359:                             ;   in Loop: Header=BB4_137 Depth=3
	v_mov_b32_e32 v27, 0
	v_cmp_ne_u32_e32 vcc, 0, v2
	s_and_saveexec_b64 s[34:35], vcc
	s_cbranch_execz .LBB4_1367
; %bb.1360:                             ;   in Loop: Header=BB4_137 Depth=3
	v_bfe_u32 v8, v2, 23, 8
	v_cmp_gt_u32_e64 s[26:27], s46, v8
	v_sub_u32_e32 v2, 0x71, v8
	v_cmp_eq_u32_e32 vcc, 0, v8
	v_cndmask_b32_e64 v2, 0, v2, s[26:27]
	v_mov_b32_e32 v9, 0x70
	v_cndmask_b32_e32 v9, v2, v9, vcc
	v_add_u32_e32 v2, 21, v9
	v_or_b32_e32 v27, 0x800000, v0
	v_lshlrev_b64 v[30:31], v2, -1
	v_cndmask_b32_e32 v0, v27, v0, vcc
	v_add_u32_e32 v2, 20, v9
	v_bfi_b32 v30, v30, 0, v0
	v_lshlrev_b64 v[32:33], v2, 1
	v_lshrrev_b64 v[0:1], v9, v[0:1]
	v_bfi_b32 v31, v31, 0, 0
	v_cmp_eq_u64_e64 s[26:27], v[30:31], v[32:33]
	v_mov_b32_e32 v2, v1
	v_mov_b32_e32 v1, v0
	s_and_saveexec_b64 s[36:37], s[26:27]
; %bb.1361:                             ;   in Loop: Header=BB4_137 Depth=3
	v_bfe_u32 v1, v0, 21, 1
	v_add_co_u32_e64 v1, s[26:27], v0, v1
	v_add_co_u32_e64 v1, s[26:27], -1, v1
; %bb.1362:                             ;   in Loop: Header=BB4_137 Depth=3
	s_or_b64 exec, exec, s[36:37]
	v_add_u32_e32 v2, 0xffffff81, v8
	v_mov_b32_e32 v8, 0xffffff82
	v_cndmask_b32_e32 v2, v2, v8, vcc
	v_lshrrev_b32_e32 v8, 23, v0
	v_add3_u32 v9, v9, v2, v8
	v_add_u32_e32 v8, 14, v9
	v_and_b32_e32 v1, 0x1fffff, v1
	v_add_u32_e32 v0, v1, v0
	v_mov_b32_e32 v1, v17
	v_cmp_ne_u32_e32 vcc, 0, v8
                                        ; implicit-def: $vgpr2
	s_and_saveexec_b64 s[26:27], vcc
	s_xor_b64 s[26:27], exec, s[26:27]
; %bb.1363:                             ;   in Loop: Header=BB4_137 Depth=3
	v_cmp_lt_u64_e32 vcc, s[88:89], v[0:1]
	v_add_u32_e32 v2, 15, v9
	v_cndmask_b32_e32 v2, v8, v2, vcc
	v_cndmask_b32_e64 v8, 0, 1, vcc
	v_lshrrev_b64 v[0:1], v8, v[0:1]
; %bb.1364:                             ;   in Loop: Header=BB4_137 Depth=3
	s_andn2_saveexec_b64 s[26:27], s[26:27]
; %bb.1365:                             ;   in Loop: Header=BB4_137 Depth=3
	v_bfe_u32 v2, v0, 23, 1
; %bb.1366:                             ;   in Loop: Header=BB4_137 Depth=3
	s_or_b64 exec, exec, s[26:27]
	v_lshrrev_b64 v[0:1], 21, v[0:1]
	v_cmp_gt_i32_e32 vcc, 32, v2
	v_cndmask_b32_e32 v1, 0, v1, vcc
	v_cndmask_b32_e32 v0, 3, v0, vcc
	v_cmp_eq_u64_e64 s[26:27], 0, v[0:1]
	v_min_i32_e32 v1, 31, v2
	v_lshlrev_b32_e32 v1, 2, v1
	v_cmp_eq_u32_e32 vcc, 0, v2
	v_and_b32_e32 v1, 0xfc, v1
	v_and_or_b32 v0, v0, 3, v1
	s_and_b64 s[26:27], vcc, s[26:27]
	v_cndmask_b32_e64 v0, v0, 0, s[26:27]
	v_or_b32_e32 v27, v0, v3
.LBB4_1367:                             ;   in Loop: Header=BB4_137 Depth=3
	s_or_b64 exec, exec, s[34:35]
                                        ; implicit-def: $vgpr3
.LBB4_1368:                             ;   in Loop: Header=BB4_137 Depth=3
	s_andn2_saveexec_b64 s[26:27], s[30:31]
; %bb.1369:                             ;   in Loop: Header=BB4_137 Depth=3
	v_or_b32_e32 v27, 0x7b, v3
; %bb.1370:                             ;   in Loop: Header=BB4_137 Depth=3
	s_or_b64 exec, exec, s[26:27]
                                        ; implicit-def: $vgpr2
                                        ; implicit-def: $vgpr0_vgpr1
.LBB4_1371:                             ;   in Loop: Header=BB4_137 Depth=3
	s_andn2_saveexec_b64 s[26:27], s[94:95]
	s_cbranch_execz .LBB4_1377
; %bb.1372:                             ;   in Loop: Header=BB4_137 Depth=3
	v_cmp_ne_u64_e32 vcc, 0, v[0:1]
                                        ; implicit-def: $vgpr27
	s_and_saveexec_b64 s[94:95], vcc
	s_xor_b64 s[94:95], exec, s[94:95]
; %bb.1373:                             ;   in Loop: Header=BB4_137 Depth=3
	v_or_b32_sdwa v27, v2, s47 dst_sel:DWORD dst_unused:UNUSED_PAD src0_sel:BYTE_3 src1_sel:DWORD
                                        ; implicit-def: $vgpr2
; %bb.1374:                             ;   in Loop: Header=BB4_137 Depth=3
	s_andn2_saveexec_b64 s[94:95], s[94:95]
; %bb.1375:                             ;   in Loop: Header=BB4_137 Depth=3
	v_cmp_lt_i32_e32 vcc, -1, v2
	v_bfrev_b32_e32 v0, 0.5
	v_cndmask_b32_e32 v27, v0, v52, vcc
; %bb.1376:                             ;   in Loop: Header=BB4_137 Depth=3
	s_or_b64 exec, exec, s[94:95]
.LBB4_1377:                             ;   in Loop: Header=BB4_137 Depth=3
	s_or_b64 exec, exec, s[26:27]
	v_mov_b32_e32 v0, v11
	v_mov_b32_e32 v1, v17
	v_cmp_ne_u16_sdwa s[94:95], v11, v17 src0_sel:BYTE_0 src1_sel:DWORD
	v_mov_b32_e32 v2, 0
	s_and_saveexec_b64 s[26:27], s[94:95]
	s_cbranch_execz .LBB4_1385
; %bb.1378:                             ;   in Loop: Header=BB4_137 Depth=3
	v_cmp_ne_u16_sdwa vcc, v11, s96 src0_sel:BYTE_0 src1_sel:DWORD
	v_bfrev_b32_e32 v2, 1
	s_and_saveexec_b64 s[94:95], vcc
	s_cbranch_execz .LBB4_1384
; %bb.1379:                             ;   in Loop: Header=BB4_137 Depth=3
	v_and_b32_e32 v2, 0x7c, v11
	v_and_b32_e32 v3, 3, v11
	v_cmp_ne_u32_e32 vcc, s85, v2
                                        ; implicit-def: $vgpr2
	s_and_saveexec_b64 s[30:31], vcc
	s_xor_b64 s[30:31], exec, s[30:31]
	s_cbranch_execz .LBB4_1381
; %bb.1380:                             ;   in Loop: Header=BB4_137 Depth=3
	v_ffbh_u32_e32 v2, v3
	v_min_u32_e32 v9, 32, v2
	v_subrev_u32_e32 v2, 29, v9
	v_lshlrev_b64 v[1:2], v2, v[0:1]
	v_bfe_u32 v8, v11, 2, 5
	v_and_b32_e32 v1, 3, v1
	v_cmp_eq_u32_e32 vcc, 0, v8
	v_sub_u32_e32 v2, 30, v9
	v_cndmask_b32_e32 v1, v3, v1, vcc
	v_lshlrev_b32_e32 v3, 24, v11
	v_cndmask_b32_e32 v2, v8, v2, vcc
	v_and_b32_e32 v3, 0x80000000, v3
	v_lshl_add_u32 v2, v2, 23, v3
	v_lshl_or_b32 v1, v1, 21, v2
	v_add_u32_e32 v2, 0x38000000, v1
                                        ; implicit-def: $vgpr3
.LBB4_1381:                             ;   in Loop: Header=BB4_137 Depth=3
	s_andn2_saveexec_b64 s[30:31], s[30:31]
; %bb.1382:                             ;   in Loop: Header=BB4_137 Depth=3
	v_mov_b32_e32 v1, -1
	v_cmp_gt_i16_sdwa vcc, sext(v11), v1 src0_sel:BYTE_0 src1_sel:DWORD
	v_mov_b32_e32 v1, 0xff800000
	v_mov_b32_e32 v2, 0x7f800000
	v_cndmask_b32_e32 v1, v1, v2, vcc
	v_cmp_eq_u32_e32 vcc, 0, v3
	v_mov_b32_e32 v2, 0x7f800001
	v_cndmask_b32_e32 v2, v2, v1, vcc
; %bb.1383:                             ;   in Loop: Header=BB4_137 Depth=3
	s_or_b64 exec, exec, s[30:31]
.LBB4_1384:                             ;   in Loop: Header=BB4_137 Depth=3
	s_or_b64 exec, exec, s[94:95]
.LBB4_1385:                             ;   in Loop: Header=BB4_137 Depth=3
	s_or_b64 exec, exec, s[26:27]
	v_mul_f32_e32 v3, v21, v2
	v_and_b32_e32 v8, 0x7f800000, v3
	v_mov_b32_e32 v9, v17
	v_cmp_ne_u64_e32 vcc, s[76:77], v[8:9]
	v_and_b32_e32 v1, 0x7fffff, v3
	v_mov_b32_e32 v2, v17
                                        ; implicit-def: $vgpr30
	s_and_saveexec_b64 s[26:27], vcc
	s_xor_b64 s[94:95], exec, s[26:27]
	s_cbranch_execz .LBB4_1399
; %bb.1386:                             ;   in Loop: Header=BB4_137 Depth=3
	v_and_b32_e32 v8, 0x7fffffff, v3
	v_mov_b32_e32 v9, v17
	v_cmp_gt_u64_e32 vcc, s[78:79], v[8:9]
	v_and_b32_sdwa v8, v3, s96 dst_sel:DWORD dst_unused:UNUSED_PAD src0_sel:BYTE_3 src1_sel:DWORD
                                        ; implicit-def: $vgpr30
	s_and_saveexec_b64 s[26:27], vcc
	s_xor_b64 s[30:31], exec, s[26:27]
	s_cbranch_execz .LBB4_1396
; %bb.1387:                             ;   in Loop: Header=BB4_137 Depth=3
	v_mov_b32_e32 v30, 0
	v_cmp_ne_u32_e32 vcc, 0, v3
	s_and_saveexec_b64 s[34:35], vcc
	s_cbranch_execz .LBB4_1395
; %bb.1388:                             ;   in Loop: Header=BB4_137 Depth=3
	v_bfe_u32 v9, v3, 23, 8
	v_cmp_gt_u32_e64 s[26:27], s46, v9
	v_sub_u32_e32 v3, 0x71, v9
	v_cmp_eq_u32_e32 vcc, 0, v9
	v_cndmask_b32_e64 v3, 0, v3, s[26:27]
	v_mov_b32_e32 v29, 0x70
	v_cndmask_b32_e32 v30, v3, v29, vcc
	v_add_u32_e32 v3, 21, v30
	v_or_b32_e32 v28, 0x800000, v1
	v_lshlrev_b64 v[31:32], v3, -1
	v_cndmask_b32_e32 v1, v28, v1, vcc
	v_add_u32_e32 v3, 20, v30
	v_bfi_b32 v31, v31, 0, v1
	v_lshlrev_b64 v[33:34], v3, 1
	v_lshrrev_b64 v[1:2], v30, v[1:2]
	v_bfi_b32 v32, v32, 0, 0
	v_cmp_eq_u64_e64 s[26:27], v[31:32], v[33:34]
	v_mov_b32_e32 v3, v2
	v_mov_b32_e32 v2, v1
	s_and_saveexec_b64 s[36:37], s[26:27]
; %bb.1389:                             ;   in Loop: Header=BB4_137 Depth=3
	v_bfe_u32 v2, v1, 21, 1
	v_add_co_u32_e64 v2, s[26:27], v1, v2
	v_add_co_u32_e64 v2, s[26:27], -1, v2
; %bb.1390:                             ;   in Loop: Header=BB4_137 Depth=3
	s_or_b64 exec, exec, s[36:37]
	v_add_u32_e32 v3, 0xffffff81, v9
	v_mov_b32_e32 v9, 0xffffff82
	v_cndmask_b32_e32 v3, v3, v9, vcc
	v_lshrrev_b32_e32 v9, 23, v1
	v_add3_u32 v30, v30, v3, v9
	v_add_u32_e32 v9, 14, v30
	v_and_b32_e32 v2, 0x1fffff, v2
	v_add_u32_e32 v1, v2, v1
	v_mov_b32_e32 v2, v17
	v_cmp_ne_u32_e32 vcc, 0, v9
                                        ; implicit-def: $vgpr3
	s_and_saveexec_b64 s[26:27], vcc
	s_xor_b64 s[26:27], exec, s[26:27]
; %bb.1391:                             ;   in Loop: Header=BB4_137 Depth=3
	v_cmp_lt_u64_e32 vcc, s[88:89], v[1:2]
	v_add_u32_e32 v3, 15, v30
	v_cndmask_b32_e32 v3, v9, v3, vcc
	v_cndmask_b32_e64 v9, 0, 1, vcc
	v_lshrrev_b64 v[1:2], v9, v[1:2]
; %bb.1392:                             ;   in Loop: Header=BB4_137 Depth=3
	s_andn2_saveexec_b64 s[26:27], s[26:27]
; %bb.1393:                             ;   in Loop: Header=BB4_137 Depth=3
	v_bfe_u32 v3, v1, 23, 1
; %bb.1394:                             ;   in Loop: Header=BB4_137 Depth=3
	s_or_b64 exec, exec, s[26:27]
	v_lshrrev_b64 v[1:2], 21, v[1:2]
	v_cmp_gt_i32_e32 vcc, 32, v3
	v_cndmask_b32_e32 v2, 0, v2, vcc
	v_cndmask_b32_e32 v1, 3, v1, vcc
	v_cmp_eq_u64_e64 s[26:27], 0, v[1:2]
	v_min_i32_e32 v2, 31, v3
	v_lshlrev_b32_e32 v2, 2, v2
	v_cmp_eq_u32_e32 vcc, 0, v3
	v_and_b32_e32 v2, 0xfc, v2
	v_and_or_b32 v1, v1, 3, v2
	s_and_b64 s[26:27], vcc, s[26:27]
	v_cndmask_b32_e64 v1, v1, 0, s[26:27]
	v_or_b32_e32 v30, v1, v8
.LBB4_1395:                             ;   in Loop: Header=BB4_137 Depth=3
	s_or_b64 exec, exec, s[34:35]
                                        ; implicit-def: $vgpr8
.LBB4_1396:                             ;   in Loop: Header=BB4_137 Depth=3
	s_andn2_saveexec_b64 s[26:27], s[30:31]
; %bb.1397:                             ;   in Loop: Header=BB4_137 Depth=3
	v_or_b32_e32 v30, 0x7b, v8
; %bb.1398:                             ;   in Loop: Header=BB4_137 Depth=3
	s_or_b64 exec, exec, s[26:27]
                                        ; implicit-def: $vgpr3
                                        ; implicit-def: $vgpr1_vgpr2
.LBB4_1399:                             ;   in Loop: Header=BB4_137 Depth=3
	s_andn2_saveexec_b64 s[26:27], s[94:95]
	s_cbranch_execz .LBB4_1405
; %bb.1400:                             ;   in Loop: Header=BB4_137 Depth=3
	v_cmp_ne_u64_e32 vcc, 0, v[1:2]
                                        ; implicit-def: $vgpr30
	s_and_saveexec_b64 s[94:95], vcc
	s_xor_b64 s[94:95], exec, s[94:95]
; %bb.1401:                             ;   in Loop: Header=BB4_137 Depth=3
	v_or_b32_sdwa v30, v3, s47 dst_sel:DWORD dst_unused:UNUSED_PAD src0_sel:BYTE_3 src1_sel:DWORD
                                        ; implicit-def: $vgpr3
; %bb.1402:                             ;   in Loop: Header=BB4_137 Depth=3
	s_andn2_saveexec_b64 s[94:95], s[94:95]
; %bb.1403:                             ;   in Loop: Header=BB4_137 Depth=3
	v_cmp_lt_i32_e32 vcc, -1, v3
	v_bfrev_b32_e32 v1, 0.5
	v_cndmask_b32_e32 v30, v1, v52, vcc
; %bb.1404:                             ;   in Loop: Header=BB4_137 Depth=3
	s_or_b64 exec, exec, s[94:95]
.LBB4_1405:                             ;   in Loop: Header=BB4_137 Depth=3
	s_or_b64 exec, exec, s[26:27]
	v_lshrrev_b16_e32 v1, 8, v0
	v_cmp_ne_u16_e32 vcc, 0, v1
	v_mov_b32_e32 v2, 0
	s_and_saveexec_b64 s[26:27], vcc
	s_cbranch_execz .LBB4_1413
; %bb.1406:                             ;   in Loop: Header=BB4_137 Depth=3
	v_cmp_ne_u16_e32 vcc, s96, v1
	v_bfrev_b32_e32 v2, 1
	s_and_saveexec_b64 s[94:95], vcc
	s_cbranch_execz .LBB4_1412
; %bb.1407:                             ;   in Loop: Header=BB4_137 Depth=3
	v_and_b32_e32 v2, 0x7c, v1
	v_and_b32_e32 v3, 3, v1
	v_cmp_ne_u32_e32 vcc, s85, v2
                                        ; implicit-def: $vgpr2
	s_and_saveexec_b64 s[30:31], vcc
	s_xor_b64 s[30:31], exec, s[30:31]
	s_cbranch_execz .LBB4_1409
; %bb.1408:                             ;   in Loop: Header=BB4_137 Depth=3
	v_ffbh_u32_e32 v9, v3
	v_min_u32_e32 v9, 32, v9
	v_mov_b32_e32 v2, v17
	v_subrev_u32_e32 v28, 29, v9
	v_bfe_u32 v8, v1, 2, 5
	v_lshlrev_b64 v[1:2], v28, v[1:2]
	v_sub_u32_e32 v2, 30, v9
	v_cmp_eq_u32_e32 vcc, 0, v8
	v_lshlrev_b32_e32 v0, 16, v0
	v_and_b32_e32 v1, 3, v1
	v_cndmask_b32_e32 v2, v8, v2, vcc
	v_and_b32_e32 v0, 0x80000000, v0
	v_cndmask_b32_e32 v1, v3, v1, vcc
	v_lshl_add_u32 v0, v2, 23, v0
	v_lshl_or_b32 v0, v1, 21, v0
	v_add_u32_e32 v2, 0x38000000, v0
                                        ; implicit-def: $vgpr3
                                        ; implicit-def: $vgpr0_vgpr1
.LBB4_1409:                             ;   in Loop: Header=BB4_137 Depth=3
	s_andn2_saveexec_b64 s[30:31], s[30:31]
; %bb.1410:                             ;   in Loop: Header=BB4_137 Depth=3
	v_cmp_lt_i16_e32 vcc, -1, v0
	v_mov_b32_e32 v0, 0xff800000
	v_mov_b32_e32 v1, 0x7f800000
	v_cndmask_b32_e32 v0, v0, v1, vcc
	v_cmp_eq_u32_e32 vcc, 0, v3
	v_mov_b32_e32 v1, 0x7f800001
	v_cndmask_b32_e32 v2, v1, v0, vcc
; %bb.1411:                             ;   in Loop: Header=BB4_137 Depth=3
	s_or_b64 exec, exec, s[30:31]
.LBB4_1412:                             ;   in Loop: Header=BB4_137 Depth=3
	s_or_b64 exec, exec, s[94:95]
.LBB4_1413:                             ;   in Loop: Header=BB4_137 Depth=3
	s_or_b64 exec, exec, s[26:27]
	v_mul_f32_e32 v2, v21, v2
	v_and_b32_e32 v8, 0x7f800000, v2
	v_mov_b32_e32 v9, v17
	v_cmp_ne_u64_e32 vcc, s[76:77], v[8:9]
	v_and_b32_e32 v0, 0x7fffff, v2
	v_mov_b32_e32 v1, v17
                                        ; implicit-def: $vgpr31
	s_and_saveexec_b64 s[26:27], vcc
	s_xor_b64 s[94:95], exec, s[26:27]
	s_cbranch_execz .LBB4_1427
; %bb.1414:                             ;   in Loop: Header=BB4_137 Depth=3
	v_and_b32_e32 v8, 0x7fffffff, v2
	v_mov_b32_e32 v9, v17
	v_cmp_gt_u64_e32 vcc, s[78:79], v[8:9]
	v_and_b32_sdwa v3, v2, s96 dst_sel:DWORD dst_unused:UNUSED_PAD src0_sel:BYTE_3 src1_sel:DWORD
                                        ; implicit-def: $vgpr31
	s_and_saveexec_b64 s[26:27], vcc
	s_xor_b64 s[30:31], exec, s[26:27]
	s_cbranch_execz .LBB4_1424
; %bb.1415:                             ;   in Loop: Header=BB4_137 Depth=3
	v_mov_b32_e32 v31, 0
	v_cmp_ne_u32_e32 vcc, 0, v2
	s_and_saveexec_b64 s[34:35], vcc
	s_cbranch_execz .LBB4_1423
; %bb.1416:                             ;   in Loop: Header=BB4_137 Depth=3
	v_bfe_u32 v8, v2, 23, 8
	v_cmp_gt_u32_e64 s[26:27], s46, v8
	v_sub_u32_e32 v2, 0x71, v8
	v_cmp_eq_u32_e32 vcc, 0, v8
	v_cndmask_b32_e64 v2, 0, v2, s[26:27]
	v_mov_b32_e32 v9, 0x70
	v_cndmask_b32_e32 v9, v2, v9, vcc
	v_add_u32_e32 v2, 21, v9
	v_or_b32_e32 v28, 0x800000, v0
	v_lshlrev_b64 v[31:32], v2, -1
	v_cndmask_b32_e32 v0, v28, v0, vcc
	v_add_u32_e32 v2, 20, v9
	v_bfi_b32 v31, v31, 0, v0
	v_lshlrev_b64 v[33:34], v2, 1
	v_lshrrev_b64 v[0:1], v9, v[0:1]
	v_bfi_b32 v32, v32, 0, 0
	v_cmp_eq_u64_e64 s[26:27], v[31:32], v[33:34]
	v_mov_b32_e32 v2, v1
	v_mov_b32_e32 v1, v0
	s_and_saveexec_b64 s[36:37], s[26:27]
; %bb.1417:                             ;   in Loop: Header=BB4_137 Depth=3
	v_bfe_u32 v1, v0, 21, 1
	v_add_co_u32_e64 v1, s[26:27], v0, v1
	v_add_co_u32_e64 v1, s[26:27], -1, v1
; %bb.1418:                             ;   in Loop: Header=BB4_137 Depth=3
	s_or_b64 exec, exec, s[36:37]
	v_add_u32_e32 v2, 0xffffff81, v8
	v_mov_b32_e32 v8, 0xffffff82
	v_cndmask_b32_e32 v2, v2, v8, vcc
	v_lshrrev_b32_e32 v8, 23, v0
	v_add3_u32 v9, v9, v2, v8
	v_add_u32_e32 v8, 14, v9
	v_and_b32_e32 v1, 0x1fffff, v1
	v_add_u32_e32 v0, v1, v0
	v_mov_b32_e32 v1, v17
	v_cmp_ne_u32_e32 vcc, 0, v8
                                        ; implicit-def: $vgpr2
	s_and_saveexec_b64 s[26:27], vcc
	s_xor_b64 s[26:27], exec, s[26:27]
; %bb.1419:                             ;   in Loop: Header=BB4_137 Depth=3
	v_cmp_lt_u64_e32 vcc, s[88:89], v[0:1]
	v_add_u32_e32 v2, 15, v9
	v_cndmask_b32_e32 v2, v8, v2, vcc
	v_cndmask_b32_e64 v8, 0, 1, vcc
	v_lshrrev_b64 v[0:1], v8, v[0:1]
; %bb.1420:                             ;   in Loop: Header=BB4_137 Depth=3
	s_andn2_saveexec_b64 s[26:27], s[26:27]
; %bb.1421:                             ;   in Loop: Header=BB4_137 Depth=3
	v_bfe_u32 v2, v0, 23, 1
; %bb.1422:                             ;   in Loop: Header=BB4_137 Depth=3
	s_or_b64 exec, exec, s[26:27]
	v_lshrrev_b64 v[0:1], 21, v[0:1]
	v_cmp_gt_i32_e32 vcc, 32, v2
	v_cndmask_b32_e32 v1, 0, v1, vcc
	v_cndmask_b32_e32 v0, 3, v0, vcc
	v_cmp_eq_u64_e64 s[26:27], 0, v[0:1]
	v_min_i32_e32 v1, 31, v2
	v_lshlrev_b32_e32 v1, 2, v1
	v_cmp_eq_u32_e32 vcc, 0, v2
	v_and_b32_e32 v1, 0xfc, v1
	v_and_or_b32 v0, v0, 3, v1
	s_and_b64 s[26:27], vcc, s[26:27]
	v_cndmask_b32_e64 v0, v0, 0, s[26:27]
	v_or_b32_e32 v31, v0, v3
.LBB4_1423:                             ;   in Loop: Header=BB4_137 Depth=3
	s_or_b64 exec, exec, s[34:35]
                                        ; implicit-def: $vgpr3
.LBB4_1424:                             ;   in Loop: Header=BB4_137 Depth=3
	s_andn2_saveexec_b64 s[26:27], s[30:31]
; %bb.1425:                             ;   in Loop: Header=BB4_137 Depth=3
	v_or_b32_e32 v31, 0x7b, v3
; %bb.1426:                             ;   in Loop: Header=BB4_137 Depth=3
	s_or_b64 exec, exec, s[26:27]
                                        ; implicit-def: $vgpr2
                                        ; implicit-def: $vgpr0_vgpr1
.LBB4_1427:                             ;   in Loop: Header=BB4_137 Depth=3
	s_andn2_saveexec_b64 s[26:27], s[94:95]
	s_cbranch_execz .LBB4_1433
; %bb.1428:                             ;   in Loop: Header=BB4_137 Depth=3
	v_cmp_ne_u64_e32 vcc, 0, v[0:1]
                                        ; implicit-def: $vgpr31
	s_and_saveexec_b64 s[94:95], vcc
	s_xor_b64 s[94:95], exec, s[94:95]
; %bb.1429:                             ;   in Loop: Header=BB4_137 Depth=3
	v_or_b32_sdwa v31, v2, s47 dst_sel:DWORD dst_unused:UNUSED_PAD src0_sel:BYTE_3 src1_sel:DWORD
                                        ; implicit-def: $vgpr2
; %bb.1430:                             ;   in Loop: Header=BB4_137 Depth=3
	s_andn2_saveexec_b64 s[94:95], s[94:95]
; %bb.1431:                             ;   in Loop: Header=BB4_137 Depth=3
	v_cmp_lt_i32_e32 vcc, -1, v2
	v_bfrev_b32_e32 v0, 0.5
	v_cndmask_b32_e32 v31, v0, v52, vcc
; %bb.1432:                             ;   in Loop: Header=BB4_137 Depth=3
	s_or_b64 exec, exec, s[94:95]
.LBB4_1433:                             ;   in Loop: Header=BB4_137 Depth=3
	s_or_b64 exec, exec, s[26:27]
	v_lshrrev_b32_e32 v0, 16, v11
	v_cmp_ne_u16_sdwa s[94:95], v0, v17 src0_sel:BYTE_0 src1_sel:DWORD
	v_mov_b32_e32 v1, 0
	s_and_saveexec_b64 s[26:27], s[94:95]
	s_cbranch_execz .LBB4_1441
; %bb.1434:                             ;   in Loop: Header=BB4_137 Depth=3
	v_cmp_ne_u16_sdwa vcc, v0, s96 src0_sel:BYTE_0 src1_sel:DWORD
	v_bfrev_b32_e32 v1, 1
	s_and_saveexec_b64 s[94:95], vcc
	s_cbranch_execz .LBB4_1440
; %bb.1435:                             ;   in Loop: Header=BB4_137 Depth=3
	v_and_b32_e32 v1, 0x7c0000, v11
	v_bfe_u32 v2, v11, 16, 2
	v_cmp_ne_u32_e32 vcc, s44, v1
                                        ; implicit-def: $vgpr1
	s_and_saveexec_b64 s[30:31], vcc
	s_xor_b64 s[30:31], exec, s[30:31]
	s_cbranch_execz .LBB4_1437
; %bb.1436:                             ;   in Loop: Header=BB4_137 Depth=3
	v_ffbh_u32_e32 v1, v2
	v_min_u32_e32 v8, 32, v1
	v_subrev_u32_e32 v1, 29, v8
	v_lshlrev_b64 v[0:1], v1, v[0:1]
	v_bfe_u32 v3, v11, 18, 5
	v_and_b32_e32 v0, 3, v0
	v_cmp_eq_u32_e32 vcc, 0, v3
	v_sub_u32_e32 v1, 30, v8
	v_cndmask_b32_e32 v0, v2, v0, vcc
	v_lshlrev_b32_e32 v2, 8, v11
	v_cndmask_b32_e32 v1, v3, v1, vcc
	v_and_b32_e32 v2, 0x80000000, v2
	v_lshl_add_u32 v1, v1, 23, v2
	v_lshl_or_b32 v0, v0, 21, v1
	v_add_u32_e32 v1, 0x38000000, v0
                                        ; implicit-def: $vgpr2
                                        ; implicit-def: $vgpr0
.LBB4_1437:                             ;   in Loop: Header=BB4_137 Depth=3
	s_andn2_saveexec_b64 s[30:31], s[30:31]
; %bb.1438:                             ;   in Loop: Header=BB4_137 Depth=3
	v_mov_b32_e32 v1, -1
	v_cmp_gt_i16_sdwa vcc, sext(v0), v1 src0_sel:BYTE_0 src1_sel:DWORD
	v_mov_b32_e32 v0, 0xff800000
	v_mov_b32_e32 v1, 0x7f800000
	v_cndmask_b32_e32 v0, v0, v1, vcc
	v_cmp_eq_u32_e32 vcc, 0, v2
	v_mov_b32_e32 v1, 0x7f800001
	v_cndmask_b32_e32 v1, v1, v0, vcc
; %bb.1439:                             ;   in Loop: Header=BB4_137 Depth=3
	s_or_b64 exec, exec, s[30:31]
.LBB4_1440:                             ;   in Loop: Header=BB4_137 Depth=3
	s_or_b64 exec, exec, s[94:95]
.LBB4_1441:                             ;   in Loop: Header=BB4_137 Depth=3
	s_or_b64 exec, exec, s[26:27]
	v_mul_f32_e32 v2, v21, v1
	v_and_b32_e32 v8, 0x7f800000, v2
	v_mov_b32_e32 v9, v17
	v_cmp_ne_u64_e32 vcc, s[76:77], v[8:9]
	v_and_b32_e32 v0, 0x7fffff, v2
	v_mov_b32_e32 v1, v17
                                        ; implicit-def: $vgpr32
	s_and_saveexec_b64 s[26:27], vcc
	s_xor_b64 s[94:95], exec, s[26:27]
	s_cbranch_execz .LBB4_1455
; %bb.1442:                             ;   in Loop: Header=BB4_137 Depth=3
	v_and_b32_e32 v8, 0x7fffffff, v2
	v_mov_b32_e32 v9, v17
	v_cmp_gt_u64_e32 vcc, s[78:79], v[8:9]
	v_and_b32_sdwa v3, v2, s96 dst_sel:DWORD dst_unused:UNUSED_PAD src0_sel:BYTE_3 src1_sel:DWORD
                                        ; implicit-def: $vgpr32
	s_and_saveexec_b64 s[26:27], vcc
	s_xor_b64 s[30:31], exec, s[26:27]
	s_cbranch_execz .LBB4_1452
; %bb.1443:                             ;   in Loop: Header=BB4_137 Depth=3
	v_mov_b32_e32 v32, 0
	v_cmp_ne_u32_e32 vcc, 0, v2
	s_and_saveexec_b64 s[34:35], vcc
	s_cbranch_execz .LBB4_1451
; %bb.1444:                             ;   in Loop: Header=BB4_137 Depth=3
	v_bfe_u32 v8, v2, 23, 8
	v_cmp_gt_u32_e64 s[26:27], s46, v8
	v_sub_u32_e32 v2, 0x71, v8
	v_cmp_eq_u32_e32 vcc, 0, v8
	v_cndmask_b32_e64 v2, 0, v2, s[26:27]
	v_mov_b32_e32 v9, 0x70
	v_cndmask_b32_e32 v9, v2, v9, vcc
	v_add_u32_e32 v2, 21, v9
	v_or_b32_e32 v28, 0x800000, v0
	v_lshlrev_b64 v[32:33], v2, -1
	v_cndmask_b32_e32 v0, v28, v0, vcc
	v_add_u32_e32 v2, 20, v9
	v_bfi_b32 v32, v32, 0, v0
	v_lshlrev_b64 v[34:35], v2, 1
	v_lshrrev_b64 v[0:1], v9, v[0:1]
	v_bfi_b32 v33, v33, 0, 0
	v_cmp_eq_u64_e64 s[26:27], v[32:33], v[34:35]
	v_mov_b32_e32 v2, v1
	v_mov_b32_e32 v1, v0
	s_and_saveexec_b64 s[36:37], s[26:27]
; %bb.1445:                             ;   in Loop: Header=BB4_137 Depth=3
	v_bfe_u32 v1, v0, 21, 1
	v_add_co_u32_e64 v1, s[26:27], v0, v1
	v_add_co_u32_e64 v1, s[26:27], -1, v1
; %bb.1446:                             ;   in Loop: Header=BB4_137 Depth=3
	s_or_b64 exec, exec, s[36:37]
	v_add_u32_e32 v2, 0xffffff81, v8
	v_mov_b32_e32 v8, 0xffffff82
	v_cndmask_b32_e32 v2, v2, v8, vcc
	v_lshrrev_b32_e32 v8, 23, v0
	v_add3_u32 v9, v9, v2, v8
	v_add_u32_e32 v8, 14, v9
	v_and_b32_e32 v1, 0x1fffff, v1
	v_add_u32_e32 v0, v1, v0
	v_mov_b32_e32 v1, v17
	v_cmp_ne_u32_e32 vcc, 0, v8
                                        ; implicit-def: $vgpr2
	s_and_saveexec_b64 s[26:27], vcc
	s_xor_b64 s[26:27], exec, s[26:27]
; %bb.1447:                             ;   in Loop: Header=BB4_137 Depth=3
	v_cmp_lt_u64_e32 vcc, s[88:89], v[0:1]
	v_add_u32_e32 v2, 15, v9
	v_cndmask_b32_e32 v2, v8, v2, vcc
	v_cndmask_b32_e64 v8, 0, 1, vcc
	v_lshrrev_b64 v[0:1], v8, v[0:1]
; %bb.1448:                             ;   in Loop: Header=BB4_137 Depth=3
	s_andn2_saveexec_b64 s[26:27], s[26:27]
; %bb.1449:                             ;   in Loop: Header=BB4_137 Depth=3
	v_bfe_u32 v2, v0, 23, 1
; %bb.1450:                             ;   in Loop: Header=BB4_137 Depth=3
	s_or_b64 exec, exec, s[26:27]
	v_lshrrev_b64 v[0:1], 21, v[0:1]
	v_cmp_gt_i32_e32 vcc, 32, v2
	v_cndmask_b32_e32 v1, 0, v1, vcc
	v_cndmask_b32_e32 v0, 3, v0, vcc
	v_cmp_eq_u64_e64 s[26:27], 0, v[0:1]
	v_min_i32_e32 v1, 31, v2
	v_lshlrev_b32_e32 v1, 2, v1
	v_cmp_eq_u32_e32 vcc, 0, v2
	v_and_b32_e32 v1, 0xfc, v1
	v_and_or_b32 v0, v0, 3, v1
	s_and_b64 s[26:27], vcc, s[26:27]
	v_cndmask_b32_e64 v0, v0, 0, s[26:27]
	v_or_b32_e32 v32, v0, v3
.LBB4_1451:                             ;   in Loop: Header=BB4_137 Depth=3
	s_or_b64 exec, exec, s[34:35]
                                        ; implicit-def: $vgpr3
.LBB4_1452:                             ;   in Loop: Header=BB4_137 Depth=3
	s_andn2_saveexec_b64 s[26:27], s[30:31]
; %bb.1453:                             ;   in Loop: Header=BB4_137 Depth=3
	v_or_b32_e32 v32, 0x7b, v3
; %bb.1454:                             ;   in Loop: Header=BB4_137 Depth=3
	s_or_b64 exec, exec, s[26:27]
                                        ; implicit-def: $vgpr2
                                        ; implicit-def: $vgpr0_vgpr1
.LBB4_1455:                             ;   in Loop: Header=BB4_137 Depth=3
	s_andn2_saveexec_b64 s[26:27], s[94:95]
	s_cbranch_execz .LBB4_1461
; %bb.1456:                             ;   in Loop: Header=BB4_137 Depth=3
	v_cmp_ne_u64_e32 vcc, 0, v[0:1]
                                        ; implicit-def: $vgpr32
	s_and_saveexec_b64 s[94:95], vcc
	s_xor_b64 s[94:95], exec, s[94:95]
; %bb.1457:                             ;   in Loop: Header=BB4_137 Depth=3
	v_or_b32_sdwa v32, v2, s47 dst_sel:DWORD dst_unused:UNUSED_PAD src0_sel:BYTE_3 src1_sel:DWORD
                                        ; implicit-def: $vgpr2
; %bb.1458:                             ;   in Loop: Header=BB4_137 Depth=3
	s_andn2_saveexec_b64 s[94:95], s[94:95]
; %bb.1459:                             ;   in Loop: Header=BB4_137 Depth=3
	v_cmp_lt_i32_e32 vcc, -1, v2
	v_bfrev_b32_e32 v0, 0.5
	v_cndmask_b32_e32 v32, v0, v52, vcc
; %bb.1460:                             ;   in Loop: Header=BB4_137 Depth=3
	s_or_b64 exec, exec, s[94:95]
.LBB4_1461:                             ;   in Loop: Header=BB4_137 Depth=3
	s_or_b64 exec, exec, s[26:27]
	v_cmp_lt_u64_e32 vcc, s[56:57], v[10:11]
	v_mov_b32_e32 v1, 0
	s_and_saveexec_b64 s[26:27], vcc
	s_cbranch_execz .LBB4_1469
; %bb.1462:                             ;   in Loop: Header=BB4_137 Depth=3
	v_lshrrev_b32_e32 v0, 24, v11
	v_cmp_ne_u32_e32 vcc, s96, v0
	v_bfrev_b32_e32 v1, 1
	s_and_saveexec_b64 s[94:95], vcc
	s_cbranch_execz .LBB4_1468
; %bb.1463:                             ;   in Loop: Header=BB4_137 Depth=3
	v_and_b32_e32 v1, 0x7c000000, v11
	v_bfe_u32 v2, v11, 24, 2
	v_cmp_ne_u32_e32 vcc, s45, v1
                                        ; implicit-def: $vgpr1
	s_and_saveexec_b64 s[30:31], vcc
	s_xor_b64 s[30:31], exec, s[30:31]
	s_cbranch_execz .LBB4_1465
; %bb.1464:                             ;   in Loop: Header=BB4_137 Depth=3
	v_ffbh_u32_e32 v1, v2
	v_min_u32_e32 v8, 32, v1
	v_subrev_u32_e32 v1, 29, v8
	v_lshlrev_b64 v[0:1], v1, v[0:1]
	v_bfe_u32 v3, v11, 26, 5
	v_sub_u32_e32 v1, 30, v8
	v_and_b32_e32 v0, 3, v0
	v_cmp_eq_u32_e32 vcc, 0, v3
	v_cndmask_b32_e32 v1, v3, v1, vcc
	v_cndmask_b32_e32 v0, v2, v0, vcc
	v_and_b32_e32 v2, 0x80000000, v11
	v_lshl_add_u32 v1, v1, 23, v2
	v_lshl_or_b32 v0, v0, 21, v1
	v_add_u32_e32 v1, 0x38000000, v0
                                        ; implicit-def: $vgpr2
                                        ; implicit-def: $vgpr10_vgpr11
.LBB4_1465:                             ;   in Loop: Header=BB4_137 Depth=3
	s_andn2_saveexec_b64 s[30:31], s[30:31]
; %bb.1466:                             ;   in Loop: Header=BB4_137 Depth=3
	v_cmp_lt_i64_e32 vcc, -1, v[10:11]
	v_mov_b32_e32 v0, 0xff800000
	v_mov_b32_e32 v1, 0x7f800000
	v_cndmask_b32_e32 v0, v0, v1, vcc
	v_cmp_eq_u32_e32 vcc, 0, v2
	v_mov_b32_e32 v1, 0x7f800001
	v_cndmask_b32_e32 v1, v1, v0, vcc
; %bb.1467:                             ;   in Loop: Header=BB4_137 Depth=3
	s_or_b64 exec, exec, s[30:31]
.LBB4_1468:                             ;   in Loop: Header=BB4_137 Depth=3
	s_or_b64 exec, exec, s[94:95]
.LBB4_1469:                             ;   in Loop: Header=BB4_137 Depth=3
	s_or_b64 exec, exec, s[26:27]
	v_mul_f32_e32 v2, v21, v1
	v_and_b32_e32 v8, 0x7f800000, v2
	v_mov_b32_e32 v9, v17
	v_cmp_ne_u64_e32 vcc, s[76:77], v[8:9]
	v_and_b32_e32 v0, 0x7fffff, v2
	v_mov_b32_e32 v1, v17
                                        ; implicit-def: $vgpr33
	s_and_saveexec_b64 s[26:27], vcc
	s_xor_b64 s[94:95], exec, s[26:27]
	s_cbranch_execz .LBB4_1483
; %bb.1470:                             ;   in Loop: Header=BB4_137 Depth=3
	v_and_b32_e32 v8, 0x7fffffff, v2
	v_mov_b32_e32 v9, v17
	v_cmp_gt_u64_e32 vcc, s[78:79], v[8:9]
	v_and_b32_sdwa v3, v2, s96 dst_sel:DWORD dst_unused:UNUSED_PAD src0_sel:BYTE_3 src1_sel:DWORD
                                        ; implicit-def: $vgpr33
	s_and_saveexec_b64 s[26:27], vcc
	s_xor_b64 s[30:31], exec, s[26:27]
	s_cbranch_execz .LBB4_1480
; %bb.1471:                             ;   in Loop: Header=BB4_137 Depth=3
	v_mov_b32_e32 v33, 0
	v_cmp_ne_u32_e32 vcc, 0, v2
	s_and_saveexec_b64 s[34:35], vcc
	s_cbranch_execz .LBB4_1479
; %bb.1472:                             ;   in Loop: Header=BB4_137 Depth=3
	v_bfe_u32 v8, v2, 23, 8
	v_cmp_gt_u32_e64 s[26:27], s46, v8
	v_sub_u32_e32 v2, 0x71, v8
	v_cmp_eq_u32_e32 vcc, 0, v8
	v_cndmask_b32_e64 v2, 0, v2, s[26:27]
	v_mov_b32_e32 v9, 0x70
	v_cndmask_b32_e32 v9, v2, v9, vcc
	v_or_b32_e32 v10, 0x800000, v0
	v_add_u32_e32 v2, 21, v9
	v_cndmask_b32_e32 v0, v10, v0, vcc
	v_lshlrev_b64 v[10:11], v2, -1
	v_add_u32_e32 v2, 20, v9
	v_bfi_b32 v10, v10, 0, v0
	v_lshlrev_b64 v[33:34], v2, 1
	v_lshrrev_b64 v[0:1], v9, v[0:1]
	v_bfi_b32 v11, v11, 0, 0
	v_cmp_eq_u64_e64 s[26:27], v[10:11], v[33:34]
	v_mov_b32_e32 v2, v1
	v_mov_b32_e32 v1, v0
	s_and_saveexec_b64 s[36:37], s[26:27]
; %bb.1473:                             ;   in Loop: Header=BB4_137 Depth=3
	v_bfe_u32 v1, v0, 21, 1
	v_add_co_u32_e64 v1, s[26:27], v0, v1
	v_add_co_u32_e64 v1, s[26:27], -1, v1
; %bb.1474:                             ;   in Loop: Header=BB4_137 Depth=3
	s_or_b64 exec, exec, s[36:37]
	v_add_u32_e32 v2, 0xffffff81, v8
	v_mov_b32_e32 v8, 0xffffff82
	v_cndmask_b32_e32 v2, v2, v8, vcc
	v_lshrrev_b32_e32 v8, 23, v0
	v_add3_u32 v9, v9, v2, v8
	v_add_u32_e32 v8, 14, v9
	v_and_b32_e32 v1, 0x1fffff, v1
	v_add_u32_e32 v0, v1, v0
	v_mov_b32_e32 v1, v17
	v_cmp_ne_u32_e32 vcc, 0, v8
                                        ; implicit-def: $vgpr2
	s_and_saveexec_b64 s[26:27], vcc
	s_xor_b64 s[26:27], exec, s[26:27]
; %bb.1475:                             ;   in Loop: Header=BB4_137 Depth=3
	v_cmp_lt_u64_e32 vcc, s[88:89], v[0:1]
	v_add_u32_e32 v2, 15, v9
	v_cndmask_b32_e32 v2, v8, v2, vcc
	v_cndmask_b32_e64 v8, 0, 1, vcc
	v_lshrrev_b64 v[0:1], v8, v[0:1]
; %bb.1476:                             ;   in Loop: Header=BB4_137 Depth=3
	s_andn2_saveexec_b64 s[26:27], s[26:27]
; %bb.1477:                             ;   in Loop: Header=BB4_137 Depth=3
	v_bfe_u32 v2, v0, 23, 1
; %bb.1478:                             ;   in Loop: Header=BB4_137 Depth=3
	s_or_b64 exec, exec, s[26:27]
	v_lshrrev_b64 v[0:1], 21, v[0:1]
	v_cmp_gt_i32_e32 vcc, 32, v2
	v_cndmask_b32_e32 v1, 0, v1, vcc
	v_cndmask_b32_e32 v0, 3, v0, vcc
	v_cmp_eq_u64_e64 s[26:27], 0, v[0:1]
	v_min_i32_e32 v1, 31, v2
	v_lshlrev_b32_e32 v1, 2, v1
	v_cmp_eq_u32_e32 vcc, 0, v2
	v_and_b32_e32 v1, 0xfc, v1
	v_and_or_b32 v0, v0, 3, v1
	s_and_b64 s[26:27], vcc, s[26:27]
	v_cndmask_b32_e64 v0, v0, 0, s[26:27]
	v_or_b32_e32 v33, v0, v3
.LBB4_1479:                             ;   in Loop: Header=BB4_137 Depth=3
	s_or_b64 exec, exec, s[34:35]
                                        ; implicit-def: $vgpr3
.LBB4_1480:                             ;   in Loop: Header=BB4_137 Depth=3
	s_andn2_saveexec_b64 s[26:27], s[30:31]
; %bb.1481:                             ;   in Loop: Header=BB4_137 Depth=3
	v_or_b32_e32 v33, 0x7b, v3
; %bb.1482:                             ;   in Loop: Header=BB4_137 Depth=3
	s_or_b64 exec, exec, s[26:27]
                                        ; implicit-def: $vgpr2
                                        ; implicit-def: $vgpr0_vgpr1
.LBB4_1483:                             ;   in Loop: Header=BB4_137 Depth=3
	s_andn2_saveexec_b64 s[26:27], s[94:95]
	s_cbranch_execz .LBB4_1489
; %bb.1484:                             ;   in Loop: Header=BB4_137 Depth=3
	v_cmp_ne_u64_e32 vcc, 0, v[0:1]
                                        ; implicit-def: $vgpr33
	s_and_saveexec_b64 s[94:95], vcc
	s_xor_b64 s[94:95], exec, s[94:95]
; %bb.1485:                             ;   in Loop: Header=BB4_137 Depth=3
	v_or_b32_sdwa v33, v2, s47 dst_sel:DWORD dst_unused:UNUSED_PAD src0_sel:BYTE_3 src1_sel:DWORD
                                        ; implicit-def: $vgpr2
; %bb.1486:                             ;   in Loop: Header=BB4_137 Depth=3
	s_andn2_saveexec_b64 s[94:95], s[94:95]
; %bb.1487:                             ;   in Loop: Header=BB4_137 Depth=3
	v_cmp_lt_i32_e32 vcc, -1, v2
	v_bfrev_b32_e32 v0, 0.5
	v_cndmask_b32_e32 v33, v0, v52, vcc
; %bb.1488:                             ;   in Loop: Header=BB4_137 Depth=3
	s_or_b64 exec, exec, s[94:95]
.LBB4_1489:                             ;   in Loop: Header=BB4_137 Depth=3
	s_or_b64 exec, exec, s[26:27]
	global_load_dwordx4 v[8:11], v[44:45], off offset:3072 glc slc
	v_mov_b32_e32 v0, 0
	s_waitcnt vmcnt(0)
	v_cmp_ne_u16_sdwa s[94:95], v8, v17 src0_sel:BYTE_0 src1_sel:DWORD
	s_and_saveexec_b64 s[26:27], s[94:95]
	s_cbranch_execz .LBB4_1497
; %bb.1490:                             ;   in Loop: Header=BB4_137 Depth=3
	v_cmp_ne_u16_sdwa vcc, sext(v8), s97 src0_sel:BYTE_0 src1_sel:DWORD
	v_bfrev_b32_e32 v0, 1
	s_and_saveexec_b64 s[94:95], vcc
	s_cbranch_execz .LBB4_1496
; %bb.1491:                             ;   in Loop: Header=BB4_137 Depth=3
	v_and_b32_e32 v0, 0x7c, v8
	v_and_b32_e32 v1, 3, v8
	v_cmp_ne_u32_e32 vcc, s85, v0
                                        ; implicit-def: $vgpr0
	s_and_saveexec_b64 s[30:31], vcc
	s_xor_b64 s[30:31], exec, s[30:31]
	s_cbranch_execz .LBB4_1493
; %bb.1492:                             ;   in Loop: Header=BB4_137 Depth=3
	v_ffbh_u32_e32 v2, v1
	v_min_u32_e32 v28, 32, v2
	v_subrev_u32_e32 v2, 29, v28
	v_lshlrev_b64 v[2:3], v2, v[8:9]
	v_bfe_u32 v0, v8, 2, 5
	v_and_b32_e32 v2, 3, v2
	v_cmp_eq_u32_e32 vcc, 0, v0
	v_sub_u32_e32 v3, 30, v28
	v_cndmask_b32_e32 v1, v1, v2, vcc
	v_lshlrev_b32_e32 v2, 24, v8
	v_cndmask_b32_e32 v0, v0, v3, vcc
	v_and_b32_e32 v2, 0x80000000, v2
	v_lshl_add_u32 v0, v0, 23, v2
	v_lshl_or_b32 v0, v1, 21, v0
	v_add_u32_e32 v0, 0x38000000, v0
                                        ; implicit-def: $vgpr1
.LBB4_1493:                             ;   in Loop: Header=BB4_137 Depth=3
	s_andn2_saveexec_b64 s[30:31], s[30:31]
; %bb.1494:                             ;   in Loop: Header=BB4_137 Depth=3
	v_mov_b32_e32 v0, -1
	v_cmp_gt_i16_sdwa vcc, sext(v8), v0 src0_sel:BYTE_0 src1_sel:DWORD
	v_mov_b32_e32 v0, 0xff800000
	v_mov_b32_e32 v2, 0x7f800000
	v_cndmask_b32_e32 v0, v0, v2, vcc
	v_cmp_eq_u32_e32 vcc, 0, v1
	v_mov_b32_e32 v1, 0x7f800001
	v_cndmask_b32_e32 v0, v1, v0, vcc
; %bb.1495:                             ;   in Loop: Header=BB4_137 Depth=3
	s_or_b64 exec, exec, s[30:31]
.LBB4_1496:                             ;   in Loop: Header=BB4_137 Depth=3
	s_or_b64 exec, exec, s[94:95]
.LBB4_1497:                             ;   in Loop: Header=BB4_137 Depth=3
	s_or_b64 exec, exec, s[26:27]
	v_mul_f32_e32 v2, v21, v0
	v_and_b32_e32 v34, 0x7f800000, v2
	v_mov_b32_e32 v35, v17
	v_cmp_ne_u64_e32 vcc, s[76:77], v[34:35]
	v_and_b32_e32 v0, 0x7fffff, v2
	v_mov_b32_e32 v1, v17
                                        ; implicit-def: $vgpr44
	s_and_saveexec_b64 s[26:27], vcc
	s_xor_b64 s[94:95], exec, s[26:27]
	s_cbranch_execz .LBB4_1511
; %bb.1498:                             ;   in Loop: Header=BB4_137 Depth=3
	v_and_b32_e32 v34, 0x7fffffff, v2
	v_mov_b32_e32 v35, v17
	v_cmp_gt_u64_e32 vcc, s[78:79], v[34:35]
	v_and_b32_sdwa v3, v2, s96 dst_sel:DWORD dst_unused:UNUSED_PAD src0_sel:BYTE_3 src1_sel:DWORD
                                        ; implicit-def: $vgpr44
	s_and_saveexec_b64 s[26:27], vcc
	s_xor_b64 s[30:31], exec, s[26:27]
	s_cbranch_execz .LBB4_1508
; %bb.1499:                             ;   in Loop: Header=BB4_137 Depth=3
	v_mov_b32_e32 v44, 0
	v_cmp_ne_u32_e32 vcc, 0, v2
	s_and_saveexec_b64 s[34:35], vcc
	s_cbranch_execz .LBB4_1507
; %bb.1500:                             ;   in Loop: Header=BB4_137 Depth=3
	v_bfe_u32 v34, v2, 23, 8
	v_cmp_gt_u32_e64 s[26:27], s46, v34
	v_sub_u32_e32 v2, 0x71, v34
	v_cmp_eq_u32_e32 vcc, 0, v34
	v_cndmask_b32_e64 v2, 0, v2, s[26:27]
	v_mov_b32_e32 v29, 0x70
	v_cndmask_b32_e32 v35, v2, v29, vcc
	v_add_u32_e32 v2, 21, v35
	v_or_b32_e32 v28, 0x800000, v0
	v_lshlrev_b64 v[36:37], v2, -1
	v_cndmask_b32_e32 v0, v28, v0, vcc
	v_add_u32_e32 v2, 20, v35
	v_bfi_b32 v36, v36, 0, v0
	v_lshlrev_b64 v[38:39], v2, 1
	v_lshrrev_b64 v[0:1], v35, v[0:1]
	v_bfi_b32 v37, v37, 0, 0
	v_cmp_eq_u64_e64 s[26:27], v[36:37], v[38:39]
	v_mov_b32_e32 v2, v1
	v_mov_b32_e32 v1, v0
	s_and_saveexec_b64 s[36:37], s[26:27]
; %bb.1501:                             ;   in Loop: Header=BB4_137 Depth=3
	v_bfe_u32 v1, v0, 21, 1
	v_add_co_u32_e64 v1, s[26:27], v0, v1
	v_add_co_u32_e64 v1, s[26:27], -1, v1
; %bb.1502:                             ;   in Loop: Header=BB4_137 Depth=3
	s_or_b64 exec, exec, s[36:37]
	v_add_u32_e32 v2, 0xffffff81, v34
	v_mov_b32_e32 v28, 0xffffff82
	v_cndmask_b32_e32 v2, v2, v28, vcc
	v_lshrrev_b32_e32 v28, 23, v0
	v_add3_u32 v35, v35, v2, v28
	v_add_u32_e32 v34, 14, v35
	v_and_b32_e32 v1, 0x1fffff, v1
	v_add_u32_e32 v0, v1, v0
	v_mov_b32_e32 v1, v17
	v_cmp_ne_u32_e32 vcc, 0, v34
                                        ; implicit-def: $vgpr2
	s_and_saveexec_b64 s[26:27], vcc
	s_xor_b64 s[26:27], exec, s[26:27]
; %bb.1503:                             ;   in Loop: Header=BB4_137 Depth=3
	v_cmp_lt_u64_e32 vcc, s[88:89], v[0:1]
	v_add_u32_e32 v2, 15, v35
	v_cndmask_b32_e64 v28, 0, 1, vcc
	v_lshrrev_b64 v[0:1], v28, v[0:1]
	v_cndmask_b32_e32 v2, v34, v2, vcc
; %bb.1504:                             ;   in Loop: Header=BB4_137 Depth=3
	s_andn2_saveexec_b64 s[26:27], s[26:27]
; %bb.1505:                             ;   in Loop: Header=BB4_137 Depth=3
	v_bfe_u32 v2, v0, 23, 1
; %bb.1506:                             ;   in Loop: Header=BB4_137 Depth=3
	s_or_b64 exec, exec, s[26:27]
	v_lshrrev_b64 v[0:1], 21, v[0:1]
	v_cmp_gt_i32_e32 vcc, 32, v2
	v_cndmask_b32_e32 v1, 0, v1, vcc
	v_cndmask_b32_e32 v0, 3, v0, vcc
	v_cmp_eq_u64_e64 s[26:27], 0, v[0:1]
	v_min_i32_e32 v1, 31, v2
	v_lshlrev_b32_e32 v1, 2, v1
	v_cmp_eq_u32_e32 vcc, 0, v2
	v_and_b32_e32 v1, 0xfc, v1
	v_and_or_b32 v0, v0, 3, v1
	s_and_b64 s[26:27], vcc, s[26:27]
	v_cndmask_b32_e64 v0, v0, 0, s[26:27]
	v_or_b32_e32 v44, v0, v3
.LBB4_1507:                             ;   in Loop: Header=BB4_137 Depth=3
	s_or_b64 exec, exec, s[34:35]
                                        ; implicit-def: $vgpr3
.LBB4_1508:                             ;   in Loop: Header=BB4_137 Depth=3
	s_andn2_saveexec_b64 s[26:27], s[30:31]
; %bb.1509:                             ;   in Loop: Header=BB4_137 Depth=3
	v_or_b32_e32 v44, 0x7b, v3
; %bb.1510:                             ;   in Loop: Header=BB4_137 Depth=3
	s_or_b64 exec, exec, s[26:27]
                                        ; implicit-def: $vgpr2
                                        ; implicit-def: $vgpr0_vgpr1
.LBB4_1511:                             ;   in Loop: Header=BB4_137 Depth=3
	s_andn2_saveexec_b64 s[26:27], s[94:95]
	s_cbranch_execz .LBB4_1517
; %bb.1512:                             ;   in Loop: Header=BB4_137 Depth=3
	v_cmp_ne_u64_e32 vcc, 0, v[0:1]
                                        ; implicit-def: $vgpr44
	s_and_saveexec_b64 s[94:95], vcc
	s_xor_b64 s[94:95], exec, s[94:95]
; %bb.1513:                             ;   in Loop: Header=BB4_137 Depth=3
	v_or_b32_sdwa v44, v2, s47 dst_sel:DWORD dst_unused:UNUSED_PAD src0_sel:BYTE_3 src1_sel:DWORD
                                        ; implicit-def: $vgpr2
; %bb.1514:                             ;   in Loop: Header=BB4_137 Depth=3
	s_andn2_saveexec_b64 s[94:95], s[94:95]
; %bb.1515:                             ;   in Loop: Header=BB4_137 Depth=3
	v_cmp_lt_i32_e32 vcc, -1, v2
	v_bfrev_b32_e32 v0, 0.5
	v_cndmask_b32_e32 v44, v0, v52, vcc
; %bb.1516:                             ;   in Loop: Header=BB4_137 Depth=3
	s_or_b64 exec, exec, s[94:95]
.LBB4_1517:                             ;   in Loop: Header=BB4_137 Depth=3
	s_or_b64 exec, exec, s[26:27]
	v_lshrrev_b16_e32 v0, 8, v8
	v_cmp_ne_u16_e32 vcc, 0, v0
	v_mov_b32_e32 v1, 0
	s_and_saveexec_b64 s[26:27], vcc
	s_cbranch_execz .LBB4_1525
; %bb.1518:                             ;   in Loop: Header=BB4_137 Depth=3
	v_cmp_ne_u16_e32 vcc, s96, v0
	v_bfrev_b32_e32 v1, 1
	s_and_saveexec_b64 s[94:95], vcc
	s_cbranch_execz .LBB4_1524
; %bb.1519:                             ;   in Loop: Header=BB4_137 Depth=3
	v_and_b32_e32 v1, 0x7c, v0
	v_and_b32_e32 v2, 3, v0
	v_cmp_ne_u32_e32 vcc, s85, v1
                                        ; implicit-def: $vgpr1
	s_and_saveexec_b64 s[30:31], vcc
	s_xor_b64 s[30:31], exec, s[30:31]
	s_cbranch_execz .LBB4_1521
; %bb.1520:                             ;   in Loop: Header=BB4_137 Depth=3
	v_ffbh_u32_e32 v28, v2
	v_min_u32_e32 v28, 32, v28
	v_mov_b32_e32 v1, v17
	v_subrev_u32_e32 v29, 29, v28
	v_bfe_u32 v3, v0, 2, 5
	v_lshlrev_b64 v[0:1], v29, v[0:1]
	v_cmp_eq_u32_e32 vcc, 0, v3
	v_and_b32_e32 v0, 3, v0
	v_sub_u32_e32 v1, 30, v28
	v_cndmask_b32_e32 v0, v2, v0, vcc
	v_lshlrev_b32_e32 v2, 16, v8
	v_cndmask_b32_e32 v1, v3, v1, vcc
	v_and_b32_e32 v2, 0x80000000, v2
	v_lshl_add_u32 v1, v1, 23, v2
	v_lshl_or_b32 v0, v0, 21, v1
	v_add_u32_e32 v1, 0x38000000, v0
                                        ; implicit-def: $vgpr2
.LBB4_1521:                             ;   in Loop: Header=BB4_137 Depth=3
	s_andn2_saveexec_b64 s[30:31], s[30:31]
; %bb.1522:                             ;   in Loop: Header=BB4_137 Depth=3
	v_cmp_lt_i16_e32 vcc, -1, v8
	v_mov_b32_e32 v0, 0xff800000
	v_mov_b32_e32 v1, 0x7f800000
	v_cndmask_b32_e32 v0, v0, v1, vcc
	v_cmp_eq_u32_e32 vcc, 0, v2
	v_mov_b32_e32 v1, 0x7f800001
	v_cndmask_b32_e32 v1, v1, v0, vcc
; %bb.1523:                             ;   in Loop: Header=BB4_137 Depth=3
	s_or_b64 exec, exec, s[30:31]
.LBB4_1524:                             ;   in Loop: Header=BB4_137 Depth=3
	s_or_b64 exec, exec, s[94:95]
.LBB4_1525:                             ;   in Loop: Header=BB4_137 Depth=3
	s_or_b64 exec, exec, s[26:27]
	v_mul_f32_e32 v2, v21, v1
	v_and_b32_e32 v34, 0x7f800000, v2
	v_mov_b32_e32 v35, v17
	v_cmp_ne_u64_e32 vcc, s[76:77], v[34:35]
	v_and_b32_e32 v0, 0x7fffff, v2
	v_mov_b32_e32 v1, v17
                                        ; implicit-def: $vgpr45
	s_and_saveexec_b64 s[26:27], vcc
	s_xor_b64 s[94:95], exec, s[26:27]
	s_cbranch_execz .LBB4_1539
; %bb.1526:                             ;   in Loop: Header=BB4_137 Depth=3
	v_and_b32_e32 v34, 0x7fffffff, v2
	v_mov_b32_e32 v35, v17
	v_cmp_gt_u64_e32 vcc, s[78:79], v[34:35]
	v_and_b32_sdwa v3, v2, s96 dst_sel:DWORD dst_unused:UNUSED_PAD src0_sel:BYTE_3 src1_sel:DWORD
                                        ; implicit-def: $vgpr45
	s_and_saveexec_b64 s[26:27], vcc
	s_xor_b64 s[30:31], exec, s[26:27]
	s_cbranch_execz .LBB4_1536
; %bb.1527:                             ;   in Loop: Header=BB4_137 Depth=3
	v_mov_b32_e32 v45, 0
	v_cmp_ne_u32_e32 vcc, 0, v2
	s_and_saveexec_b64 s[34:35], vcc
	s_cbranch_execz .LBB4_1535
; %bb.1528:                             ;   in Loop: Header=BB4_137 Depth=3
	v_bfe_u32 v34, v2, 23, 8
	v_cmp_gt_u32_e64 s[26:27], s46, v34
	v_sub_u32_e32 v2, 0x71, v34
	v_cmp_eq_u32_e32 vcc, 0, v34
	v_cndmask_b32_e64 v2, 0, v2, s[26:27]
	v_mov_b32_e32 v29, 0x70
	v_cndmask_b32_e32 v35, v2, v29, vcc
	v_add_u32_e32 v2, 21, v35
	v_or_b32_e32 v28, 0x800000, v0
	v_lshlrev_b64 v[36:37], v2, -1
	v_cndmask_b32_e32 v0, v28, v0, vcc
	v_add_u32_e32 v2, 20, v35
	v_bfi_b32 v36, v36, 0, v0
	v_lshlrev_b64 v[38:39], v2, 1
	v_lshrrev_b64 v[0:1], v35, v[0:1]
	v_bfi_b32 v37, v37, 0, 0
	v_cmp_eq_u64_e64 s[26:27], v[36:37], v[38:39]
	v_mov_b32_e32 v2, v1
	v_mov_b32_e32 v1, v0
	s_and_saveexec_b64 s[36:37], s[26:27]
; %bb.1529:                             ;   in Loop: Header=BB4_137 Depth=3
	v_bfe_u32 v1, v0, 21, 1
	v_add_co_u32_e64 v1, s[26:27], v0, v1
	v_add_co_u32_e64 v1, s[26:27], -1, v1
; %bb.1530:                             ;   in Loop: Header=BB4_137 Depth=3
	s_or_b64 exec, exec, s[36:37]
	v_add_u32_e32 v2, 0xffffff81, v34
	v_mov_b32_e32 v28, 0xffffff82
	v_cndmask_b32_e32 v2, v2, v28, vcc
	v_lshrrev_b32_e32 v28, 23, v0
	v_add3_u32 v35, v35, v2, v28
	v_add_u32_e32 v34, 14, v35
	v_and_b32_e32 v1, 0x1fffff, v1
	v_add_u32_e32 v0, v1, v0
	v_mov_b32_e32 v1, v17
	v_cmp_ne_u32_e32 vcc, 0, v34
                                        ; implicit-def: $vgpr2
	s_and_saveexec_b64 s[26:27], vcc
	s_xor_b64 s[26:27], exec, s[26:27]
; %bb.1531:                             ;   in Loop: Header=BB4_137 Depth=3
	v_cmp_lt_u64_e32 vcc, s[88:89], v[0:1]
	v_add_u32_e32 v2, 15, v35
	v_cndmask_b32_e64 v28, 0, 1, vcc
	v_lshrrev_b64 v[0:1], v28, v[0:1]
	v_cndmask_b32_e32 v2, v34, v2, vcc
; %bb.1532:                             ;   in Loop: Header=BB4_137 Depth=3
	s_andn2_saveexec_b64 s[26:27], s[26:27]
; %bb.1533:                             ;   in Loop: Header=BB4_137 Depth=3
	v_bfe_u32 v2, v0, 23, 1
; %bb.1534:                             ;   in Loop: Header=BB4_137 Depth=3
	s_or_b64 exec, exec, s[26:27]
	v_lshrrev_b64 v[0:1], 21, v[0:1]
	v_cmp_gt_i32_e32 vcc, 32, v2
	v_cndmask_b32_e32 v1, 0, v1, vcc
	v_cndmask_b32_e32 v0, 3, v0, vcc
	v_cmp_eq_u64_e64 s[26:27], 0, v[0:1]
	v_min_i32_e32 v1, 31, v2
	v_lshlrev_b32_e32 v1, 2, v1
	v_cmp_eq_u32_e32 vcc, 0, v2
	v_and_b32_e32 v1, 0xfc, v1
	v_and_or_b32 v0, v0, 3, v1
	s_and_b64 s[26:27], vcc, s[26:27]
	v_cndmask_b32_e64 v0, v0, 0, s[26:27]
	v_or_b32_e32 v45, v0, v3
.LBB4_1535:                             ;   in Loop: Header=BB4_137 Depth=3
	s_or_b64 exec, exec, s[34:35]
                                        ; implicit-def: $vgpr3
.LBB4_1536:                             ;   in Loop: Header=BB4_137 Depth=3
	s_andn2_saveexec_b64 s[26:27], s[30:31]
; %bb.1537:                             ;   in Loop: Header=BB4_137 Depth=3
	v_or_b32_e32 v45, 0x7b, v3
; %bb.1538:                             ;   in Loop: Header=BB4_137 Depth=3
	s_or_b64 exec, exec, s[26:27]
                                        ; implicit-def: $vgpr2
                                        ; implicit-def: $vgpr0_vgpr1
.LBB4_1539:                             ;   in Loop: Header=BB4_137 Depth=3
	s_andn2_saveexec_b64 s[26:27], s[94:95]
	s_cbranch_execz .LBB4_1545
; %bb.1540:                             ;   in Loop: Header=BB4_137 Depth=3
	v_cmp_ne_u64_e32 vcc, 0, v[0:1]
                                        ; implicit-def: $vgpr45
	s_and_saveexec_b64 s[94:95], vcc
	s_xor_b64 s[94:95], exec, s[94:95]
; %bb.1541:                             ;   in Loop: Header=BB4_137 Depth=3
	v_or_b32_sdwa v45, v2, s47 dst_sel:DWORD dst_unused:UNUSED_PAD src0_sel:BYTE_3 src1_sel:DWORD
                                        ; implicit-def: $vgpr2
; %bb.1542:                             ;   in Loop: Header=BB4_137 Depth=3
	s_andn2_saveexec_b64 s[94:95], s[94:95]
; %bb.1543:                             ;   in Loop: Header=BB4_137 Depth=3
	v_cmp_lt_i32_e32 vcc, -1, v2
	v_bfrev_b32_e32 v0, 0.5
	v_cndmask_b32_e32 v45, v0, v52, vcc
; %bb.1544:                             ;   in Loop: Header=BB4_137 Depth=3
	s_or_b64 exec, exec, s[94:95]
.LBB4_1545:                             ;   in Loop: Header=BB4_137 Depth=3
	s_or_b64 exec, exec, s[26:27]
	v_lshrrev_b32_e32 v0, 16, v8
	v_cmp_ne_u16_sdwa s[94:95], v0, v17 src0_sel:BYTE_0 src1_sel:DWORD
	v_mov_b32_e32 v1, 0
	s_and_saveexec_b64 s[26:27], s[94:95]
	s_cbranch_execz .LBB4_1553
; %bb.1546:                             ;   in Loop: Header=BB4_137 Depth=3
	v_cmp_ne_u16_sdwa vcc, v0, s96 src0_sel:BYTE_0 src1_sel:DWORD
	v_bfrev_b32_e32 v1, 1
	s_and_saveexec_b64 s[94:95], vcc
	s_cbranch_execz .LBB4_1552
; %bb.1547:                             ;   in Loop: Header=BB4_137 Depth=3
	v_and_b32_e32 v1, 0x7c0000, v8
	v_bfe_u32 v2, v8, 16, 2
	v_cmp_ne_u32_e32 vcc, s44, v1
                                        ; implicit-def: $vgpr1
	s_and_saveexec_b64 s[30:31], vcc
	s_xor_b64 s[30:31], exec, s[30:31]
	s_cbranch_execz .LBB4_1549
; %bb.1548:                             ;   in Loop: Header=BB4_137 Depth=3
	v_ffbh_u32_e32 v1, v2
	v_min_u32_e32 v28, 32, v1
	v_subrev_u32_e32 v1, 29, v28
	v_lshlrev_b64 v[0:1], v1, v[0:1]
	v_bfe_u32 v3, v8, 18, 5
	v_and_b32_e32 v0, 3, v0
	v_cmp_eq_u32_e32 vcc, 0, v3
	v_sub_u32_e32 v1, 30, v28
	v_cndmask_b32_e32 v0, v2, v0, vcc
	v_lshlrev_b32_e32 v2, 8, v8
	v_cndmask_b32_e32 v1, v3, v1, vcc
	v_and_b32_e32 v2, 0x80000000, v2
	v_lshl_add_u32 v1, v1, 23, v2
	v_lshl_or_b32 v0, v0, 21, v1
	v_add_u32_e32 v1, 0x38000000, v0
                                        ; implicit-def: $vgpr2
                                        ; implicit-def: $vgpr0
.LBB4_1549:                             ;   in Loop: Header=BB4_137 Depth=3
	s_andn2_saveexec_b64 s[30:31], s[30:31]
; %bb.1550:                             ;   in Loop: Header=BB4_137 Depth=3
	v_mov_b32_e32 v1, -1
	v_cmp_gt_i16_sdwa vcc, sext(v0), v1 src0_sel:BYTE_0 src1_sel:DWORD
	v_mov_b32_e32 v0, 0xff800000
	v_mov_b32_e32 v1, 0x7f800000
	v_cndmask_b32_e32 v0, v0, v1, vcc
	v_cmp_eq_u32_e32 vcc, 0, v2
	v_mov_b32_e32 v1, 0x7f800001
	v_cndmask_b32_e32 v1, v1, v0, vcc
; %bb.1551:                             ;   in Loop: Header=BB4_137 Depth=3
	s_or_b64 exec, exec, s[30:31]
.LBB4_1552:                             ;   in Loop: Header=BB4_137 Depth=3
	s_or_b64 exec, exec, s[94:95]
.LBB4_1553:                             ;   in Loop: Header=BB4_137 Depth=3
	s_or_b64 exec, exec, s[26:27]
	v_mul_f32_e32 v2, v21, v1
	v_and_b32_e32 v34, 0x7f800000, v2
	v_mov_b32_e32 v35, v17
	v_cmp_ne_u64_e32 vcc, s[76:77], v[34:35]
	v_and_b32_e32 v0, 0x7fffff, v2
	v_mov_b32_e32 v1, v17
                                        ; implicit-def: $vgpr34
	s_and_saveexec_b64 s[26:27], vcc
	s_xor_b64 s[94:95], exec, s[26:27]
	s_cbranch_execz .LBB4_1567
; %bb.1554:                             ;   in Loop: Header=BB4_137 Depth=3
	v_and_b32_e32 v34, 0x7fffffff, v2
	v_mov_b32_e32 v35, v17
	v_cmp_gt_u64_e32 vcc, s[78:79], v[34:35]
	v_and_b32_sdwa v3, v2, s96 dst_sel:DWORD dst_unused:UNUSED_PAD src0_sel:BYTE_3 src1_sel:DWORD
                                        ; implicit-def: $vgpr34
	s_and_saveexec_b64 s[26:27], vcc
	s_xor_b64 s[30:31], exec, s[26:27]
	s_cbranch_execz .LBB4_1564
; %bb.1555:                             ;   in Loop: Header=BB4_137 Depth=3
	v_mov_b32_e32 v34, 0
	v_cmp_ne_u32_e32 vcc, 0, v2
	s_and_saveexec_b64 s[34:35], vcc
	s_cbranch_execz .LBB4_1563
; %bb.1556:                             ;   in Loop: Header=BB4_137 Depth=3
	v_bfe_u32 v34, v2, 23, 8
	v_cmp_gt_u32_e64 s[26:27], s46, v34
	v_sub_u32_e32 v2, 0x71, v34
	v_cmp_eq_u32_e32 vcc, 0, v34
	v_cndmask_b32_e64 v2, 0, v2, s[26:27]
	v_mov_b32_e32 v29, 0x70
	v_cndmask_b32_e32 v35, v2, v29, vcc
	v_add_u32_e32 v2, 21, v35
	v_or_b32_e32 v28, 0x800000, v0
	v_lshlrev_b64 v[36:37], v2, -1
	v_cndmask_b32_e32 v0, v28, v0, vcc
	v_add_u32_e32 v2, 20, v35
	v_bfi_b32 v36, v36, 0, v0
	v_lshlrev_b64 v[38:39], v2, 1
	v_lshrrev_b64 v[0:1], v35, v[0:1]
	v_bfi_b32 v37, v37, 0, 0
	v_cmp_eq_u64_e64 s[26:27], v[36:37], v[38:39]
	v_mov_b32_e32 v2, v1
	v_mov_b32_e32 v1, v0
	s_and_saveexec_b64 s[36:37], s[26:27]
; %bb.1557:                             ;   in Loop: Header=BB4_137 Depth=3
	v_bfe_u32 v1, v0, 21, 1
	v_add_co_u32_e64 v1, s[26:27], v0, v1
	v_add_co_u32_e64 v1, s[26:27], -1, v1
; %bb.1558:                             ;   in Loop: Header=BB4_137 Depth=3
	s_or_b64 exec, exec, s[36:37]
	v_add_u32_e32 v2, 0xffffff81, v34
	v_mov_b32_e32 v28, 0xffffff82
	v_cndmask_b32_e32 v2, v2, v28, vcc
	v_lshrrev_b32_e32 v28, 23, v0
	v_add3_u32 v35, v35, v2, v28
	v_add_u32_e32 v34, 14, v35
	v_and_b32_e32 v1, 0x1fffff, v1
	v_add_u32_e32 v0, v1, v0
	v_mov_b32_e32 v1, v17
	v_cmp_ne_u32_e32 vcc, 0, v34
                                        ; implicit-def: $vgpr2
	s_and_saveexec_b64 s[26:27], vcc
	s_xor_b64 s[26:27], exec, s[26:27]
; %bb.1559:                             ;   in Loop: Header=BB4_137 Depth=3
	v_cmp_lt_u64_e32 vcc, s[88:89], v[0:1]
	v_add_u32_e32 v2, 15, v35
	v_cndmask_b32_e64 v28, 0, 1, vcc
	v_lshrrev_b64 v[0:1], v28, v[0:1]
	v_cndmask_b32_e32 v2, v34, v2, vcc
; %bb.1560:                             ;   in Loop: Header=BB4_137 Depth=3
	s_andn2_saveexec_b64 s[26:27], s[26:27]
; %bb.1561:                             ;   in Loop: Header=BB4_137 Depth=3
	v_bfe_u32 v2, v0, 23, 1
; %bb.1562:                             ;   in Loop: Header=BB4_137 Depth=3
	s_or_b64 exec, exec, s[26:27]
	v_lshrrev_b64 v[0:1], 21, v[0:1]
	v_cmp_gt_i32_e32 vcc, 32, v2
	v_cndmask_b32_e32 v1, 0, v1, vcc
	v_cndmask_b32_e32 v0, 3, v0, vcc
	v_cmp_eq_u64_e64 s[26:27], 0, v[0:1]
	v_min_i32_e32 v1, 31, v2
	v_lshlrev_b32_e32 v1, 2, v1
	v_cmp_eq_u32_e32 vcc, 0, v2
	v_and_b32_e32 v1, 0xfc, v1
	v_and_or_b32 v0, v0, 3, v1
	s_and_b64 s[26:27], vcc, s[26:27]
	v_cndmask_b32_e64 v0, v0, 0, s[26:27]
	v_or_b32_e32 v34, v0, v3
.LBB4_1563:                             ;   in Loop: Header=BB4_137 Depth=3
	s_or_b64 exec, exec, s[34:35]
                                        ; implicit-def: $vgpr3
.LBB4_1564:                             ;   in Loop: Header=BB4_137 Depth=3
	s_andn2_saveexec_b64 s[26:27], s[30:31]
; %bb.1565:                             ;   in Loop: Header=BB4_137 Depth=3
	v_or_b32_e32 v34, 0x7b, v3
; %bb.1566:                             ;   in Loop: Header=BB4_137 Depth=3
	s_or_b64 exec, exec, s[26:27]
                                        ; implicit-def: $vgpr2
                                        ; implicit-def: $vgpr0_vgpr1
.LBB4_1567:                             ;   in Loop: Header=BB4_137 Depth=3
	s_andn2_saveexec_b64 s[26:27], s[94:95]
	s_cbranch_execz .LBB4_1573
; %bb.1568:                             ;   in Loop: Header=BB4_137 Depth=3
	v_cmp_ne_u64_e32 vcc, 0, v[0:1]
                                        ; implicit-def: $vgpr34
	s_and_saveexec_b64 s[94:95], vcc
	s_xor_b64 s[94:95], exec, s[94:95]
; %bb.1569:                             ;   in Loop: Header=BB4_137 Depth=3
	v_or_b32_sdwa v34, v2, s47 dst_sel:DWORD dst_unused:UNUSED_PAD src0_sel:BYTE_3 src1_sel:DWORD
                                        ; implicit-def: $vgpr2
; %bb.1570:                             ;   in Loop: Header=BB4_137 Depth=3
	s_andn2_saveexec_b64 s[94:95], s[94:95]
; %bb.1571:                             ;   in Loop: Header=BB4_137 Depth=3
	v_cmp_lt_i32_e32 vcc, -1, v2
	v_bfrev_b32_e32 v0, 0.5
	v_cndmask_b32_e32 v34, v0, v52, vcc
; %bb.1572:                             ;   in Loop: Header=BB4_137 Depth=3
	s_or_b64 exec, exec, s[94:95]
.LBB4_1573:                             ;   in Loop: Header=BB4_137 Depth=3
	s_or_b64 exec, exec, s[26:27]
	v_cmp_lt_u32_e32 vcc, s57, v8
	v_mov_b32_e32 v1, 0
	s_and_saveexec_b64 s[26:27], vcc
	s_cbranch_execz .LBB4_1581
; %bb.1574:                             ;   in Loop: Header=BB4_137 Depth=3
	v_lshrrev_b32_e32 v0, 24, v8
	v_cmp_ne_u32_e32 vcc, s96, v0
	v_bfrev_b32_e32 v1, 1
	s_and_saveexec_b64 s[94:95], vcc
	s_cbranch_execz .LBB4_1580
; %bb.1575:                             ;   in Loop: Header=BB4_137 Depth=3
	v_and_b32_e32 v1, 0x7c000000, v8
	v_bfe_u32 v2, v8, 24, 2
	v_cmp_ne_u32_e32 vcc, s45, v1
                                        ; implicit-def: $vgpr1
	s_and_saveexec_b64 s[30:31], vcc
	s_xor_b64 s[30:31], exec, s[30:31]
	s_cbranch_execz .LBB4_1577
; %bb.1576:                             ;   in Loop: Header=BB4_137 Depth=3
	v_ffbh_u32_e32 v1, v2
	v_min_u32_e32 v28, 32, v1
	v_subrev_u32_e32 v1, 29, v28
	v_lshlrev_b64 v[0:1], v1, v[0:1]
	v_bfe_u32 v3, v8, 26, 5
	v_sub_u32_e32 v1, 30, v28
	v_and_b32_e32 v0, 3, v0
	v_cmp_eq_u32_e32 vcc, 0, v3
	v_cndmask_b32_e32 v1, v3, v1, vcc
	v_cndmask_b32_e32 v0, v2, v0, vcc
	v_and_b32_e32 v2, 0x80000000, v8
	v_lshl_add_u32 v1, v1, 23, v2
	v_lshl_or_b32 v0, v0, 21, v1
	v_add_u32_e32 v1, 0x38000000, v0
                                        ; implicit-def: $vgpr2
.LBB4_1577:                             ;   in Loop: Header=BB4_137 Depth=3
	s_andn2_saveexec_b64 s[30:31], s[30:31]
; %bb.1578:                             ;   in Loop: Header=BB4_137 Depth=3
	v_cmp_lt_i32_e32 vcc, -1, v8
	v_mov_b32_e32 v0, 0xff800000
	v_mov_b32_e32 v1, 0x7f800000
	v_cndmask_b32_e32 v0, v0, v1, vcc
	v_cmp_eq_u32_e32 vcc, 0, v2
	v_mov_b32_e32 v1, 0x7f800001
	v_cndmask_b32_e32 v1, v1, v0, vcc
; %bb.1579:                             ;   in Loop: Header=BB4_137 Depth=3
	s_or_b64 exec, exec, s[30:31]
.LBB4_1580:                             ;   in Loop: Header=BB4_137 Depth=3
	s_or_b64 exec, exec, s[94:95]
.LBB4_1581:                             ;   in Loop: Header=BB4_137 Depth=3
	s_or_b64 exec, exec, s[26:27]
	v_mul_f32_e32 v2, v21, v1
	v_and_b32_e32 v35, 0x7f800000, v2
	v_mov_b32_e32 v36, v17
	v_cmp_ne_u64_e32 vcc, s[76:77], v[35:36]
	v_and_b32_e32 v0, 0x7fffff, v2
	v_mov_b32_e32 v1, v17
                                        ; implicit-def: $vgpr35
	s_and_saveexec_b64 s[26:27], vcc
	s_xor_b64 s[94:95], exec, s[26:27]
	s_cbranch_execz .LBB4_1595
; %bb.1582:                             ;   in Loop: Header=BB4_137 Depth=3
	v_and_b32_e32 v35, 0x7fffffff, v2
	v_mov_b32_e32 v36, v17
	v_cmp_gt_u64_e32 vcc, s[78:79], v[35:36]
	v_and_b32_sdwa v3, v2, s96 dst_sel:DWORD dst_unused:UNUSED_PAD src0_sel:BYTE_3 src1_sel:DWORD
                                        ; implicit-def: $vgpr35
	s_and_saveexec_b64 s[26:27], vcc
	s_xor_b64 s[30:31], exec, s[26:27]
	s_cbranch_execz .LBB4_1592
; %bb.1583:                             ;   in Loop: Header=BB4_137 Depth=3
	v_mov_b32_e32 v35, 0
	v_cmp_ne_u32_e32 vcc, 0, v2
	s_and_saveexec_b64 s[34:35], vcc
	s_cbranch_execz .LBB4_1591
; %bb.1584:                             ;   in Loop: Header=BB4_137 Depth=3
	v_bfe_u32 v35, v2, 23, 8
	v_cmp_gt_u32_e64 s[26:27], s46, v35
	v_sub_u32_e32 v2, 0x71, v35
	v_cmp_eq_u32_e32 vcc, 0, v35
	v_cndmask_b32_e64 v2, 0, v2, s[26:27]
	v_mov_b32_e32 v29, 0x70
	v_cndmask_b32_e32 v36, v2, v29, vcc
	v_add_u32_e32 v2, 21, v36
	v_or_b32_e32 v28, 0x800000, v0
	v_lshlrev_b64 v[37:38], v2, -1
	v_cndmask_b32_e32 v0, v28, v0, vcc
	v_add_u32_e32 v2, 20, v36
	v_bfi_b32 v37, v37, 0, v0
	v_lshlrev_b64 v[48:49], v2, 1
	v_lshrrev_b64 v[0:1], v36, v[0:1]
	v_bfi_b32 v38, v38, 0, 0
	v_cmp_eq_u64_e64 s[26:27], v[37:38], v[48:49]
	v_mov_b32_e32 v2, v1
	v_mov_b32_e32 v1, v0
	s_and_saveexec_b64 s[36:37], s[26:27]
; %bb.1585:                             ;   in Loop: Header=BB4_137 Depth=3
	v_bfe_u32 v1, v0, 21, 1
	v_add_co_u32_e64 v1, s[26:27], v0, v1
	v_add_co_u32_e64 v1, s[26:27], -1, v1
; %bb.1586:                             ;   in Loop: Header=BB4_137 Depth=3
	s_or_b64 exec, exec, s[36:37]
	v_add_u32_e32 v2, 0xffffff81, v35
	v_mov_b32_e32 v28, 0xffffff82
	v_cndmask_b32_e32 v2, v2, v28, vcc
	v_lshrrev_b32_e32 v28, 23, v0
	v_add3_u32 v36, v36, v2, v28
	v_add_u32_e32 v35, 14, v36
	v_and_b32_e32 v1, 0x1fffff, v1
	v_add_u32_e32 v0, v1, v0
	v_mov_b32_e32 v1, v17
	v_cmp_ne_u32_e32 vcc, 0, v35
                                        ; implicit-def: $vgpr2
	s_and_saveexec_b64 s[26:27], vcc
	s_xor_b64 s[26:27], exec, s[26:27]
; %bb.1587:                             ;   in Loop: Header=BB4_137 Depth=3
	v_cmp_lt_u64_e32 vcc, s[88:89], v[0:1]
	v_add_u32_e32 v2, 15, v36
	v_cndmask_b32_e64 v28, 0, 1, vcc
	v_lshrrev_b64 v[0:1], v28, v[0:1]
	v_cndmask_b32_e32 v2, v35, v2, vcc
; %bb.1588:                             ;   in Loop: Header=BB4_137 Depth=3
	s_andn2_saveexec_b64 s[26:27], s[26:27]
; %bb.1589:                             ;   in Loop: Header=BB4_137 Depth=3
	v_bfe_u32 v2, v0, 23, 1
; %bb.1590:                             ;   in Loop: Header=BB4_137 Depth=3
	s_or_b64 exec, exec, s[26:27]
	v_lshrrev_b64 v[0:1], 21, v[0:1]
	v_cmp_gt_i32_e32 vcc, 32, v2
	v_cndmask_b32_e32 v1, 0, v1, vcc
	v_cndmask_b32_e32 v0, 3, v0, vcc
	v_cmp_eq_u64_e64 s[26:27], 0, v[0:1]
	v_min_i32_e32 v1, 31, v2
	v_lshlrev_b32_e32 v1, 2, v1
	v_cmp_eq_u32_e32 vcc, 0, v2
	v_and_b32_e32 v1, 0xfc, v1
	v_and_or_b32 v0, v0, 3, v1
	s_and_b64 s[26:27], vcc, s[26:27]
	v_cndmask_b32_e64 v0, v0, 0, s[26:27]
	v_or_b32_e32 v35, v0, v3
.LBB4_1591:                             ;   in Loop: Header=BB4_137 Depth=3
	s_or_b64 exec, exec, s[34:35]
                                        ; implicit-def: $vgpr3
.LBB4_1592:                             ;   in Loop: Header=BB4_137 Depth=3
	s_andn2_saveexec_b64 s[26:27], s[30:31]
; %bb.1593:                             ;   in Loop: Header=BB4_137 Depth=3
	v_or_b32_e32 v35, 0x7b, v3
; %bb.1594:                             ;   in Loop: Header=BB4_137 Depth=3
	s_or_b64 exec, exec, s[26:27]
                                        ; implicit-def: $vgpr2
                                        ; implicit-def: $vgpr0_vgpr1
.LBB4_1595:                             ;   in Loop: Header=BB4_137 Depth=3
	s_andn2_saveexec_b64 s[26:27], s[94:95]
	s_cbranch_execz .LBB4_1601
; %bb.1596:                             ;   in Loop: Header=BB4_137 Depth=3
	v_cmp_ne_u64_e32 vcc, 0, v[0:1]
                                        ; implicit-def: $vgpr35
	s_and_saveexec_b64 s[94:95], vcc
	s_xor_b64 s[94:95], exec, s[94:95]
; %bb.1597:                             ;   in Loop: Header=BB4_137 Depth=3
	v_or_b32_sdwa v35, v2, s47 dst_sel:DWORD dst_unused:UNUSED_PAD src0_sel:BYTE_3 src1_sel:DWORD
                                        ; implicit-def: $vgpr2
; %bb.1598:                             ;   in Loop: Header=BB4_137 Depth=3
	s_andn2_saveexec_b64 s[94:95], s[94:95]
; %bb.1599:                             ;   in Loop: Header=BB4_137 Depth=3
	v_cmp_lt_i32_e32 vcc, -1, v2
	v_bfrev_b32_e32 v0, 0.5
	v_cndmask_b32_e32 v35, v0, v52, vcc
; %bb.1600:                             ;   in Loop: Header=BB4_137 Depth=3
	s_or_b64 exec, exec, s[94:95]
.LBB4_1601:                             ;   in Loop: Header=BB4_137 Depth=3
	s_or_b64 exec, exec, s[26:27]
	v_mov_b32_e32 v0, v9
	v_mov_b32_e32 v1, v17
	v_cmp_ne_u16_sdwa s[94:95], v9, v17 src0_sel:BYTE_0 src1_sel:DWORD
	v_mov_b32_e32 v2, 0
	s_and_saveexec_b64 s[26:27], s[94:95]
	s_cbranch_execz .LBB4_1609
; %bb.1602:                             ;   in Loop: Header=BB4_137 Depth=3
	v_cmp_ne_u16_sdwa vcc, v9, s96 src0_sel:BYTE_0 src1_sel:DWORD
	v_bfrev_b32_e32 v2, 1
	s_and_saveexec_b64 s[94:95], vcc
	s_cbranch_execz .LBB4_1608
; %bb.1603:                             ;   in Loop: Header=BB4_137 Depth=3
	v_and_b32_e32 v2, 0x7c, v9
	v_and_b32_e32 v3, 3, v9
	v_cmp_ne_u32_e32 vcc, s85, v2
                                        ; implicit-def: $vgpr2
	s_and_saveexec_b64 s[30:31], vcc
	s_xor_b64 s[30:31], exec, s[30:31]
	s_cbranch_execz .LBB4_1605
; %bb.1604:                             ;   in Loop: Header=BB4_137 Depth=3
	v_ffbh_u32_e32 v2, v3
	v_min_u32_e32 v29, 32, v2
	v_subrev_u32_e32 v2, 29, v29
	v_lshlrev_b64 v[1:2], v2, v[0:1]
	v_bfe_u32 v28, v9, 2, 5
	v_and_b32_e32 v1, 3, v1
	v_cmp_eq_u32_e32 vcc, 0, v28
	v_sub_u32_e32 v2, 30, v29
	v_cndmask_b32_e32 v1, v3, v1, vcc
	v_lshlrev_b32_e32 v3, 24, v9
	v_cndmask_b32_e32 v2, v28, v2, vcc
	v_and_b32_e32 v3, 0x80000000, v3
	v_lshl_add_u32 v2, v2, 23, v3
	v_lshl_or_b32 v1, v1, 21, v2
	v_add_u32_e32 v2, 0x38000000, v1
                                        ; implicit-def: $vgpr3
.LBB4_1605:                             ;   in Loop: Header=BB4_137 Depth=3
	s_andn2_saveexec_b64 s[30:31], s[30:31]
; %bb.1606:                             ;   in Loop: Header=BB4_137 Depth=3
	v_mov_b32_e32 v1, -1
	v_cmp_gt_i16_sdwa vcc, sext(v9), v1 src0_sel:BYTE_0 src1_sel:DWORD
	v_mov_b32_e32 v1, 0xff800000
	v_mov_b32_e32 v2, 0x7f800000
	v_cndmask_b32_e32 v1, v1, v2, vcc
	v_cmp_eq_u32_e32 vcc, 0, v3
	v_mov_b32_e32 v2, 0x7f800001
	v_cndmask_b32_e32 v2, v2, v1, vcc
; %bb.1607:                             ;   in Loop: Header=BB4_137 Depth=3
	s_or_b64 exec, exec, s[30:31]
.LBB4_1608:                             ;   in Loop: Header=BB4_137 Depth=3
	s_or_b64 exec, exec, s[94:95]
.LBB4_1609:                             ;   in Loop: Header=BB4_137 Depth=3
	s_or_b64 exec, exec, s[26:27]
	v_mul_f32_e32 v3, v21, v2
	v_and_b32_e32 v36, 0x7f800000, v3
	v_mov_b32_e32 v37, v17
	v_cmp_ne_u64_e32 vcc, s[76:77], v[36:37]
	v_and_b32_e32 v1, 0x7fffff, v3
	v_mov_b32_e32 v2, v17
                                        ; implicit-def: $vgpr36
	s_and_saveexec_b64 s[26:27], vcc
	s_xor_b64 s[94:95], exec, s[26:27]
	s_cbranch_execz .LBB4_1623
; %bb.1610:                             ;   in Loop: Header=BB4_137 Depth=3
	v_and_b32_e32 v36, 0x7fffffff, v3
	v_mov_b32_e32 v37, v17
	v_cmp_gt_u64_e32 vcc, s[78:79], v[36:37]
	v_and_b32_sdwa v37, v3, s96 dst_sel:DWORD dst_unused:UNUSED_PAD src0_sel:BYTE_3 src1_sel:DWORD
                                        ; implicit-def: $vgpr36
	s_and_saveexec_b64 s[26:27], vcc
	s_xor_b64 s[30:31], exec, s[26:27]
	s_cbranch_execz .LBB4_1620
; %bb.1611:                             ;   in Loop: Header=BB4_137 Depth=3
	v_mov_b32_e32 v36, 0
	v_cmp_ne_u32_e32 vcc, 0, v3
	s_and_saveexec_b64 s[34:35], vcc
	s_cbranch_execz .LBB4_1619
; %bb.1612:                             ;   in Loop: Header=BB4_137 Depth=3
	v_bfe_u32 v36, v3, 23, 8
	v_cmp_gt_u32_e64 s[26:27], s46, v36
	v_sub_u32_e32 v3, 0x71, v36
	v_cmp_eq_u32_e32 vcc, 0, v36
	v_cndmask_b32_e64 v3, 0, v3, s[26:27]
	v_mov_b32_e32 v29, 0x70
	v_cndmask_b32_e32 v38, v3, v29, vcc
	v_add_u32_e32 v3, 21, v38
	v_or_b32_e32 v28, 0x800000, v1
	v_lshlrev_b64 v[48:49], v3, -1
	v_cndmask_b32_e32 v1, v28, v1, vcc
	v_add_u32_e32 v3, 20, v38
	v_bfi_b32 v48, v48, 0, v1
	v_lshlrev_b64 v[50:51], v3, 1
	v_lshrrev_b64 v[1:2], v38, v[1:2]
	v_bfi_b32 v49, v49, 0, 0
	v_cmp_eq_u64_e64 s[26:27], v[48:49], v[50:51]
	v_mov_b32_e32 v3, v2
	v_mov_b32_e32 v2, v1
	s_and_saveexec_b64 s[36:37], s[26:27]
; %bb.1613:                             ;   in Loop: Header=BB4_137 Depth=3
	v_bfe_u32 v2, v1, 21, 1
	v_add_co_u32_e64 v2, s[26:27], v1, v2
	v_add_co_u32_e64 v2, s[26:27], -1, v2
; %bb.1614:                             ;   in Loop: Header=BB4_137 Depth=3
	s_or_b64 exec, exec, s[36:37]
	v_add_u32_e32 v3, 0xffffff81, v36
	v_mov_b32_e32 v28, 0xffffff82
	v_cndmask_b32_e32 v3, v3, v28, vcc
	v_lshrrev_b32_e32 v28, 23, v1
	v_add3_u32 v38, v38, v3, v28
	v_add_u32_e32 v36, 14, v38
	v_and_b32_e32 v2, 0x1fffff, v2
	v_add_u32_e32 v1, v2, v1
	v_mov_b32_e32 v2, v17
	v_cmp_ne_u32_e32 vcc, 0, v36
                                        ; implicit-def: $vgpr3
	s_and_saveexec_b64 s[26:27], vcc
	s_xor_b64 s[26:27], exec, s[26:27]
; %bb.1615:                             ;   in Loop: Header=BB4_137 Depth=3
	v_cmp_lt_u64_e32 vcc, s[88:89], v[1:2]
	v_add_u32_e32 v3, 15, v38
	v_cndmask_b32_e64 v28, 0, 1, vcc
	v_lshrrev_b64 v[1:2], v28, v[1:2]
	v_cndmask_b32_e32 v3, v36, v3, vcc
; %bb.1616:                             ;   in Loop: Header=BB4_137 Depth=3
	s_andn2_saveexec_b64 s[26:27], s[26:27]
; %bb.1617:                             ;   in Loop: Header=BB4_137 Depth=3
	v_bfe_u32 v3, v1, 23, 1
; %bb.1618:                             ;   in Loop: Header=BB4_137 Depth=3
	s_or_b64 exec, exec, s[26:27]
	v_lshrrev_b64 v[1:2], 21, v[1:2]
	v_cmp_gt_i32_e32 vcc, 32, v3
	v_cndmask_b32_e32 v2, 0, v2, vcc
	v_cndmask_b32_e32 v1, 3, v1, vcc
	v_cmp_eq_u64_e64 s[26:27], 0, v[1:2]
	v_min_i32_e32 v2, 31, v3
	v_lshlrev_b32_e32 v2, 2, v2
	v_cmp_eq_u32_e32 vcc, 0, v3
	v_and_b32_e32 v2, 0xfc, v2
	v_and_or_b32 v1, v1, 3, v2
	s_and_b64 s[26:27], vcc, s[26:27]
	v_cndmask_b32_e64 v1, v1, 0, s[26:27]
	v_or_b32_e32 v36, v1, v37
.LBB4_1619:                             ;   in Loop: Header=BB4_137 Depth=3
	s_or_b64 exec, exec, s[34:35]
                                        ; implicit-def: $vgpr37
.LBB4_1620:                             ;   in Loop: Header=BB4_137 Depth=3
	s_andn2_saveexec_b64 s[26:27], s[30:31]
; %bb.1621:                             ;   in Loop: Header=BB4_137 Depth=3
	v_or_b32_e32 v36, 0x7b, v37
; %bb.1622:                             ;   in Loop: Header=BB4_137 Depth=3
	s_or_b64 exec, exec, s[26:27]
                                        ; implicit-def: $vgpr3
                                        ; implicit-def: $vgpr1_vgpr2
.LBB4_1623:                             ;   in Loop: Header=BB4_137 Depth=3
	s_andn2_saveexec_b64 s[26:27], s[94:95]
	s_cbranch_execz .LBB4_1629
; %bb.1624:                             ;   in Loop: Header=BB4_137 Depth=3
	v_cmp_ne_u64_e32 vcc, 0, v[1:2]
                                        ; implicit-def: $vgpr36
	s_and_saveexec_b64 s[94:95], vcc
	s_xor_b64 s[94:95], exec, s[94:95]
; %bb.1625:                             ;   in Loop: Header=BB4_137 Depth=3
	v_or_b32_sdwa v36, v3, s47 dst_sel:DWORD dst_unused:UNUSED_PAD src0_sel:BYTE_3 src1_sel:DWORD
                                        ; implicit-def: $vgpr3
; %bb.1626:                             ;   in Loop: Header=BB4_137 Depth=3
	s_andn2_saveexec_b64 s[94:95], s[94:95]
; %bb.1627:                             ;   in Loop: Header=BB4_137 Depth=3
	v_cmp_lt_i32_e32 vcc, -1, v3
	v_bfrev_b32_e32 v1, 0.5
	v_cndmask_b32_e32 v36, v1, v52, vcc
; %bb.1628:                             ;   in Loop: Header=BB4_137 Depth=3
	s_or_b64 exec, exec, s[94:95]
.LBB4_1629:                             ;   in Loop: Header=BB4_137 Depth=3
	s_or_b64 exec, exec, s[26:27]
	v_lshrrev_b16_e32 v1, 8, v0
	v_cmp_ne_u16_e32 vcc, 0, v1
	v_mov_b32_e32 v2, 0
	s_and_saveexec_b64 s[26:27], vcc
	s_cbranch_execz .LBB4_1637
; %bb.1630:                             ;   in Loop: Header=BB4_137 Depth=3
	v_cmp_ne_u16_e32 vcc, s96, v1
	v_bfrev_b32_e32 v2, 1
	s_and_saveexec_b64 s[94:95], vcc
	s_cbranch_execz .LBB4_1636
; %bb.1631:                             ;   in Loop: Header=BB4_137 Depth=3
	v_and_b32_e32 v2, 0x7c, v1
	v_and_b32_e32 v3, 3, v1
	v_cmp_ne_u32_e32 vcc, s85, v2
                                        ; implicit-def: $vgpr2
	s_and_saveexec_b64 s[30:31], vcc
	s_xor_b64 s[30:31], exec, s[30:31]
	s_cbranch_execz .LBB4_1633
; %bb.1632:                             ;   in Loop: Header=BB4_137 Depth=3
	v_ffbh_u32_e32 v29, v3
	v_min_u32_e32 v29, 32, v29
	v_mov_b32_e32 v2, v17
	v_subrev_u32_e32 v37, 29, v29
	v_bfe_u32 v28, v1, 2, 5
	v_lshlrev_b64 v[1:2], v37, v[1:2]
	v_sub_u32_e32 v2, 30, v29
	v_cmp_eq_u32_e32 vcc, 0, v28
	v_lshlrev_b32_e32 v0, 16, v0
	v_and_b32_e32 v1, 3, v1
	v_cndmask_b32_e32 v2, v28, v2, vcc
	v_and_b32_e32 v0, 0x80000000, v0
	v_cndmask_b32_e32 v1, v3, v1, vcc
	v_lshl_add_u32 v0, v2, 23, v0
	v_lshl_or_b32 v0, v1, 21, v0
	v_add_u32_e32 v2, 0x38000000, v0
                                        ; implicit-def: $vgpr3
                                        ; implicit-def: $vgpr0_vgpr1
.LBB4_1633:                             ;   in Loop: Header=BB4_137 Depth=3
	s_andn2_saveexec_b64 s[30:31], s[30:31]
; %bb.1634:                             ;   in Loop: Header=BB4_137 Depth=3
	v_cmp_lt_i16_e32 vcc, -1, v0
	v_mov_b32_e32 v0, 0xff800000
	v_mov_b32_e32 v1, 0x7f800000
	v_cndmask_b32_e32 v0, v0, v1, vcc
	v_cmp_eq_u32_e32 vcc, 0, v3
	v_mov_b32_e32 v1, 0x7f800001
	v_cndmask_b32_e32 v2, v1, v0, vcc
; %bb.1635:                             ;   in Loop: Header=BB4_137 Depth=3
	s_or_b64 exec, exec, s[30:31]
.LBB4_1636:                             ;   in Loop: Header=BB4_137 Depth=3
	s_or_b64 exec, exec, s[94:95]
.LBB4_1637:                             ;   in Loop: Header=BB4_137 Depth=3
	s_or_b64 exec, exec, s[26:27]
	v_mul_f32_e32 v2, v21, v2
	v_and_b32_e32 v37, 0x7f800000, v2
	v_mov_b32_e32 v38, v17
	v_cmp_ne_u64_e32 vcc, s[76:77], v[37:38]
	v_and_b32_e32 v0, 0x7fffff, v2
	v_mov_b32_e32 v1, v17
                                        ; implicit-def: $vgpr37
	s_and_saveexec_b64 s[26:27], vcc
	s_xor_b64 s[94:95], exec, s[26:27]
	s_cbranch_execz .LBB4_1651
; %bb.1638:                             ;   in Loop: Header=BB4_137 Depth=3
	v_and_b32_e32 v37, 0x7fffffff, v2
	v_mov_b32_e32 v38, v17
	v_cmp_gt_u64_e32 vcc, s[78:79], v[37:38]
	v_and_b32_sdwa v3, v2, s96 dst_sel:DWORD dst_unused:UNUSED_PAD src0_sel:BYTE_3 src1_sel:DWORD
                                        ; implicit-def: $vgpr37
	s_and_saveexec_b64 s[26:27], vcc
	s_xor_b64 s[30:31], exec, s[26:27]
	s_cbranch_execz .LBB4_1648
; %bb.1639:                             ;   in Loop: Header=BB4_137 Depth=3
	v_mov_b32_e32 v37, 0
	v_cmp_ne_u32_e32 vcc, 0, v2
	s_and_saveexec_b64 s[34:35], vcc
	s_cbranch_execz .LBB4_1647
; %bb.1640:                             ;   in Loop: Header=BB4_137 Depth=3
	v_bfe_u32 v37, v2, 23, 8
	v_cmp_gt_u32_e64 s[26:27], s46, v37
	v_sub_u32_e32 v2, 0x71, v37
	v_cmp_eq_u32_e32 vcc, 0, v37
	v_cndmask_b32_e64 v2, 0, v2, s[26:27]
	v_mov_b32_e32 v29, 0x70
	v_cndmask_b32_e32 v38, v2, v29, vcc
	v_add_u32_e32 v2, 21, v38
	v_or_b32_e32 v28, 0x800000, v0
	v_lshlrev_b64 v[48:49], v2, -1
	v_cndmask_b32_e32 v0, v28, v0, vcc
	v_add_u32_e32 v2, 20, v38
	v_bfi_b32 v48, v48, 0, v0
	v_lshlrev_b64 v[50:51], v2, 1
	v_lshrrev_b64 v[0:1], v38, v[0:1]
	v_bfi_b32 v49, v49, 0, 0
	v_cmp_eq_u64_e64 s[26:27], v[48:49], v[50:51]
	v_mov_b32_e32 v2, v1
	v_mov_b32_e32 v1, v0
	s_and_saveexec_b64 s[36:37], s[26:27]
; %bb.1641:                             ;   in Loop: Header=BB4_137 Depth=3
	v_bfe_u32 v1, v0, 21, 1
	v_add_co_u32_e64 v1, s[26:27], v0, v1
	v_add_co_u32_e64 v1, s[26:27], -1, v1
; %bb.1642:                             ;   in Loop: Header=BB4_137 Depth=3
	s_or_b64 exec, exec, s[36:37]
	v_add_u32_e32 v2, 0xffffff81, v37
	v_mov_b32_e32 v28, 0xffffff82
	v_cndmask_b32_e32 v2, v2, v28, vcc
	v_lshrrev_b32_e32 v28, 23, v0
	v_add3_u32 v38, v38, v2, v28
	v_add_u32_e32 v37, 14, v38
	v_and_b32_e32 v1, 0x1fffff, v1
	v_add_u32_e32 v0, v1, v0
	v_mov_b32_e32 v1, v17
	v_cmp_ne_u32_e32 vcc, 0, v37
                                        ; implicit-def: $vgpr2
	s_and_saveexec_b64 s[26:27], vcc
	s_xor_b64 s[26:27], exec, s[26:27]
; %bb.1643:                             ;   in Loop: Header=BB4_137 Depth=3
	v_cmp_lt_u64_e32 vcc, s[88:89], v[0:1]
	v_add_u32_e32 v2, 15, v38
	v_cndmask_b32_e64 v28, 0, 1, vcc
	v_lshrrev_b64 v[0:1], v28, v[0:1]
	v_cndmask_b32_e32 v2, v37, v2, vcc
; %bb.1644:                             ;   in Loop: Header=BB4_137 Depth=3
	s_andn2_saveexec_b64 s[26:27], s[26:27]
; %bb.1645:                             ;   in Loop: Header=BB4_137 Depth=3
	v_bfe_u32 v2, v0, 23, 1
; %bb.1646:                             ;   in Loop: Header=BB4_137 Depth=3
	s_or_b64 exec, exec, s[26:27]
	v_lshrrev_b64 v[0:1], 21, v[0:1]
	v_cmp_gt_i32_e32 vcc, 32, v2
	v_cndmask_b32_e32 v1, 0, v1, vcc
	v_cndmask_b32_e32 v0, 3, v0, vcc
	v_cmp_eq_u64_e64 s[26:27], 0, v[0:1]
	v_min_i32_e32 v1, 31, v2
	v_lshlrev_b32_e32 v1, 2, v1
	v_cmp_eq_u32_e32 vcc, 0, v2
	v_and_b32_e32 v1, 0xfc, v1
	v_and_or_b32 v0, v0, 3, v1
	s_and_b64 s[26:27], vcc, s[26:27]
	v_cndmask_b32_e64 v0, v0, 0, s[26:27]
	v_or_b32_e32 v37, v0, v3
.LBB4_1647:                             ;   in Loop: Header=BB4_137 Depth=3
	s_or_b64 exec, exec, s[34:35]
                                        ; implicit-def: $vgpr3
.LBB4_1648:                             ;   in Loop: Header=BB4_137 Depth=3
	s_andn2_saveexec_b64 s[26:27], s[30:31]
; %bb.1649:                             ;   in Loop: Header=BB4_137 Depth=3
	v_or_b32_e32 v37, 0x7b, v3
; %bb.1650:                             ;   in Loop: Header=BB4_137 Depth=3
	s_or_b64 exec, exec, s[26:27]
                                        ; implicit-def: $vgpr2
                                        ; implicit-def: $vgpr0_vgpr1
.LBB4_1651:                             ;   in Loop: Header=BB4_137 Depth=3
	s_andn2_saveexec_b64 s[26:27], s[94:95]
	s_cbranch_execz .LBB4_1657
; %bb.1652:                             ;   in Loop: Header=BB4_137 Depth=3
	v_cmp_ne_u64_e32 vcc, 0, v[0:1]
                                        ; implicit-def: $vgpr37
	s_and_saveexec_b64 s[94:95], vcc
	s_xor_b64 s[94:95], exec, s[94:95]
; %bb.1653:                             ;   in Loop: Header=BB4_137 Depth=3
	v_or_b32_sdwa v37, v2, s47 dst_sel:DWORD dst_unused:UNUSED_PAD src0_sel:BYTE_3 src1_sel:DWORD
                                        ; implicit-def: $vgpr2
; %bb.1654:                             ;   in Loop: Header=BB4_137 Depth=3
	s_andn2_saveexec_b64 s[94:95], s[94:95]
; %bb.1655:                             ;   in Loop: Header=BB4_137 Depth=3
	v_cmp_lt_i32_e32 vcc, -1, v2
	v_bfrev_b32_e32 v0, 0.5
	v_cndmask_b32_e32 v37, v0, v52, vcc
; %bb.1656:                             ;   in Loop: Header=BB4_137 Depth=3
	s_or_b64 exec, exec, s[94:95]
.LBB4_1657:                             ;   in Loop: Header=BB4_137 Depth=3
	s_or_b64 exec, exec, s[26:27]
	v_lshrrev_b32_e32 v0, 16, v9
	v_cmp_ne_u16_sdwa s[94:95], v0, v17 src0_sel:BYTE_0 src1_sel:DWORD
	v_mov_b32_e32 v1, 0
	s_and_saveexec_b64 s[26:27], s[94:95]
	s_cbranch_execz .LBB4_1665
; %bb.1658:                             ;   in Loop: Header=BB4_137 Depth=3
	v_cmp_ne_u16_sdwa vcc, v0, s96 src0_sel:BYTE_0 src1_sel:DWORD
	v_bfrev_b32_e32 v1, 1
	s_and_saveexec_b64 s[94:95], vcc
	s_cbranch_execz .LBB4_1664
; %bb.1659:                             ;   in Loop: Header=BB4_137 Depth=3
	v_and_b32_e32 v1, 0x7c0000, v9
	v_bfe_u32 v2, v9, 16, 2
	v_cmp_ne_u32_e32 vcc, s44, v1
                                        ; implicit-def: $vgpr1
	s_and_saveexec_b64 s[30:31], vcc
	s_xor_b64 s[30:31], exec, s[30:31]
	s_cbranch_execz .LBB4_1661
; %bb.1660:                             ;   in Loop: Header=BB4_137 Depth=3
	v_ffbh_u32_e32 v1, v2
	v_min_u32_e32 v28, 32, v1
	v_subrev_u32_e32 v1, 29, v28
	v_lshlrev_b64 v[0:1], v1, v[0:1]
	v_bfe_u32 v3, v9, 18, 5
	v_and_b32_e32 v0, 3, v0
	v_cmp_eq_u32_e32 vcc, 0, v3
	v_sub_u32_e32 v1, 30, v28
	v_cndmask_b32_e32 v0, v2, v0, vcc
	v_lshlrev_b32_e32 v2, 8, v9
	v_cndmask_b32_e32 v1, v3, v1, vcc
	v_and_b32_e32 v2, 0x80000000, v2
	v_lshl_add_u32 v1, v1, 23, v2
	v_lshl_or_b32 v0, v0, 21, v1
	v_add_u32_e32 v1, 0x38000000, v0
                                        ; implicit-def: $vgpr2
                                        ; implicit-def: $vgpr0
.LBB4_1661:                             ;   in Loop: Header=BB4_137 Depth=3
	s_andn2_saveexec_b64 s[30:31], s[30:31]
; %bb.1662:                             ;   in Loop: Header=BB4_137 Depth=3
	v_mov_b32_e32 v1, -1
	v_cmp_gt_i16_sdwa vcc, sext(v0), v1 src0_sel:BYTE_0 src1_sel:DWORD
	v_mov_b32_e32 v0, 0xff800000
	v_mov_b32_e32 v1, 0x7f800000
	v_cndmask_b32_e32 v0, v0, v1, vcc
	v_cmp_eq_u32_e32 vcc, 0, v2
	v_mov_b32_e32 v1, 0x7f800001
	v_cndmask_b32_e32 v1, v1, v0, vcc
; %bb.1663:                             ;   in Loop: Header=BB4_137 Depth=3
	s_or_b64 exec, exec, s[30:31]
.LBB4_1664:                             ;   in Loop: Header=BB4_137 Depth=3
	s_or_b64 exec, exec, s[94:95]
.LBB4_1665:                             ;   in Loop: Header=BB4_137 Depth=3
	s_or_b64 exec, exec, s[26:27]
	v_mul_f32_e32 v2, v21, v1
	v_and_b32_e32 v38, 0x7f800000, v2
	v_mov_b32_e32 v39, v17
	v_cmp_ne_u64_e32 vcc, s[76:77], v[38:39]
	v_and_b32_e32 v0, 0x7fffff, v2
	v_mov_b32_e32 v1, v17
                                        ; implicit-def: $vgpr38
	s_and_saveexec_b64 s[26:27], vcc
	s_xor_b64 s[94:95], exec, s[26:27]
	s_cbranch_execz .LBB4_1679
; %bb.1666:                             ;   in Loop: Header=BB4_137 Depth=3
	v_and_b32_e32 v38, 0x7fffffff, v2
	v_mov_b32_e32 v39, v17
	v_cmp_gt_u64_e32 vcc, s[78:79], v[38:39]
	v_and_b32_sdwa v3, v2, s96 dst_sel:DWORD dst_unused:UNUSED_PAD src0_sel:BYTE_3 src1_sel:DWORD
                                        ; implicit-def: $vgpr38
	s_and_saveexec_b64 s[26:27], vcc
	s_xor_b64 s[30:31], exec, s[26:27]
	s_cbranch_execz .LBB4_1676
; %bb.1667:                             ;   in Loop: Header=BB4_137 Depth=3
	v_mov_b32_e32 v38, 0
	v_cmp_ne_u32_e32 vcc, 0, v2
	s_and_saveexec_b64 s[34:35], vcc
	s_cbranch_execz .LBB4_1675
; %bb.1668:                             ;   in Loop: Header=BB4_137 Depth=3
	v_bfe_u32 v38, v2, 23, 8
	v_cmp_gt_u32_e64 s[26:27], s46, v38
	v_sub_u32_e32 v2, 0x71, v38
	v_cmp_eq_u32_e32 vcc, 0, v38
	v_cndmask_b32_e64 v2, 0, v2, s[26:27]
	v_mov_b32_e32 v29, 0x70
	v_cndmask_b32_e32 v39, v2, v29, vcc
	v_add_u32_e32 v2, 21, v39
	v_or_b32_e32 v28, 0x800000, v0
	v_lshlrev_b64 v[48:49], v2, -1
	v_cndmask_b32_e32 v0, v28, v0, vcc
	v_add_u32_e32 v2, 20, v39
	v_bfi_b32 v48, v48, 0, v0
	v_lshlrev_b64 v[50:51], v2, 1
	v_lshrrev_b64 v[0:1], v39, v[0:1]
	v_bfi_b32 v49, v49, 0, 0
	v_cmp_eq_u64_e64 s[26:27], v[48:49], v[50:51]
	v_mov_b32_e32 v2, v1
	v_mov_b32_e32 v1, v0
	s_and_saveexec_b64 s[36:37], s[26:27]
; %bb.1669:                             ;   in Loop: Header=BB4_137 Depth=3
	v_bfe_u32 v1, v0, 21, 1
	v_add_co_u32_e64 v1, s[26:27], v0, v1
	v_add_co_u32_e64 v1, s[26:27], -1, v1
; %bb.1670:                             ;   in Loop: Header=BB4_137 Depth=3
	s_or_b64 exec, exec, s[36:37]
	v_add_u32_e32 v2, 0xffffff81, v38
	v_mov_b32_e32 v28, 0xffffff82
	v_cndmask_b32_e32 v2, v2, v28, vcc
	v_lshrrev_b32_e32 v28, 23, v0
	v_add3_u32 v39, v39, v2, v28
	v_add_u32_e32 v38, 14, v39
	v_and_b32_e32 v1, 0x1fffff, v1
	v_add_u32_e32 v0, v1, v0
	v_mov_b32_e32 v1, v17
	v_cmp_ne_u32_e32 vcc, 0, v38
                                        ; implicit-def: $vgpr2
	s_and_saveexec_b64 s[26:27], vcc
	s_xor_b64 s[26:27], exec, s[26:27]
; %bb.1671:                             ;   in Loop: Header=BB4_137 Depth=3
	v_cmp_lt_u64_e32 vcc, s[88:89], v[0:1]
	v_add_u32_e32 v2, 15, v39
	v_cndmask_b32_e64 v28, 0, 1, vcc
	v_lshrrev_b64 v[0:1], v28, v[0:1]
	v_cndmask_b32_e32 v2, v38, v2, vcc
; %bb.1672:                             ;   in Loop: Header=BB4_137 Depth=3
	s_andn2_saveexec_b64 s[26:27], s[26:27]
; %bb.1673:                             ;   in Loop: Header=BB4_137 Depth=3
	v_bfe_u32 v2, v0, 23, 1
; %bb.1674:                             ;   in Loop: Header=BB4_137 Depth=3
	s_or_b64 exec, exec, s[26:27]
	v_lshrrev_b64 v[0:1], 21, v[0:1]
	v_cmp_gt_i32_e32 vcc, 32, v2
	v_cndmask_b32_e32 v1, 0, v1, vcc
	v_cndmask_b32_e32 v0, 3, v0, vcc
	v_cmp_eq_u64_e64 s[26:27], 0, v[0:1]
	v_min_i32_e32 v1, 31, v2
	v_lshlrev_b32_e32 v1, 2, v1
	v_cmp_eq_u32_e32 vcc, 0, v2
	v_and_b32_e32 v1, 0xfc, v1
	v_and_or_b32 v0, v0, 3, v1
	s_and_b64 s[26:27], vcc, s[26:27]
	v_cndmask_b32_e64 v0, v0, 0, s[26:27]
	v_or_b32_e32 v38, v0, v3
.LBB4_1675:                             ;   in Loop: Header=BB4_137 Depth=3
	s_or_b64 exec, exec, s[34:35]
                                        ; implicit-def: $vgpr3
.LBB4_1676:                             ;   in Loop: Header=BB4_137 Depth=3
	s_andn2_saveexec_b64 s[26:27], s[30:31]
; %bb.1677:                             ;   in Loop: Header=BB4_137 Depth=3
	v_or_b32_e32 v38, 0x7b, v3
; %bb.1678:                             ;   in Loop: Header=BB4_137 Depth=3
	s_or_b64 exec, exec, s[26:27]
                                        ; implicit-def: $vgpr2
                                        ; implicit-def: $vgpr0_vgpr1
.LBB4_1679:                             ;   in Loop: Header=BB4_137 Depth=3
	s_andn2_saveexec_b64 s[26:27], s[94:95]
	s_cbranch_execz .LBB4_1685
; %bb.1680:                             ;   in Loop: Header=BB4_137 Depth=3
	v_cmp_ne_u64_e32 vcc, 0, v[0:1]
                                        ; implicit-def: $vgpr38
	s_and_saveexec_b64 s[94:95], vcc
	s_xor_b64 s[94:95], exec, s[94:95]
; %bb.1681:                             ;   in Loop: Header=BB4_137 Depth=3
	v_or_b32_sdwa v38, v2, s47 dst_sel:DWORD dst_unused:UNUSED_PAD src0_sel:BYTE_3 src1_sel:DWORD
                                        ; implicit-def: $vgpr2
; %bb.1682:                             ;   in Loop: Header=BB4_137 Depth=3
	s_andn2_saveexec_b64 s[94:95], s[94:95]
; %bb.1683:                             ;   in Loop: Header=BB4_137 Depth=3
	v_cmp_lt_i32_e32 vcc, -1, v2
	v_bfrev_b32_e32 v0, 0.5
	v_cndmask_b32_e32 v38, v0, v52, vcc
; %bb.1684:                             ;   in Loop: Header=BB4_137 Depth=3
	s_or_b64 exec, exec, s[94:95]
.LBB4_1685:                             ;   in Loop: Header=BB4_137 Depth=3
	s_or_b64 exec, exec, s[26:27]
	v_cmp_lt_u64_e32 vcc, s[56:57], v[8:9]
	v_mov_b32_e32 v1, 0
	s_and_saveexec_b64 s[26:27], vcc
	s_cbranch_execz .LBB4_1693
; %bb.1686:                             ;   in Loop: Header=BB4_137 Depth=3
	v_lshrrev_b32_e32 v0, 24, v9
	v_cmp_ne_u32_e32 vcc, s96, v0
	v_bfrev_b32_e32 v1, 1
	s_and_saveexec_b64 s[94:95], vcc
	s_cbranch_execz .LBB4_1692
; %bb.1687:                             ;   in Loop: Header=BB4_137 Depth=3
	v_and_b32_e32 v1, 0x7c000000, v9
	v_bfe_u32 v2, v9, 24, 2
	v_cmp_ne_u32_e32 vcc, s45, v1
                                        ; implicit-def: $vgpr1
	s_and_saveexec_b64 s[30:31], vcc
	s_xor_b64 s[30:31], exec, s[30:31]
	s_cbranch_execz .LBB4_1689
; %bb.1688:                             ;   in Loop: Header=BB4_137 Depth=3
	v_ffbh_u32_e32 v1, v2
	v_min_u32_e32 v28, 32, v1
	v_subrev_u32_e32 v1, 29, v28
	v_lshlrev_b64 v[0:1], v1, v[0:1]
	v_bfe_u32 v3, v9, 26, 5
	v_sub_u32_e32 v1, 30, v28
	v_and_b32_e32 v0, 3, v0
	v_cmp_eq_u32_e32 vcc, 0, v3
	v_cndmask_b32_e32 v1, v3, v1, vcc
	v_cndmask_b32_e32 v0, v2, v0, vcc
	v_and_b32_e32 v2, 0x80000000, v9
	v_lshl_add_u32 v1, v1, 23, v2
	v_lshl_or_b32 v0, v0, 21, v1
	v_add_u32_e32 v1, 0x38000000, v0
                                        ; implicit-def: $vgpr2
.LBB4_1689:                             ;   in Loop: Header=BB4_137 Depth=3
	s_andn2_saveexec_b64 s[30:31], s[30:31]
; %bb.1690:                             ;   in Loop: Header=BB4_137 Depth=3
	v_cmp_lt_i64_e32 vcc, -1, v[8:9]
	v_mov_b32_e32 v0, 0xff800000
	v_mov_b32_e32 v1, 0x7f800000
	v_cndmask_b32_e32 v0, v0, v1, vcc
	v_cmp_eq_u32_e32 vcc, 0, v2
	v_mov_b32_e32 v1, 0x7f800001
	v_cndmask_b32_e32 v1, v1, v0, vcc
; %bb.1691:                             ;   in Loop: Header=BB4_137 Depth=3
	s_or_b64 exec, exec, s[30:31]
.LBB4_1692:                             ;   in Loop: Header=BB4_137 Depth=3
	s_or_b64 exec, exec, s[94:95]
.LBB4_1693:                             ;   in Loop: Header=BB4_137 Depth=3
	s_or_b64 exec, exec, s[26:27]
	v_mul_f32_e32 v2, v21, v1
	v_and_b32_e32 v8, 0x7f800000, v2
	v_mov_b32_e32 v9, v17
	v_cmp_ne_u64_e32 vcc, s[76:77], v[8:9]
	v_and_b32_e32 v0, 0x7fffff, v2
	v_mov_b32_e32 v1, v17
                                        ; implicit-def: $vgpr8
	s_and_saveexec_b64 s[26:27], vcc
	s_xor_b64 s[94:95], exec, s[26:27]
	s_cbranch_execz .LBB4_1707
; %bb.1694:                             ;   in Loop: Header=BB4_137 Depth=3
	v_and_b32_e32 v8, 0x7fffffff, v2
	v_mov_b32_e32 v9, v17
	v_cmp_gt_u64_e32 vcc, s[78:79], v[8:9]
	v_and_b32_sdwa v3, v2, s96 dst_sel:DWORD dst_unused:UNUSED_PAD src0_sel:BYTE_3 src1_sel:DWORD
                                        ; implicit-def: $vgpr8
	s_and_saveexec_b64 s[26:27], vcc
	s_xor_b64 s[30:31], exec, s[26:27]
	s_cbranch_execz .LBB4_1704
; %bb.1695:                             ;   in Loop: Header=BB4_137 Depth=3
	v_mov_b32_e32 v8, 0
	v_cmp_ne_u32_e32 vcc, 0, v2
	s_and_saveexec_b64 s[34:35], vcc
	s_cbranch_execz .LBB4_1703
; %bb.1696:                             ;   in Loop: Header=BB4_137 Depth=3
	v_bfe_u32 v8, v2, 23, 8
	v_cmp_gt_u32_e64 s[26:27], s46, v8
	v_sub_u32_e32 v2, 0x71, v8
	v_cmp_eq_u32_e32 vcc, 0, v8
	v_cndmask_b32_e64 v2, 0, v2, s[26:27]
	v_mov_b32_e32 v9, 0x70
	v_cndmask_b32_e32 v9, v2, v9, vcc
	v_add_u32_e32 v2, 21, v9
	v_or_b32_e32 v28, 0x800000, v0
	v_lshlrev_b64 v[48:49], v2, -1
	v_cndmask_b32_e32 v0, v28, v0, vcc
	v_add_u32_e32 v2, 20, v9
	v_bfi_b32 v48, v48, 0, v0
	v_lshlrev_b64 v[50:51], v2, 1
	v_lshrrev_b64 v[0:1], v9, v[0:1]
	v_bfi_b32 v49, v49, 0, 0
	v_cmp_eq_u64_e64 s[26:27], v[48:49], v[50:51]
	v_mov_b32_e32 v2, v1
	v_mov_b32_e32 v1, v0
	s_and_saveexec_b64 s[36:37], s[26:27]
; %bb.1697:                             ;   in Loop: Header=BB4_137 Depth=3
	v_bfe_u32 v1, v0, 21, 1
	v_add_co_u32_e64 v1, s[26:27], v0, v1
	v_add_co_u32_e64 v1, s[26:27], -1, v1
; %bb.1698:                             ;   in Loop: Header=BB4_137 Depth=3
	s_or_b64 exec, exec, s[36:37]
	v_add_u32_e32 v2, 0xffffff81, v8
	v_mov_b32_e32 v8, 0xffffff82
	v_cndmask_b32_e32 v2, v2, v8, vcc
	v_lshrrev_b32_e32 v8, 23, v0
	v_add3_u32 v9, v9, v2, v8
	v_add_u32_e32 v8, 14, v9
	v_and_b32_e32 v1, 0x1fffff, v1
	v_add_u32_e32 v0, v1, v0
	v_mov_b32_e32 v1, v17
	v_cmp_ne_u32_e32 vcc, 0, v8
                                        ; implicit-def: $vgpr2
	s_and_saveexec_b64 s[26:27], vcc
	s_xor_b64 s[26:27], exec, s[26:27]
; %bb.1699:                             ;   in Loop: Header=BB4_137 Depth=3
	v_cmp_lt_u64_e32 vcc, s[88:89], v[0:1]
	v_add_u32_e32 v2, 15, v9
	v_cndmask_b32_e32 v2, v8, v2, vcc
	v_cndmask_b32_e64 v8, 0, 1, vcc
	v_lshrrev_b64 v[0:1], v8, v[0:1]
; %bb.1700:                             ;   in Loop: Header=BB4_137 Depth=3
	s_andn2_saveexec_b64 s[26:27], s[26:27]
; %bb.1701:                             ;   in Loop: Header=BB4_137 Depth=3
	v_bfe_u32 v2, v0, 23, 1
; %bb.1702:                             ;   in Loop: Header=BB4_137 Depth=3
	s_or_b64 exec, exec, s[26:27]
	v_lshrrev_b64 v[0:1], 21, v[0:1]
	v_cmp_gt_i32_e32 vcc, 32, v2
	v_cndmask_b32_e32 v1, 0, v1, vcc
	v_cndmask_b32_e32 v0, 3, v0, vcc
	v_cmp_eq_u64_e64 s[26:27], 0, v[0:1]
	v_min_i32_e32 v1, 31, v2
	v_lshlrev_b32_e32 v1, 2, v1
	v_cmp_eq_u32_e32 vcc, 0, v2
	v_and_b32_e32 v1, 0xfc, v1
	v_and_or_b32 v0, v0, 3, v1
	s_and_b64 s[26:27], vcc, s[26:27]
	v_cndmask_b32_e64 v0, v0, 0, s[26:27]
	v_or_b32_e32 v8, v0, v3
.LBB4_1703:                             ;   in Loop: Header=BB4_137 Depth=3
	s_or_b64 exec, exec, s[34:35]
                                        ; implicit-def: $vgpr3
.LBB4_1704:                             ;   in Loop: Header=BB4_137 Depth=3
	s_andn2_saveexec_b64 s[26:27], s[30:31]
; %bb.1705:                             ;   in Loop: Header=BB4_137 Depth=3
	v_or_b32_e32 v8, 0x7b, v3
; %bb.1706:                             ;   in Loop: Header=BB4_137 Depth=3
	s_or_b64 exec, exec, s[26:27]
                                        ; implicit-def: $vgpr2
                                        ; implicit-def: $vgpr0_vgpr1
.LBB4_1707:                             ;   in Loop: Header=BB4_137 Depth=3
	s_andn2_saveexec_b64 s[26:27], s[94:95]
	s_cbranch_execz .LBB4_1713
; %bb.1708:                             ;   in Loop: Header=BB4_137 Depth=3
	v_cmp_ne_u64_e32 vcc, 0, v[0:1]
                                        ; implicit-def: $vgpr8
	s_and_saveexec_b64 s[94:95], vcc
	s_xor_b64 s[94:95], exec, s[94:95]
; %bb.1709:                             ;   in Loop: Header=BB4_137 Depth=3
	v_or_b32_sdwa v8, v2, s47 dst_sel:DWORD dst_unused:UNUSED_PAD src0_sel:BYTE_3 src1_sel:DWORD
                                        ; implicit-def: $vgpr2
; %bb.1710:                             ;   in Loop: Header=BB4_137 Depth=3
	s_andn2_saveexec_b64 s[94:95], s[94:95]
; %bb.1711:                             ;   in Loop: Header=BB4_137 Depth=3
	v_cmp_lt_i32_e32 vcc, -1, v2
	v_bfrev_b32_e32 v0, 0.5
	v_cndmask_b32_e32 v8, v0, v52, vcc
; %bb.1712:                             ;   in Loop: Header=BB4_137 Depth=3
	s_or_b64 exec, exec, s[94:95]
.LBB4_1713:                             ;   in Loop: Header=BB4_137 Depth=3
	s_or_b64 exec, exec, s[26:27]
	v_cmp_ne_u16_sdwa s[94:95], v10, v17 src0_sel:BYTE_0 src1_sel:DWORD
	v_mov_b32_e32 v0, 0
	s_and_saveexec_b64 s[26:27], s[94:95]
	s_cbranch_execz .LBB4_1721
; %bb.1714:                             ;   in Loop: Header=BB4_137 Depth=3
	v_cmp_ne_u16_sdwa vcc, sext(v10), s97 src0_sel:BYTE_0 src1_sel:DWORD
	v_bfrev_b32_e32 v0, 1
	s_and_saveexec_b64 s[94:95], vcc
	s_cbranch_execz .LBB4_1720
; %bb.1715:                             ;   in Loop: Header=BB4_137 Depth=3
	v_and_b32_e32 v0, 0x7c, v10
	v_and_b32_e32 v1, 3, v10
	v_cmp_ne_u32_e32 vcc, s85, v0
                                        ; implicit-def: $vgpr0
	s_and_saveexec_b64 s[30:31], vcc
	s_xor_b64 s[30:31], exec, s[30:31]
	s_cbranch_execz .LBB4_1717
; %bb.1716:                             ;   in Loop: Header=BB4_137 Depth=3
	v_ffbh_u32_e32 v2, v1
	v_min_u32_e32 v9, 32, v2
	v_subrev_u32_e32 v2, 29, v9
	v_lshlrev_b64 v[2:3], v2, v[10:11]
	v_bfe_u32 v0, v10, 2, 5
	v_and_b32_e32 v2, 3, v2
	v_cmp_eq_u32_e32 vcc, 0, v0
	v_sub_u32_e32 v3, 30, v9
	v_cndmask_b32_e32 v1, v1, v2, vcc
	v_lshlrev_b32_e32 v2, 24, v10
	v_cndmask_b32_e32 v0, v0, v3, vcc
	v_and_b32_e32 v2, 0x80000000, v2
	v_lshl_add_u32 v0, v0, 23, v2
	v_lshl_or_b32 v0, v1, 21, v0
	v_add_u32_e32 v0, 0x38000000, v0
                                        ; implicit-def: $vgpr1
.LBB4_1717:                             ;   in Loop: Header=BB4_137 Depth=3
	s_andn2_saveexec_b64 s[30:31], s[30:31]
; %bb.1718:                             ;   in Loop: Header=BB4_137 Depth=3
	v_mov_b32_e32 v0, -1
	v_cmp_gt_i16_sdwa vcc, sext(v10), v0 src0_sel:BYTE_0 src1_sel:DWORD
	v_mov_b32_e32 v0, 0xff800000
	v_mov_b32_e32 v2, 0x7f800000
	v_cndmask_b32_e32 v0, v0, v2, vcc
	v_cmp_eq_u32_e32 vcc, 0, v1
	v_mov_b32_e32 v1, 0x7f800001
	v_cndmask_b32_e32 v0, v1, v0, vcc
; %bb.1719:                             ;   in Loop: Header=BB4_137 Depth=3
	s_or_b64 exec, exec, s[30:31]
.LBB4_1720:                             ;   in Loop: Header=BB4_137 Depth=3
	s_or_b64 exec, exec, s[94:95]
.LBB4_1721:                             ;   in Loop: Header=BB4_137 Depth=3
	s_or_b64 exec, exec, s[26:27]
	v_mul_f32_e32 v2, v21, v0
	v_and_b32_e32 v48, 0x7f800000, v2
	v_mov_b32_e32 v49, v17
	v_cmp_ne_u64_e32 vcc, s[76:77], v[48:49]
	v_and_b32_e32 v0, 0x7fffff, v2
	v_mov_b32_e32 v1, v17
                                        ; implicit-def: $vgpr9
	s_and_saveexec_b64 s[26:27], vcc
	s_xor_b64 s[94:95], exec, s[26:27]
	s_cbranch_execz .LBB4_1735
; %bb.1722:                             ;   in Loop: Header=BB4_137 Depth=3
	v_and_b32_e32 v48, 0x7fffffff, v2
	v_mov_b32_e32 v49, v17
	v_cmp_gt_u64_e32 vcc, s[78:79], v[48:49]
	v_and_b32_sdwa v3, v2, s96 dst_sel:DWORD dst_unused:UNUSED_PAD src0_sel:BYTE_3 src1_sel:DWORD
                                        ; implicit-def: $vgpr9
	s_and_saveexec_b64 s[26:27], vcc
	s_xor_b64 s[30:31], exec, s[26:27]
	s_cbranch_execz .LBB4_1732
; %bb.1723:                             ;   in Loop: Header=BB4_137 Depth=3
	v_mov_b32_e32 v9, 0
	v_cmp_ne_u32_e32 vcc, 0, v2
	s_and_saveexec_b64 s[34:35], vcc
	s_cbranch_execz .LBB4_1731
; %bb.1724:                             ;   in Loop: Header=BB4_137 Depth=3
	v_bfe_u32 v9, v2, 23, 8
	v_cmp_gt_u32_e64 s[26:27], s46, v9
	v_sub_u32_e32 v2, 0x71, v9
	v_cmp_eq_u32_e32 vcc, 0, v9
	v_cndmask_b32_e64 v2, 0, v2, s[26:27]
	v_mov_b32_e32 v29, 0x70
	v_cndmask_b32_e32 v39, v2, v29, vcc
	v_add_u32_e32 v2, 21, v39
	v_or_b32_e32 v28, 0x800000, v0
	v_lshlrev_b64 v[48:49], v2, -1
	v_cndmask_b32_e32 v0, v28, v0, vcc
	v_add_u32_e32 v2, 20, v39
	v_bfi_b32 v48, v48, 0, v0
	v_lshlrev_b64 v[50:51], v2, 1
	v_lshrrev_b64 v[0:1], v39, v[0:1]
	v_bfi_b32 v49, v49, 0, 0
	v_cmp_eq_u64_e64 s[26:27], v[48:49], v[50:51]
	v_mov_b32_e32 v2, v1
	v_mov_b32_e32 v1, v0
	s_and_saveexec_b64 s[36:37], s[26:27]
; %bb.1725:                             ;   in Loop: Header=BB4_137 Depth=3
	v_bfe_u32 v1, v0, 21, 1
	v_add_co_u32_e64 v1, s[26:27], v0, v1
	v_add_co_u32_e64 v1, s[26:27], -1, v1
; %bb.1726:                             ;   in Loop: Header=BB4_137 Depth=3
	s_or_b64 exec, exec, s[36:37]
	v_add_u32_e32 v2, 0xffffff81, v9
	v_mov_b32_e32 v9, 0xffffff82
	v_cndmask_b32_e32 v2, v2, v9, vcc
	v_lshrrev_b32_e32 v9, 23, v0
	v_add3_u32 v39, v39, v2, v9
	v_add_u32_e32 v9, 14, v39
	v_and_b32_e32 v1, 0x1fffff, v1
	v_add_u32_e32 v0, v1, v0
	v_mov_b32_e32 v1, v17
	v_cmp_ne_u32_e32 vcc, 0, v9
                                        ; implicit-def: $vgpr2
	s_and_saveexec_b64 s[26:27], vcc
	s_xor_b64 s[26:27], exec, s[26:27]
; %bb.1727:                             ;   in Loop: Header=BB4_137 Depth=3
	v_cmp_lt_u64_e32 vcc, s[88:89], v[0:1]
	v_add_u32_e32 v2, 15, v39
	v_cndmask_b32_e32 v2, v9, v2, vcc
	v_cndmask_b32_e64 v9, 0, 1, vcc
	v_lshrrev_b64 v[0:1], v9, v[0:1]
; %bb.1728:                             ;   in Loop: Header=BB4_137 Depth=3
	s_andn2_saveexec_b64 s[26:27], s[26:27]
; %bb.1729:                             ;   in Loop: Header=BB4_137 Depth=3
	v_bfe_u32 v2, v0, 23, 1
; %bb.1730:                             ;   in Loop: Header=BB4_137 Depth=3
	s_or_b64 exec, exec, s[26:27]
	v_lshrrev_b64 v[0:1], 21, v[0:1]
	v_cmp_gt_i32_e32 vcc, 32, v2
	v_cndmask_b32_e32 v1, 0, v1, vcc
	v_cndmask_b32_e32 v0, 3, v0, vcc
	v_cmp_eq_u64_e64 s[26:27], 0, v[0:1]
	v_min_i32_e32 v1, 31, v2
	v_lshlrev_b32_e32 v1, 2, v1
	v_cmp_eq_u32_e32 vcc, 0, v2
	v_and_b32_e32 v1, 0xfc, v1
	v_and_or_b32 v0, v0, 3, v1
	s_and_b64 s[26:27], vcc, s[26:27]
	v_cndmask_b32_e64 v0, v0, 0, s[26:27]
	v_or_b32_e32 v9, v0, v3
.LBB4_1731:                             ;   in Loop: Header=BB4_137 Depth=3
	s_or_b64 exec, exec, s[34:35]
                                        ; implicit-def: $vgpr3
.LBB4_1732:                             ;   in Loop: Header=BB4_137 Depth=3
	s_andn2_saveexec_b64 s[26:27], s[30:31]
; %bb.1733:                             ;   in Loop: Header=BB4_137 Depth=3
	v_or_b32_e32 v9, 0x7b, v3
; %bb.1734:                             ;   in Loop: Header=BB4_137 Depth=3
	s_or_b64 exec, exec, s[26:27]
                                        ; implicit-def: $vgpr2
                                        ; implicit-def: $vgpr0_vgpr1
.LBB4_1735:                             ;   in Loop: Header=BB4_137 Depth=3
	s_andn2_saveexec_b64 s[26:27], s[94:95]
	s_cbranch_execz .LBB4_1741
; %bb.1736:                             ;   in Loop: Header=BB4_137 Depth=3
	v_cmp_ne_u64_e32 vcc, 0, v[0:1]
                                        ; implicit-def: $vgpr9
	s_and_saveexec_b64 s[94:95], vcc
	s_xor_b64 s[94:95], exec, s[94:95]
; %bb.1737:                             ;   in Loop: Header=BB4_137 Depth=3
	v_or_b32_sdwa v9, v2, s47 dst_sel:DWORD dst_unused:UNUSED_PAD src0_sel:BYTE_3 src1_sel:DWORD
                                        ; implicit-def: $vgpr2
; %bb.1738:                             ;   in Loop: Header=BB4_137 Depth=3
	s_andn2_saveexec_b64 s[94:95], s[94:95]
; %bb.1739:                             ;   in Loop: Header=BB4_137 Depth=3
	v_cmp_lt_i32_e32 vcc, -1, v2
	v_bfrev_b32_e32 v0, 0.5
	v_cndmask_b32_e32 v9, v0, v52, vcc
; %bb.1740:                             ;   in Loop: Header=BB4_137 Depth=3
	s_or_b64 exec, exec, s[94:95]
.LBB4_1741:                             ;   in Loop: Header=BB4_137 Depth=3
	s_or_b64 exec, exec, s[26:27]
	v_lshrrev_b16_e32 v0, 8, v10
	v_cmp_ne_u16_e32 vcc, 0, v0
	v_mov_b32_e32 v1, 0
	s_and_saveexec_b64 s[26:27], vcc
	s_cbranch_execz .LBB4_1749
; %bb.1742:                             ;   in Loop: Header=BB4_137 Depth=3
	v_cmp_ne_u16_e32 vcc, s96, v0
	v_bfrev_b32_e32 v1, 1
	s_and_saveexec_b64 s[94:95], vcc
	s_cbranch_execz .LBB4_1748
; %bb.1743:                             ;   in Loop: Header=BB4_137 Depth=3
	v_and_b32_e32 v1, 0x7c, v0
	v_and_b32_e32 v2, 3, v0
	v_cmp_ne_u32_e32 vcc, s85, v1
                                        ; implicit-def: $vgpr1
	s_and_saveexec_b64 s[30:31], vcc
	s_xor_b64 s[30:31], exec, s[30:31]
	s_cbranch_execz .LBB4_1745
; %bb.1744:                             ;   in Loop: Header=BB4_137 Depth=3
	v_ffbh_u32_e32 v28, v2
	v_min_u32_e32 v28, 32, v28
	v_mov_b32_e32 v1, v17
	v_subrev_u32_e32 v29, 29, v28
	v_bfe_u32 v3, v0, 2, 5
	v_lshlrev_b64 v[0:1], v29, v[0:1]
	v_cmp_eq_u32_e32 vcc, 0, v3
	v_and_b32_e32 v0, 3, v0
	v_sub_u32_e32 v1, 30, v28
	v_cndmask_b32_e32 v0, v2, v0, vcc
	v_lshlrev_b32_e32 v2, 16, v10
	v_cndmask_b32_e32 v1, v3, v1, vcc
	v_and_b32_e32 v2, 0x80000000, v2
	v_lshl_add_u32 v1, v1, 23, v2
	v_lshl_or_b32 v0, v0, 21, v1
	v_add_u32_e32 v1, 0x38000000, v0
                                        ; implicit-def: $vgpr2
.LBB4_1745:                             ;   in Loop: Header=BB4_137 Depth=3
	s_andn2_saveexec_b64 s[30:31], s[30:31]
; %bb.1746:                             ;   in Loop: Header=BB4_137 Depth=3
	v_cmp_lt_i16_e32 vcc, -1, v10
	v_mov_b32_e32 v0, 0xff800000
	v_mov_b32_e32 v1, 0x7f800000
	v_cndmask_b32_e32 v0, v0, v1, vcc
	v_cmp_eq_u32_e32 vcc, 0, v2
	v_mov_b32_e32 v1, 0x7f800001
	v_cndmask_b32_e32 v1, v1, v0, vcc
; %bb.1747:                             ;   in Loop: Header=BB4_137 Depth=3
	s_or_b64 exec, exec, s[30:31]
.LBB4_1748:                             ;   in Loop: Header=BB4_137 Depth=3
	s_or_b64 exec, exec, s[94:95]
.LBB4_1749:                             ;   in Loop: Header=BB4_137 Depth=3
	s_or_b64 exec, exec, s[26:27]
	v_mul_f32_e32 v2, v21, v1
	v_and_b32_e32 v48, 0x7f800000, v2
	v_mov_b32_e32 v49, v17
	v_cmp_ne_u64_e32 vcc, s[76:77], v[48:49]
	v_and_b32_e32 v0, 0x7fffff, v2
	v_mov_b32_e32 v1, v17
                                        ; implicit-def: $vgpr39
	s_and_saveexec_b64 s[26:27], vcc
	s_xor_b64 s[94:95], exec, s[26:27]
	s_cbranch_execz .LBB4_1763
; %bb.1750:                             ;   in Loop: Header=BB4_137 Depth=3
	v_and_b32_e32 v48, 0x7fffffff, v2
	v_mov_b32_e32 v49, v17
	v_cmp_gt_u64_e32 vcc, s[78:79], v[48:49]
	v_and_b32_sdwa v3, v2, s96 dst_sel:DWORD dst_unused:UNUSED_PAD src0_sel:BYTE_3 src1_sel:DWORD
                                        ; implicit-def: $vgpr39
	s_and_saveexec_b64 s[26:27], vcc
	s_xor_b64 s[30:31], exec, s[26:27]
	s_cbranch_execz .LBB4_1760
; %bb.1751:                             ;   in Loop: Header=BB4_137 Depth=3
	v_mov_b32_e32 v39, 0
	v_cmp_ne_u32_e32 vcc, 0, v2
	s_and_saveexec_b64 s[34:35], vcc
	s_cbranch_execz .LBB4_1759
; %bb.1752:                             ;   in Loop: Header=BB4_137 Depth=3
	v_bfe_u32 v39, v2, 23, 8
	v_cmp_gt_u32_e64 s[26:27], s46, v39
	v_sub_u32_e32 v2, 0x71, v39
	v_cmp_eq_u32_e32 vcc, 0, v39
	v_cndmask_b32_e64 v2, 0, v2, s[26:27]
	v_mov_b32_e32 v29, 0x70
	v_cndmask_b32_e32 v48, v2, v29, vcc
	v_add_u32_e32 v2, 21, v48
	v_or_b32_e32 v28, 0x800000, v0
	v_lshlrev_b64 v[49:50], v2, -1
	v_cndmask_b32_e32 v0, v28, v0, vcc
	v_add_u32_e32 v2, 20, v48
	v_bfi_b32 v49, v49, 0, v0
	v_lshlrev_b64 v[46:47], v2, 1
	v_lshrrev_b64 v[0:1], v48, v[0:1]
	v_bfi_b32 v50, v50, 0, 0
	v_cmp_eq_u64_e64 s[26:27], v[49:50], v[46:47]
	v_mov_b32_e32 v2, v1
	v_mov_b32_e32 v1, v0
	s_and_saveexec_b64 s[36:37], s[26:27]
; %bb.1753:                             ;   in Loop: Header=BB4_137 Depth=3
	v_bfe_u32 v1, v0, 21, 1
	v_add_co_u32_e64 v1, s[26:27], v0, v1
	v_add_co_u32_e64 v1, s[26:27], -1, v1
; %bb.1754:                             ;   in Loop: Header=BB4_137 Depth=3
	s_or_b64 exec, exec, s[36:37]
	v_add_u32_e32 v2, 0xffffff81, v39
	v_mov_b32_e32 v28, 0xffffff82
	v_cndmask_b32_e32 v2, v2, v28, vcc
	v_lshrrev_b32_e32 v28, 23, v0
	v_add3_u32 v48, v48, v2, v28
	v_add_u32_e32 v39, 14, v48
	v_and_b32_e32 v1, 0x1fffff, v1
	v_add_u32_e32 v0, v1, v0
	v_mov_b32_e32 v1, v17
	v_cmp_ne_u32_e32 vcc, 0, v39
                                        ; implicit-def: $vgpr2
	s_and_saveexec_b64 s[26:27], vcc
	s_xor_b64 s[26:27], exec, s[26:27]
; %bb.1755:                             ;   in Loop: Header=BB4_137 Depth=3
	v_cmp_lt_u64_e32 vcc, s[88:89], v[0:1]
	v_add_u32_e32 v2, 15, v48
	v_cndmask_b32_e64 v28, 0, 1, vcc
	v_lshrrev_b64 v[0:1], v28, v[0:1]
	v_cndmask_b32_e32 v2, v39, v2, vcc
; %bb.1756:                             ;   in Loop: Header=BB4_137 Depth=3
	s_andn2_saveexec_b64 s[26:27], s[26:27]
; %bb.1757:                             ;   in Loop: Header=BB4_137 Depth=3
	v_bfe_u32 v2, v0, 23, 1
; %bb.1758:                             ;   in Loop: Header=BB4_137 Depth=3
	s_or_b64 exec, exec, s[26:27]
	v_lshrrev_b64 v[0:1], 21, v[0:1]
	v_cmp_gt_i32_e32 vcc, 32, v2
	v_cndmask_b32_e32 v1, 0, v1, vcc
	v_cndmask_b32_e32 v0, 3, v0, vcc
	v_cmp_eq_u64_e64 s[26:27], 0, v[0:1]
	v_min_i32_e32 v1, 31, v2
	v_lshlrev_b32_e32 v1, 2, v1
	v_cmp_eq_u32_e32 vcc, 0, v2
	v_and_b32_e32 v1, 0xfc, v1
	v_and_or_b32 v0, v0, 3, v1
	s_and_b64 s[26:27], vcc, s[26:27]
	v_cndmask_b32_e64 v0, v0, 0, s[26:27]
	v_or_b32_e32 v39, v0, v3
.LBB4_1759:                             ;   in Loop: Header=BB4_137 Depth=3
	s_or_b64 exec, exec, s[34:35]
                                        ; implicit-def: $vgpr3
.LBB4_1760:                             ;   in Loop: Header=BB4_137 Depth=3
	s_andn2_saveexec_b64 s[26:27], s[30:31]
; %bb.1761:                             ;   in Loop: Header=BB4_137 Depth=3
	v_or_b32_e32 v39, 0x7b, v3
; %bb.1762:                             ;   in Loop: Header=BB4_137 Depth=3
	s_or_b64 exec, exec, s[26:27]
                                        ; implicit-def: $vgpr2
                                        ; implicit-def: $vgpr0_vgpr1
.LBB4_1763:                             ;   in Loop: Header=BB4_137 Depth=3
	s_andn2_saveexec_b64 s[26:27], s[94:95]
	s_cbranch_execz .LBB4_1769
; %bb.1764:                             ;   in Loop: Header=BB4_137 Depth=3
	v_cmp_ne_u64_e32 vcc, 0, v[0:1]
                                        ; implicit-def: $vgpr39
	s_and_saveexec_b64 s[94:95], vcc
	s_xor_b64 s[94:95], exec, s[94:95]
; %bb.1765:                             ;   in Loop: Header=BB4_137 Depth=3
	v_or_b32_sdwa v39, v2, s47 dst_sel:DWORD dst_unused:UNUSED_PAD src0_sel:BYTE_3 src1_sel:DWORD
                                        ; implicit-def: $vgpr2
; %bb.1766:                             ;   in Loop: Header=BB4_137 Depth=3
	s_andn2_saveexec_b64 s[94:95], s[94:95]
; %bb.1767:                             ;   in Loop: Header=BB4_137 Depth=3
	v_cmp_lt_i32_e32 vcc, -1, v2
	v_bfrev_b32_e32 v0, 0.5
	v_cndmask_b32_e32 v39, v0, v52, vcc
; %bb.1768:                             ;   in Loop: Header=BB4_137 Depth=3
	s_or_b64 exec, exec, s[94:95]
.LBB4_1769:                             ;   in Loop: Header=BB4_137 Depth=3
	s_or_b64 exec, exec, s[26:27]
	v_lshrrev_b32_e32 v0, 16, v10
	v_cmp_ne_u16_sdwa s[94:95], v0, v17 src0_sel:BYTE_0 src1_sel:DWORD
	v_mov_b32_e32 v1, 0
	s_and_saveexec_b64 s[26:27], s[94:95]
	s_cbranch_execz .LBB4_1777
; %bb.1770:                             ;   in Loop: Header=BB4_137 Depth=3
	v_cmp_ne_u16_sdwa vcc, v0, s96 src0_sel:BYTE_0 src1_sel:DWORD
	v_bfrev_b32_e32 v1, 1
	s_and_saveexec_b64 s[94:95], vcc
	s_cbranch_execz .LBB4_1776
; %bb.1771:                             ;   in Loop: Header=BB4_137 Depth=3
	v_and_b32_e32 v1, 0x7c0000, v10
	v_bfe_u32 v2, v10, 16, 2
	v_cmp_ne_u32_e32 vcc, s44, v1
                                        ; implicit-def: $vgpr1
	s_and_saveexec_b64 s[30:31], vcc
	s_xor_b64 s[30:31], exec, s[30:31]
	s_cbranch_execz .LBB4_1773
; %bb.1772:                             ;   in Loop: Header=BB4_137 Depth=3
	v_ffbh_u32_e32 v1, v2
	v_min_u32_e32 v28, 32, v1
	v_subrev_u32_e32 v1, 29, v28
	v_lshlrev_b64 v[0:1], v1, v[0:1]
	v_bfe_u32 v3, v10, 18, 5
	v_and_b32_e32 v0, 3, v0
	v_cmp_eq_u32_e32 vcc, 0, v3
	v_sub_u32_e32 v1, 30, v28
	v_cndmask_b32_e32 v0, v2, v0, vcc
	v_lshlrev_b32_e32 v2, 8, v10
	v_cndmask_b32_e32 v1, v3, v1, vcc
	v_and_b32_e32 v2, 0x80000000, v2
	v_lshl_add_u32 v1, v1, 23, v2
	v_lshl_or_b32 v0, v0, 21, v1
	v_add_u32_e32 v1, 0x38000000, v0
                                        ; implicit-def: $vgpr2
                                        ; implicit-def: $vgpr0
.LBB4_1773:                             ;   in Loop: Header=BB4_137 Depth=3
	s_andn2_saveexec_b64 s[30:31], s[30:31]
; %bb.1774:                             ;   in Loop: Header=BB4_137 Depth=3
	v_mov_b32_e32 v1, -1
	v_cmp_gt_i16_sdwa vcc, sext(v0), v1 src0_sel:BYTE_0 src1_sel:DWORD
	v_mov_b32_e32 v0, 0xff800000
	v_mov_b32_e32 v1, 0x7f800000
	v_cndmask_b32_e32 v0, v0, v1, vcc
	v_cmp_eq_u32_e32 vcc, 0, v2
	v_mov_b32_e32 v1, 0x7f800001
	v_cndmask_b32_e32 v1, v1, v0, vcc
; %bb.1775:                             ;   in Loop: Header=BB4_137 Depth=3
	s_or_b64 exec, exec, s[30:31]
.LBB4_1776:                             ;   in Loop: Header=BB4_137 Depth=3
	s_or_b64 exec, exec, s[94:95]
.LBB4_1777:                             ;   in Loop: Header=BB4_137 Depth=3
	s_or_b64 exec, exec, s[26:27]
	v_mul_f32_e32 v2, v21, v1
	v_and_b32_e32 v48, 0x7f800000, v2
	v_mov_b32_e32 v49, v17
	v_cmp_ne_u64_e32 vcc, s[76:77], v[48:49]
	v_and_b32_e32 v0, 0x7fffff, v2
	v_mov_b32_e32 v1, v17
                                        ; implicit-def: $vgpr48
	s_and_saveexec_b64 s[26:27], vcc
	s_xor_b64 s[94:95], exec, s[26:27]
	s_cbranch_execz .LBB4_1791
; %bb.1778:                             ;   in Loop: Header=BB4_137 Depth=3
	v_and_b32_e32 v48, 0x7fffffff, v2
	v_mov_b32_e32 v49, v17
	v_cmp_gt_u64_e32 vcc, s[78:79], v[48:49]
	v_and_b32_sdwa v3, v2, s96 dst_sel:DWORD dst_unused:UNUSED_PAD src0_sel:BYTE_3 src1_sel:DWORD
                                        ; implicit-def: $vgpr48
	s_and_saveexec_b64 s[26:27], vcc
	s_xor_b64 s[30:31], exec, s[26:27]
	s_cbranch_execz .LBB4_1788
; %bb.1779:                             ;   in Loop: Header=BB4_137 Depth=3
	v_mov_b32_e32 v48, 0
	v_cmp_ne_u32_e32 vcc, 0, v2
	s_and_saveexec_b64 s[34:35], vcc
	s_cbranch_execz .LBB4_1787
; %bb.1780:                             ;   in Loop: Header=BB4_137 Depth=3
	v_bfe_u32 v48, v2, 23, 8
	v_cmp_gt_u32_e64 s[26:27], s46, v48
	v_sub_u32_e32 v2, 0x71, v48
	v_cmp_eq_u32_e32 vcc, 0, v48
	v_cndmask_b32_e64 v2, 0, v2, s[26:27]
	v_mov_b32_e32 v29, 0x70
	v_cndmask_b32_e32 v49, v2, v29, vcc
	v_add_u32_e32 v2, 21, v49
	v_or_b32_e32 v28, 0x800000, v0
	v_lshlrev_b64 v[50:51], v2, -1
	v_cndmask_b32_e32 v0, v28, v0, vcc
	v_add_u32_e32 v2, 20, v49
	v_bfi_b32 v50, v50, 0, v0
	v_lshlrev_b64 v[46:47], v2, 1
	v_lshrrev_b64 v[0:1], v49, v[0:1]
	v_bfi_b32 v51, v51, 0, 0
	v_cmp_eq_u64_e64 s[26:27], v[50:51], v[46:47]
	v_mov_b32_e32 v2, v1
	v_mov_b32_e32 v1, v0
	s_and_saveexec_b64 s[36:37], s[26:27]
; %bb.1781:                             ;   in Loop: Header=BB4_137 Depth=3
	v_bfe_u32 v1, v0, 21, 1
	v_add_co_u32_e64 v1, s[26:27], v0, v1
	v_add_co_u32_e64 v1, s[26:27], -1, v1
; %bb.1782:                             ;   in Loop: Header=BB4_137 Depth=3
	s_or_b64 exec, exec, s[36:37]
	v_add_u32_e32 v2, 0xffffff81, v48
	v_mov_b32_e32 v28, 0xffffff82
	v_cndmask_b32_e32 v2, v2, v28, vcc
	v_lshrrev_b32_e32 v28, 23, v0
	v_add3_u32 v49, v49, v2, v28
	v_add_u32_e32 v48, 14, v49
	v_and_b32_e32 v1, 0x1fffff, v1
	v_add_u32_e32 v0, v1, v0
	v_mov_b32_e32 v1, v17
	v_cmp_ne_u32_e32 vcc, 0, v48
                                        ; implicit-def: $vgpr2
	s_and_saveexec_b64 s[26:27], vcc
	s_xor_b64 s[26:27], exec, s[26:27]
; %bb.1783:                             ;   in Loop: Header=BB4_137 Depth=3
	v_cmp_lt_u64_e32 vcc, s[88:89], v[0:1]
	v_add_u32_e32 v2, 15, v49
	v_cndmask_b32_e64 v28, 0, 1, vcc
	v_lshrrev_b64 v[0:1], v28, v[0:1]
	v_cndmask_b32_e32 v2, v48, v2, vcc
; %bb.1784:                             ;   in Loop: Header=BB4_137 Depth=3
	s_andn2_saveexec_b64 s[26:27], s[26:27]
; %bb.1785:                             ;   in Loop: Header=BB4_137 Depth=3
	v_bfe_u32 v2, v0, 23, 1
; %bb.1786:                             ;   in Loop: Header=BB4_137 Depth=3
	s_or_b64 exec, exec, s[26:27]
	v_lshrrev_b64 v[0:1], 21, v[0:1]
	v_cmp_gt_i32_e32 vcc, 32, v2
	v_cndmask_b32_e32 v1, 0, v1, vcc
	v_cndmask_b32_e32 v0, 3, v0, vcc
	v_cmp_eq_u64_e64 s[26:27], 0, v[0:1]
	v_min_i32_e32 v1, 31, v2
	v_lshlrev_b32_e32 v1, 2, v1
	v_cmp_eq_u32_e32 vcc, 0, v2
	v_and_b32_e32 v1, 0xfc, v1
	v_and_or_b32 v0, v0, 3, v1
	s_and_b64 s[26:27], vcc, s[26:27]
	v_cndmask_b32_e64 v0, v0, 0, s[26:27]
	v_or_b32_e32 v48, v0, v3
.LBB4_1787:                             ;   in Loop: Header=BB4_137 Depth=3
	s_or_b64 exec, exec, s[34:35]
                                        ; implicit-def: $vgpr3
.LBB4_1788:                             ;   in Loop: Header=BB4_137 Depth=3
	s_andn2_saveexec_b64 s[26:27], s[30:31]
; %bb.1789:                             ;   in Loop: Header=BB4_137 Depth=3
	v_or_b32_e32 v48, 0x7b, v3
; %bb.1790:                             ;   in Loop: Header=BB4_137 Depth=3
	s_or_b64 exec, exec, s[26:27]
                                        ; implicit-def: $vgpr2
                                        ; implicit-def: $vgpr0_vgpr1
.LBB4_1791:                             ;   in Loop: Header=BB4_137 Depth=3
	s_andn2_saveexec_b64 s[26:27], s[94:95]
	s_cbranch_execz .LBB4_1797
; %bb.1792:                             ;   in Loop: Header=BB4_137 Depth=3
	v_cmp_ne_u64_e32 vcc, 0, v[0:1]
                                        ; implicit-def: $vgpr48
	s_and_saveexec_b64 s[94:95], vcc
	s_xor_b64 s[94:95], exec, s[94:95]
; %bb.1793:                             ;   in Loop: Header=BB4_137 Depth=3
	v_or_b32_sdwa v48, v2, s47 dst_sel:DWORD dst_unused:UNUSED_PAD src0_sel:BYTE_3 src1_sel:DWORD
                                        ; implicit-def: $vgpr2
; %bb.1794:                             ;   in Loop: Header=BB4_137 Depth=3
	s_andn2_saveexec_b64 s[94:95], s[94:95]
; %bb.1795:                             ;   in Loop: Header=BB4_137 Depth=3
	v_cmp_lt_i32_e32 vcc, -1, v2
	v_bfrev_b32_e32 v0, 0.5
	v_cndmask_b32_e32 v48, v0, v52, vcc
; %bb.1796:                             ;   in Loop: Header=BB4_137 Depth=3
	s_or_b64 exec, exec, s[94:95]
.LBB4_1797:                             ;   in Loop: Header=BB4_137 Depth=3
	s_or_b64 exec, exec, s[26:27]
	v_cmp_lt_u32_e32 vcc, s57, v10
	v_mov_b32_e32 v1, 0
	s_and_saveexec_b64 s[26:27], vcc
	s_cbranch_execz .LBB4_1805
; %bb.1798:                             ;   in Loop: Header=BB4_137 Depth=3
	v_lshrrev_b32_e32 v0, 24, v10
	v_cmp_ne_u32_e32 vcc, s96, v0
	v_bfrev_b32_e32 v1, 1
	s_and_saveexec_b64 s[94:95], vcc
	s_cbranch_execz .LBB4_1804
; %bb.1799:                             ;   in Loop: Header=BB4_137 Depth=3
	v_and_b32_e32 v1, 0x7c000000, v10
	v_bfe_u32 v2, v10, 24, 2
	v_cmp_ne_u32_e32 vcc, s45, v1
                                        ; implicit-def: $vgpr1
	s_and_saveexec_b64 s[30:31], vcc
	s_xor_b64 s[30:31], exec, s[30:31]
	s_cbranch_execz .LBB4_1801
; %bb.1800:                             ;   in Loop: Header=BB4_137 Depth=3
	v_ffbh_u32_e32 v1, v2
	v_min_u32_e32 v28, 32, v1
	v_subrev_u32_e32 v1, 29, v28
	v_lshlrev_b64 v[0:1], v1, v[0:1]
	v_bfe_u32 v3, v10, 26, 5
	v_sub_u32_e32 v1, 30, v28
	v_and_b32_e32 v0, 3, v0
	v_cmp_eq_u32_e32 vcc, 0, v3
	v_cndmask_b32_e32 v1, v3, v1, vcc
	v_cndmask_b32_e32 v0, v2, v0, vcc
	v_and_b32_e32 v2, 0x80000000, v10
	v_lshl_add_u32 v1, v1, 23, v2
	v_lshl_or_b32 v0, v0, 21, v1
	v_add_u32_e32 v1, 0x38000000, v0
                                        ; implicit-def: $vgpr2
.LBB4_1801:                             ;   in Loop: Header=BB4_137 Depth=3
	s_andn2_saveexec_b64 s[30:31], s[30:31]
; %bb.1802:                             ;   in Loop: Header=BB4_137 Depth=3
	v_cmp_lt_i32_e32 vcc, -1, v10
	v_mov_b32_e32 v0, 0xff800000
	v_mov_b32_e32 v1, 0x7f800000
	v_cndmask_b32_e32 v0, v0, v1, vcc
	v_cmp_eq_u32_e32 vcc, 0, v2
	v_mov_b32_e32 v1, 0x7f800001
	v_cndmask_b32_e32 v1, v1, v0, vcc
; %bb.1803:                             ;   in Loop: Header=BB4_137 Depth=3
	s_or_b64 exec, exec, s[30:31]
.LBB4_1804:                             ;   in Loop: Header=BB4_137 Depth=3
	s_or_b64 exec, exec, s[94:95]
.LBB4_1805:                             ;   in Loop: Header=BB4_137 Depth=3
	s_or_b64 exec, exec, s[26:27]
	v_mul_f32_e32 v2, v21, v1
	v_and_b32_e32 v49, 0x7f800000, v2
	v_mov_b32_e32 v50, v17
	v_cmp_ne_u64_e32 vcc, s[76:77], v[49:50]
	v_and_b32_e32 v0, 0x7fffff, v2
	v_mov_b32_e32 v1, v17
                                        ; implicit-def: $vgpr49
	s_and_saveexec_b64 s[26:27], vcc
	s_xor_b64 s[94:95], exec, s[26:27]
	s_cbranch_execz .LBB4_1819
; %bb.1806:                             ;   in Loop: Header=BB4_137 Depth=3
	v_and_b32_e32 v49, 0x7fffffff, v2
	v_mov_b32_e32 v50, v17
	v_cmp_gt_u64_e32 vcc, s[78:79], v[49:50]
	v_and_b32_sdwa v3, v2, s96 dst_sel:DWORD dst_unused:UNUSED_PAD src0_sel:BYTE_3 src1_sel:DWORD
                                        ; implicit-def: $vgpr49
	s_and_saveexec_b64 s[26:27], vcc
	s_xor_b64 s[30:31], exec, s[26:27]
	s_cbranch_execz .LBB4_1816
; %bb.1807:                             ;   in Loop: Header=BB4_137 Depth=3
	v_mov_b32_e32 v49, 0
	v_cmp_ne_u32_e32 vcc, 0, v2
	s_and_saveexec_b64 s[34:35], vcc
	s_cbranch_execz .LBB4_1815
; %bb.1808:                             ;   in Loop: Header=BB4_137 Depth=3
	v_bfe_u32 v49, v2, 23, 8
	v_cmp_gt_u32_e64 s[26:27], s46, v49
	v_sub_u32_e32 v2, 0x71, v49
	v_cmp_eq_u32_e32 vcc, 0, v49
	v_cndmask_b32_e64 v2, 0, v2, s[26:27]
	v_mov_b32_e32 v29, 0x70
	v_cndmask_b32_e32 v50, v2, v29, vcc
	v_add_u32_e32 v2, 21, v50
	v_or_b32_e32 v28, 0x800000, v0
	v_lshlrev_b64 v[46:47], v2, -1
	v_cndmask_b32_e32 v0, v28, v0, vcc
	v_add_u32_e32 v2, 20, v50
	v_mov_b32_e32 v5, v57
	v_bfi_b32 v46, v46, 0, v0
	v_lshlrev_b64 v[56:57], v2, 1
	v_lshrrev_b64 v[0:1], v50, v[0:1]
	v_bfi_b32 v47, v47, 0, 0
	v_cmp_eq_u64_e64 s[26:27], v[46:47], v[56:57]
	v_mov_b32_e32 v2, v1
	v_mov_b32_e32 v1, v0
	s_and_saveexec_b64 s[36:37], s[26:27]
; %bb.1809:                             ;   in Loop: Header=BB4_137 Depth=3
	v_bfe_u32 v1, v0, 21, 1
	v_add_co_u32_e64 v1, s[26:27], v0, v1
	v_add_co_u32_e64 v1, s[26:27], -1, v1
; %bb.1810:                             ;   in Loop: Header=BB4_137 Depth=3
	s_or_b64 exec, exec, s[36:37]
	v_add_u32_e32 v2, 0xffffff81, v49
	v_mov_b32_e32 v28, 0xffffff82
	v_cndmask_b32_e32 v2, v2, v28, vcc
	v_lshrrev_b32_e32 v28, 23, v0
	v_add3_u32 v50, v50, v2, v28
	v_add_u32_e32 v49, 14, v50
	v_and_b32_e32 v1, 0x1fffff, v1
	v_add_u32_e32 v0, v1, v0
	v_mov_b32_e32 v1, v17
	v_cmp_ne_u32_e32 vcc, 0, v49
                                        ; implicit-def: $vgpr2
	s_and_saveexec_b64 s[26:27], vcc
	s_xor_b64 s[26:27], exec, s[26:27]
; %bb.1811:                             ;   in Loop: Header=BB4_137 Depth=3
	v_cmp_lt_u64_e32 vcc, s[88:89], v[0:1]
	v_add_u32_e32 v2, 15, v50
	v_cndmask_b32_e64 v28, 0, 1, vcc
	v_lshrrev_b64 v[0:1], v28, v[0:1]
	v_cndmask_b32_e32 v2, v49, v2, vcc
; %bb.1812:                             ;   in Loop: Header=BB4_137 Depth=3
	s_or_saveexec_b64 s[26:27], s[26:27]
	v_mov_b32_e32 v57, v5
	s_xor_b64 exec, exec, s[26:27]
; %bb.1813:                             ;   in Loop: Header=BB4_137 Depth=3
	v_bfe_u32 v2, v0, 23, 1
; %bb.1814:                             ;   in Loop: Header=BB4_137 Depth=3
	s_or_b64 exec, exec, s[26:27]
	v_lshrrev_b64 v[0:1], 21, v[0:1]
	v_cmp_gt_i32_e32 vcc, 32, v2
	v_cndmask_b32_e32 v1, 0, v1, vcc
	v_cndmask_b32_e32 v0, 3, v0, vcc
	v_cmp_eq_u64_e64 s[26:27], 0, v[0:1]
	v_min_i32_e32 v1, 31, v2
	v_lshlrev_b32_e32 v1, 2, v1
	v_cmp_eq_u32_e32 vcc, 0, v2
	v_and_b32_e32 v1, 0xfc, v1
	v_and_or_b32 v0, v0, 3, v1
	s_and_b64 s[26:27], vcc, s[26:27]
	v_cndmask_b32_e64 v0, v0, 0, s[26:27]
	v_or_b32_e32 v49, v0, v3
.LBB4_1815:                             ;   in Loop: Header=BB4_137 Depth=3
	s_or_b64 exec, exec, s[34:35]
                                        ; implicit-def: $vgpr3
.LBB4_1816:                             ;   in Loop: Header=BB4_137 Depth=3
	s_andn2_saveexec_b64 s[26:27], s[30:31]
; %bb.1817:                             ;   in Loop: Header=BB4_137 Depth=3
	v_or_b32_e32 v49, 0x7b, v3
; %bb.1818:                             ;   in Loop: Header=BB4_137 Depth=3
	s_or_b64 exec, exec, s[26:27]
                                        ; implicit-def: $vgpr2
                                        ; implicit-def: $vgpr0_vgpr1
.LBB4_1819:                             ;   in Loop: Header=BB4_137 Depth=3
	s_andn2_saveexec_b64 s[26:27], s[94:95]
	s_cbranch_execz .LBB4_1825
; %bb.1820:                             ;   in Loop: Header=BB4_137 Depth=3
	v_cmp_ne_u64_e32 vcc, 0, v[0:1]
                                        ; implicit-def: $vgpr49
	s_and_saveexec_b64 s[94:95], vcc
	s_xor_b64 s[94:95], exec, s[94:95]
; %bb.1821:                             ;   in Loop: Header=BB4_137 Depth=3
	v_or_b32_sdwa v49, v2, s47 dst_sel:DWORD dst_unused:UNUSED_PAD src0_sel:BYTE_3 src1_sel:DWORD
                                        ; implicit-def: $vgpr2
; %bb.1822:                             ;   in Loop: Header=BB4_137 Depth=3
	s_andn2_saveexec_b64 s[94:95], s[94:95]
; %bb.1823:                             ;   in Loop: Header=BB4_137 Depth=3
	v_cmp_lt_i32_e32 vcc, -1, v2
	v_bfrev_b32_e32 v0, 0.5
	v_cndmask_b32_e32 v49, v0, v52, vcc
; %bb.1824:                             ;   in Loop: Header=BB4_137 Depth=3
	s_or_b64 exec, exec, s[94:95]
.LBB4_1825:                             ;   in Loop: Header=BB4_137 Depth=3
	s_or_b64 exec, exec, s[26:27]
	v_mov_b32_e32 v0, v11
	v_mov_b32_e32 v1, v17
	v_cmp_ne_u16_sdwa s[94:95], v11, v17 src0_sel:BYTE_0 src1_sel:DWORD
	v_mov_b32_e32 v2, 0
	s_and_saveexec_b64 s[26:27], s[94:95]
	s_cbranch_execz .LBB4_1833
; %bb.1826:                             ;   in Loop: Header=BB4_137 Depth=3
	v_cmp_ne_u16_sdwa vcc, v11, s96 src0_sel:BYTE_0 src1_sel:DWORD
	v_bfrev_b32_e32 v2, 1
	s_and_saveexec_b64 s[94:95], vcc
	s_cbranch_execz .LBB4_1832
; %bb.1827:                             ;   in Loop: Header=BB4_137 Depth=3
	v_and_b32_e32 v2, 0x7c, v11
	v_and_b32_e32 v3, 3, v11
	v_cmp_ne_u32_e32 vcc, s85, v2
                                        ; implicit-def: $vgpr2
	s_and_saveexec_b64 s[30:31], vcc
	s_xor_b64 s[30:31], exec, s[30:31]
	s_cbranch_execz .LBB4_1829
; %bb.1828:                             ;   in Loop: Header=BB4_137 Depth=3
	v_ffbh_u32_e32 v2, v3
	v_min_u32_e32 v29, 32, v2
	v_subrev_u32_e32 v2, 29, v29
	v_lshlrev_b64 v[1:2], v2, v[0:1]
	v_bfe_u32 v28, v11, 2, 5
	v_and_b32_e32 v1, 3, v1
	v_cmp_eq_u32_e32 vcc, 0, v28
	v_sub_u32_e32 v2, 30, v29
	v_cndmask_b32_e32 v1, v3, v1, vcc
	v_lshlrev_b32_e32 v3, 24, v11
	v_cndmask_b32_e32 v2, v28, v2, vcc
	v_and_b32_e32 v3, 0x80000000, v3
	v_lshl_add_u32 v2, v2, 23, v3
	v_lshl_or_b32 v1, v1, 21, v2
	v_add_u32_e32 v2, 0x38000000, v1
                                        ; implicit-def: $vgpr3
.LBB4_1829:                             ;   in Loop: Header=BB4_137 Depth=3
	s_andn2_saveexec_b64 s[30:31], s[30:31]
; %bb.1830:                             ;   in Loop: Header=BB4_137 Depth=3
	v_mov_b32_e32 v1, -1
	v_cmp_gt_i16_sdwa vcc, sext(v11), v1 src0_sel:BYTE_0 src1_sel:DWORD
	v_mov_b32_e32 v1, 0xff800000
	v_mov_b32_e32 v2, 0x7f800000
	v_cndmask_b32_e32 v1, v1, v2, vcc
	v_cmp_eq_u32_e32 vcc, 0, v3
	v_mov_b32_e32 v2, 0x7f800001
	v_cndmask_b32_e32 v2, v2, v1, vcc
; %bb.1831:                             ;   in Loop: Header=BB4_137 Depth=3
	s_or_b64 exec, exec, s[30:31]
.LBB4_1832:                             ;   in Loop: Header=BB4_137 Depth=3
	s_or_b64 exec, exec, s[94:95]
.LBB4_1833:                             ;   in Loop: Header=BB4_137 Depth=3
	s_or_b64 exec, exec, s[26:27]
	v_mul_f32_e32 v51, v21, v2
	v_and_b32_e32 v2, 0x7f800000, v51
	v_mov_b32_e32 v3, v17
	v_cmp_ne_u64_e32 vcc, s[76:77], v[2:3]
	v_and_b32_e32 v1, 0x7fffff, v51
	v_mov_b32_e32 v2, v17
                                        ; implicit-def: $vgpr3
	s_and_saveexec_b64 s[26:27], vcc
	s_xor_b64 s[94:95], exec, s[26:27]
	s_cbranch_execz .LBB4_1847
; %bb.1834:                             ;   in Loop: Header=BB4_137 Depth=3
	v_and_b32_e32 v46, 0x7fffffff, v51
	v_mov_b32_e32 v47, v17
	v_cmp_gt_u64_e32 vcc, s[78:79], v[46:47]
	v_and_b32_sdwa v50, v51, s96 dst_sel:DWORD dst_unused:UNUSED_PAD src0_sel:BYTE_3 src1_sel:DWORD
                                        ; implicit-def: $vgpr3
	s_and_saveexec_b64 s[26:27], vcc
	s_xor_b64 s[30:31], exec, s[26:27]
	s_cbranch_execz .LBB4_1844
; %bb.1835:                             ;   in Loop: Header=BB4_137 Depth=3
	v_mov_b32_e32 v3, 0
	v_cmp_ne_u32_e32 vcc, 0, v51
	s_and_saveexec_b64 s[34:35], vcc
	s_cbranch_execz .LBB4_1843
; %bb.1836:                             ;   in Loop: Header=BB4_137 Depth=3
	v_bfe_u32 v51, v51, 23, 8
	v_cmp_gt_u32_e64 s[26:27], s46, v51
	v_sub_u32_e32 v3, 0x71, v51
	v_cmp_eq_u32_e32 vcc, 0, v51
	v_cndmask_b32_e64 v3, 0, v3, s[26:27]
	v_mov_b32_e32 v29, 0x70
	v_cndmask_b32_e32 v53, v3, v29, vcc
	v_add_u32_e32 v3, 21, v53
	v_or_b32_e32 v28, 0x800000, v1
	v_lshlrev_b64 v[46:47], v3, -1
	v_cndmask_b32_e32 v1, v28, v1, vcc
	v_add_u32_e32 v3, 20, v53
	v_mov_b32_e32 v5, v57
	v_bfi_b32 v46, v46, 0, v1
	v_lshlrev_b64 v[56:57], v3, 1
	v_lshrrev_b64 v[1:2], v53, v[1:2]
	v_bfi_b32 v47, v47, 0, 0
	v_cmp_eq_u64_e64 s[26:27], v[46:47], v[56:57]
	v_mov_b32_e32 v3, v2
	v_mov_b32_e32 v2, v1
	s_and_saveexec_b64 s[36:37], s[26:27]
; %bb.1837:                             ;   in Loop: Header=BB4_137 Depth=3
	v_bfe_u32 v2, v1, 21, 1
	v_add_co_u32_e64 v2, s[26:27], v1, v2
	v_add_co_u32_e64 v2, s[26:27], -1, v2
; %bb.1838:                             ;   in Loop: Header=BB4_137 Depth=3
	s_or_b64 exec, exec, s[36:37]
	v_add_u32_e32 v3, 0xffffff81, v51
	v_mov_b32_e32 v28, 0xffffff82
	v_cndmask_b32_e32 v3, v3, v28, vcc
	v_lshrrev_b32_e32 v28, 23, v1
	v_add3_u32 v53, v53, v3, v28
	v_add_u32_e32 v51, 14, v53
	v_and_b32_e32 v2, 0x1fffff, v2
	v_add_u32_e32 v1, v2, v1
	v_mov_b32_e32 v2, v17
	v_cmp_ne_u32_e32 vcc, 0, v51
                                        ; implicit-def: $vgpr3
	s_and_saveexec_b64 s[26:27], vcc
	s_xor_b64 s[26:27], exec, s[26:27]
; %bb.1839:                             ;   in Loop: Header=BB4_137 Depth=3
	v_cmp_lt_u64_e32 vcc, s[88:89], v[1:2]
	v_add_u32_e32 v3, 15, v53
	v_cndmask_b32_e64 v28, 0, 1, vcc
	v_lshrrev_b64 v[1:2], v28, v[1:2]
	v_cndmask_b32_e32 v3, v51, v3, vcc
; %bb.1840:                             ;   in Loop: Header=BB4_137 Depth=3
	s_or_saveexec_b64 s[26:27], s[26:27]
	v_mov_b32_e32 v57, v5
	s_xor_b64 exec, exec, s[26:27]
; %bb.1841:                             ;   in Loop: Header=BB4_137 Depth=3
	v_bfe_u32 v3, v1, 23, 1
; %bb.1842:                             ;   in Loop: Header=BB4_137 Depth=3
	s_or_b64 exec, exec, s[26:27]
	v_lshrrev_b64 v[1:2], 21, v[1:2]
	v_cmp_gt_i32_e32 vcc, 32, v3
	v_cndmask_b32_e32 v2, 0, v2, vcc
	v_cndmask_b32_e32 v1, 3, v1, vcc
	v_cmp_eq_u64_e64 s[26:27], 0, v[1:2]
	v_min_i32_e32 v2, 31, v3
	v_lshlrev_b32_e32 v2, 2, v2
	v_cmp_eq_u32_e32 vcc, 0, v3
	v_and_b32_e32 v2, 0xfc, v2
	v_and_or_b32 v1, v1, 3, v2
	s_and_b64 s[26:27], vcc, s[26:27]
	v_cndmask_b32_e64 v1, v1, 0, s[26:27]
	v_or_b32_e32 v3, v1, v50
.LBB4_1843:                             ;   in Loop: Header=BB4_137 Depth=3
	s_or_b64 exec, exec, s[34:35]
                                        ; implicit-def: $vgpr50
.LBB4_1844:                             ;   in Loop: Header=BB4_137 Depth=3
	s_andn2_saveexec_b64 s[26:27], s[30:31]
; %bb.1845:                             ;   in Loop: Header=BB4_137 Depth=3
	v_or_b32_e32 v3, 0x7b, v50
; %bb.1846:                             ;   in Loop: Header=BB4_137 Depth=3
	s_or_b64 exec, exec, s[26:27]
                                        ; implicit-def: $vgpr51
                                        ; implicit-def: $vgpr1_vgpr2
.LBB4_1847:                             ;   in Loop: Header=BB4_137 Depth=3
	s_andn2_saveexec_b64 s[26:27], s[94:95]
	s_cbranch_execz .LBB4_1853
; %bb.1848:                             ;   in Loop: Header=BB4_137 Depth=3
	v_cmp_ne_u64_e32 vcc, 0, v[1:2]
                                        ; implicit-def: $vgpr3
	s_and_saveexec_b64 s[94:95], vcc
	s_xor_b64 s[94:95], exec, s[94:95]
; %bb.1849:                             ;   in Loop: Header=BB4_137 Depth=3
	v_or_b32_sdwa v3, v51, s47 dst_sel:DWORD dst_unused:UNUSED_PAD src0_sel:BYTE_3 src1_sel:DWORD
                                        ; implicit-def: $vgpr51
; %bb.1850:                             ;   in Loop: Header=BB4_137 Depth=3
	s_andn2_saveexec_b64 s[94:95], s[94:95]
; %bb.1851:                             ;   in Loop: Header=BB4_137 Depth=3
	v_cmp_lt_i32_e32 vcc, -1, v51
	v_bfrev_b32_e32 v1, 0.5
	v_cndmask_b32_e32 v3, v1, v52, vcc
; %bb.1852:                             ;   in Loop: Header=BB4_137 Depth=3
	s_or_b64 exec, exec, s[94:95]
.LBB4_1853:                             ;   in Loop: Header=BB4_137 Depth=3
	s_or_b64 exec, exec, s[26:27]
	v_lshrrev_b16_e32 v1, 8, v0
	v_cmp_ne_u16_e32 vcc, 0, v1
	v_mov_b32_e32 v2, 0
	s_and_saveexec_b64 s[26:27], vcc
	s_cbranch_execz .LBB4_1861
; %bb.1854:                             ;   in Loop: Header=BB4_137 Depth=3
	v_cmp_ne_u16_e32 vcc, s96, v1
	v_bfrev_b32_e32 v2, 1
	s_and_saveexec_b64 s[94:95], vcc
	s_cbranch_execz .LBB4_1860
; %bb.1855:                             ;   in Loop: Header=BB4_137 Depth=3
	v_and_b32_e32 v2, 0x7c, v1
	v_and_b32_e32 v50, 3, v1
	v_cmp_ne_u32_e32 vcc, s85, v2
                                        ; implicit-def: $vgpr2
	s_and_saveexec_b64 s[30:31], vcc
	s_xor_b64 s[30:31], exec, s[30:31]
	s_cbranch_execz .LBB4_1857
; %bb.1856:                             ;   in Loop: Header=BB4_137 Depth=3
	v_ffbh_u32_e32 v29, v50
	v_min_u32_e32 v29, 32, v29
	v_mov_b32_e32 v2, v17
	v_subrev_u32_e32 v51, 29, v29
	v_bfe_u32 v28, v1, 2, 5
	v_lshlrev_b64 v[1:2], v51, v[1:2]
	v_sub_u32_e32 v2, 30, v29
	v_cmp_eq_u32_e32 vcc, 0, v28
	v_lshlrev_b32_e32 v0, 16, v0
	v_and_b32_e32 v1, 3, v1
	v_cndmask_b32_e32 v2, v28, v2, vcc
	v_and_b32_e32 v0, 0x80000000, v0
	v_cndmask_b32_e32 v1, v50, v1, vcc
	v_lshl_add_u32 v0, v2, 23, v0
	v_lshl_or_b32 v0, v1, 21, v0
	v_add_u32_e32 v2, 0x38000000, v0
                                        ; implicit-def: $vgpr50
                                        ; implicit-def: $vgpr0_vgpr1
.LBB4_1857:                             ;   in Loop: Header=BB4_137 Depth=3
	s_andn2_saveexec_b64 s[30:31], s[30:31]
; %bb.1858:                             ;   in Loop: Header=BB4_137 Depth=3
	v_cmp_lt_i16_e32 vcc, -1, v0
	v_mov_b32_e32 v0, 0xff800000
	v_mov_b32_e32 v1, 0x7f800000
	v_cndmask_b32_e32 v0, v0, v1, vcc
	v_cmp_eq_u32_e32 vcc, 0, v50
	v_mov_b32_e32 v1, 0x7f800001
	v_cndmask_b32_e32 v2, v1, v0, vcc
; %bb.1859:                             ;   in Loop: Header=BB4_137 Depth=3
	s_or_b64 exec, exec, s[30:31]
.LBB4_1860:                             ;   in Loop: Header=BB4_137 Depth=3
	s_or_b64 exec, exec, s[94:95]
.LBB4_1861:                             ;   in Loop: Header=BB4_137 Depth=3
	s_or_b64 exec, exec, s[26:27]
	v_mul_f32_e32 v2, v21, v2
	v_and_b32_e32 v50, 0x7f800000, v2
	v_mov_b32_e32 v51, v17
	v_cmp_ne_u64_e32 vcc, s[76:77], v[50:51]
	v_and_b32_e32 v0, 0x7fffff, v2
	v_mov_b32_e32 v1, v17
                                        ; implicit-def: $vgpr50
	s_and_saveexec_b64 s[26:27], vcc
	s_xor_b64 s[94:95], exec, s[26:27]
	s_cbranch_execz .LBB4_1875
; %bb.1862:                             ;   in Loop: Header=BB4_137 Depth=3
	v_and_b32_e32 v50, 0x7fffffff, v2
	v_mov_b32_e32 v51, v17
	v_cmp_gt_u64_e32 vcc, s[78:79], v[50:51]
	v_and_b32_sdwa v51, v2, s96 dst_sel:DWORD dst_unused:UNUSED_PAD src0_sel:BYTE_3 src1_sel:DWORD
                                        ; implicit-def: $vgpr50
	s_and_saveexec_b64 s[26:27], vcc
	s_xor_b64 s[30:31], exec, s[26:27]
	s_cbranch_execz .LBB4_1872
; %bb.1863:                             ;   in Loop: Header=BB4_137 Depth=3
	v_mov_b32_e32 v50, 0
	v_cmp_ne_u32_e32 vcc, 0, v2
	s_and_saveexec_b64 s[34:35], vcc
	s_cbranch_execz .LBB4_1871
; %bb.1864:                             ;   in Loop: Header=BB4_137 Depth=3
	v_bfe_u32 v50, v2, 23, 8
	v_cmp_gt_u32_e64 s[26:27], s46, v50
	v_sub_u32_e32 v2, 0x71, v50
	v_cmp_eq_u32_e32 vcc, 0, v50
	v_cndmask_b32_e64 v2, 0, v2, s[26:27]
	v_mov_b32_e32 v29, 0x70
	v_cndmask_b32_e32 v53, v2, v29, vcc
	v_add_u32_e32 v2, 21, v53
	v_or_b32_e32 v28, 0x800000, v0
	v_lshlrev_b64 v[46:47], v2, -1
	v_cndmask_b32_e32 v0, v28, v0, vcc
	v_add_u32_e32 v2, 20, v53
	v_mov_b32_e32 v5, v57
	v_bfi_b32 v46, v46, 0, v0
	v_lshlrev_b64 v[56:57], v2, 1
	v_lshrrev_b64 v[0:1], v53, v[0:1]
	v_bfi_b32 v47, v47, 0, 0
	v_cmp_eq_u64_e64 s[26:27], v[46:47], v[56:57]
	v_mov_b32_e32 v2, v1
	v_mov_b32_e32 v1, v0
	s_and_saveexec_b64 s[36:37], s[26:27]
; %bb.1865:                             ;   in Loop: Header=BB4_137 Depth=3
	v_bfe_u32 v1, v0, 21, 1
	v_add_co_u32_e64 v1, s[26:27], v0, v1
	v_add_co_u32_e64 v1, s[26:27], -1, v1
; %bb.1866:                             ;   in Loop: Header=BB4_137 Depth=3
	s_or_b64 exec, exec, s[36:37]
	v_add_u32_e32 v2, 0xffffff81, v50
	v_mov_b32_e32 v28, 0xffffff82
	v_cndmask_b32_e32 v2, v2, v28, vcc
	v_lshrrev_b32_e32 v28, 23, v0
	v_add3_u32 v53, v53, v2, v28
	v_add_u32_e32 v50, 14, v53
	v_and_b32_e32 v1, 0x1fffff, v1
	v_add_u32_e32 v0, v1, v0
	v_mov_b32_e32 v1, v17
	v_cmp_ne_u32_e32 vcc, 0, v50
                                        ; implicit-def: $vgpr2
	s_and_saveexec_b64 s[26:27], vcc
	s_xor_b64 s[26:27], exec, s[26:27]
; %bb.1867:                             ;   in Loop: Header=BB4_137 Depth=3
	v_cmp_lt_u64_e32 vcc, s[88:89], v[0:1]
	v_add_u32_e32 v2, 15, v53
	v_cndmask_b32_e64 v28, 0, 1, vcc
	v_lshrrev_b64 v[0:1], v28, v[0:1]
	v_cndmask_b32_e32 v2, v50, v2, vcc
; %bb.1868:                             ;   in Loop: Header=BB4_137 Depth=3
	s_or_saveexec_b64 s[26:27], s[26:27]
	v_mov_b32_e32 v57, v5
	s_xor_b64 exec, exec, s[26:27]
; %bb.1869:                             ;   in Loop: Header=BB4_137 Depth=3
	v_bfe_u32 v2, v0, 23, 1
; %bb.1870:                             ;   in Loop: Header=BB4_137 Depth=3
	s_or_b64 exec, exec, s[26:27]
	v_lshrrev_b64 v[0:1], 21, v[0:1]
	v_cmp_gt_i32_e32 vcc, 32, v2
	v_cndmask_b32_e32 v1, 0, v1, vcc
	v_cndmask_b32_e32 v0, 3, v0, vcc
	v_cmp_eq_u64_e64 s[26:27], 0, v[0:1]
	v_min_i32_e32 v1, 31, v2
	v_lshlrev_b32_e32 v1, 2, v1
	v_cmp_eq_u32_e32 vcc, 0, v2
	v_and_b32_e32 v1, 0xfc, v1
	v_and_or_b32 v0, v0, 3, v1
	s_and_b64 s[26:27], vcc, s[26:27]
	v_cndmask_b32_e64 v0, v0, 0, s[26:27]
	v_or_b32_e32 v50, v0, v51
.LBB4_1871:                             ;   in Loop: Header=BB4_137 Depth=3
	s_or_b64 exec, exec, s[34:35]
                                        ; implicit-def: $vgpr51
.LBB4_1872:                             ;   in Loop: Header=BB4_137 Depth=3
	s_andn2_saveexec_b64 s[26:27], s[30:31]
; %bb.1873:                             ;   in Loop: Header=BB4_137 Depth=3
	v_or_b32_e32 v50, 0x7b, v51
; %bb.1874:                             ;   in Loop: Header=BB4_137 Depth=3
	s_or_b64 exec, exec, s[26:27]
                                        ; implicit-def: $vgpr2
                                        ; implicit-def: $vgpr0_vgpr1
.LBB4_1875:                             ;   in Loop: Header=BB4_137 Depth=3
	s_andn2_saveexec_b64 s[26:27], s[94:95]
	s_cbranch_execz .LBB4_1881
; %bb.1876:                             ;   in Loop: Header=BB4_137 Depth=3
	v_cmp_ne_u64_e32 vcc, 0, v[0:1]
                                        ; implicit-def: $vgpr50
	s_and_saveexec_b64 s[94:95], vcc
	s_xor_b64 s[94:95], exec, s[94:95]
; %bb.1877:                             ;   in Loop: Header=BB4_137 Depth=3
	v_or_b32_sdwa v50, v2, s47 dst_sel:DWORD dst_unused:UNUSED_PAD src0_sel:BYTE_3 src1_sel:DWORD
                                        ; implicit-def: $vgpr2
; %bb.1878:                             ;   in Loop: Header=BB4_137 Depth=3
	s_andn2_saveexec_b64 s[94:95], s[94:95]
; %bb.1879:                             ;   in Loop: Header=BB4_137 Depth=3
	v_cmp_lt_i32_e32 vcc, -1, v2
	v_bfrev_b32_e32 v0, 0.5
	v_cndmask_b32_e32 v50, v0, v52, vcc
; %bb.1880:                             ;   in Loop: Header=BB4_137 Depth=3
	s_or_b64 exec, exec, s[94:95]
.LBB4_1881:                             ;   in Loop: Header=BB4_137 Depth=3
	s_or_b64 exec, exec, s[26:27]
	v_lshrrev_b32_e32 v0, 16, v11
	v_cmp_ne_u16_sdwa s[94:95], v0, v17 src0_sel:BYTE_0 src1_sel:DWORD
	v_mov_b32_e32 v1, 0
	s_and_saveexec_b64 s[26:27], s[94:95]
	s_cbranch_execz .LBB4_1889
; %bb.1882:                             ;   in Loop: Header=BB4_137 Depth=3
	v_cmp_ne_u16_sdwa vcc, v0, s96 src0_sel:BYTE_0 src1_sel:DWORD
	v_bfrev_b32_e32 v1, 1
	s_and_saveexec_b64 s[94:95], vcc
	s_cbranch_execz .LBB4_1888
; %bb.1883:                             ;   in Loop: Header=BB4_137 Depth=3
	v_and_b32_e32 v1, 0x7c0000, v11
	v_bfe_u32 v2, v11, 16, 2
	v_cmp_ne_u32_e32 vcc, s44, v1
                                        ; implicit-def: $vgpr1
	s_and_saveexec_b64 s[30:31], vcc
	s_xor_b64 s[30:31], exec, s[30:31]
	s_cbranch_execz .LBB4_1885
; %bb.1884:                             ;   in Loop: Header=BB4_137 Depth=3
	v_ffbh_u32_e32 v1, v2
	v_min_u32_e32 v29, 32, v1
	v_subrev_u32_e32 v1, 29, v29
	v_lshlrev_b64 v[0:1], v1, v[0:1]
	v_bfe_u32 v28, v11, 18, 5
	v_and_b32_e32 v0, 3, v0
	v_cmp_eq_u32_e32 vcc, 0, v28
	v_sub_u32_e32 v1, 30, v29
	v_cndmask_b32_e32 v0, v2, v0, vcc
	v_lshlrev_b32_e32 v2, 8, v11
	v_cndmask_b32_e32 v1, v28, v1, vcc
	v_and_b32_e32 v2, 0x80000000, v2
	v_lshl_add_u32 v1, v1, 23, v2
	v_lshl_or_b32 v0, v0, 21, v1
	v_add_u32_e32 v1, 0x38000000, v0
                                        ; implicit-def: $vgpr2
                                        ; implicit-def: $vgpr0
.LBB4_1885:                             ;   in Loop: Header=BB4_137 Depth=3
	s_andn2_saveexec_b64 s[30:31], s[30:31]
; %bb.1886:                             ;   in Loop: Header=BB4_137 Depth=3
	v_mov_b32_e32 v1, -1
	v_cmp_gt_i16_sdwa vcc, sext(v0), v1 src0_sel:BYTE_0 src1_sel:DWORD
	v_mov_b32_e32 v0, 0xff800000
	v_mov_b32_e32 v1, 0x7f800000
	v_cndmask_b32_e32 v0, v0, v1, vcc
	v_cmp_eq_u32_e32 vcc, 0, v2
	v_mov_b32_e32 v1, 0x7f800001
	v_cndmask_b32_e32 v1, v1, v0, vcc
; %bb.1887:                             ;   in Loop: Header=BB4_137 Depth=3
	s_or_b64 exec, exec, s[30:31]
.LBB4_1888:                             ;   in Loop: Header=BB4_137 Depth=3
	s_or_b64 exec, exec, s[94:95]
.LBB4_1889:                             ;   in Loop: Header=BB4_137 Depth=3
	s_or_b64 exec, exec, s[26:27]
	v_mul_f32_e32 v2, v21, v1
	v_and_b32_e32 v46, 0x7f800000, v2
	v_mov_b32_e32 v47, v17
	v_cmp_ne_u64_e32 vcc, s[76:77], v[46:47]
	v_and_b32_e32 v0, 0x7fffff, v2
	v_mov_b32_e32 v1, v17
                                        ; implicit-def: $vgpr51
	s_and_saveexec_b64 s[26:27], vcc
	s_xor_b64 s[94:95], exec, s[26:27]
	s_cbranch_execz .LBB4_1903
; %bb.1890:                             ;   in Loop: Header=BB4_137 Depth=3
	v_and_b32_e32 v46, 0x7fffffff, v2
	v_mov_b32_e32 v47, v17
	v_cmp_gt_u64_e32 vcc, s[78:79], v[46:47]
	v_and_b32_sdwa v53, v2, s96 dst_sel:DWORD dst_unused:UNUSED_PAD src0_sel:BYTE_3 src1_sel:DWORD
                                        ; implicit-def: $vgpr51
	s_and_saveexec_b64 s[26:27], vcc
	s_xor_b64 s[30:31], exec, s[26:27]
	s_cbranch_execz .LBB4_1900
; %bb.1891:                             ;   in Loop: Header=BB4_137 Depth=3
	v_mov_b32_e32 v51, 0
	v_cmp_ne_u32_e32 vcc, 0, v2
	s_and_saveexec_b64 s[34:35], vcc
	s_cbranch_execz .LBB4_1899
; %bb.1892:                             ;   in Loop: Header=BB4_137 Depth=3
	v_bfe_u32 v51, v2, 23, 8
	v_cmp_gt_u32_e64 s[26:27], s46, v51
	v_sub_u32_e32 v2, 0x71, v51
	v_cmp_eq_u32_e32 vcc, 0, v51
	v_cndmask_b32_e64 v2, 0, v2, s[26:27]
	v_mov_b32_e32 v29, 0x70
	v_cndmask_b32_e32 v46, v2, v29, vcc
	v_add_u32_e32 v2, 21, v46
	v_mov_b32_e32 v5, v57
	v_or_b32_e32 v28, 0x800000, v0
	v_lshlrev_b64 v[56:57], v2, -1
	v_cndmask_b32_e32 v0, v28, v0, vcc
	v_add_u32_e32 v2, 20, v46
	v_mov_b32_e32 v60, v59
	v_mov_b32_e32 v47, v58
	v_bfi_b32 v56, v56, 0, v0
	v_lshlrev_b64 v[58:59], v2, 1
	v_lshrrev_b64 v[0:1], v46, v[0:1]
	v_bfi_b32 v57, v57, 0, 0
	v_cmp_eq_u64_e64 s[26:27], v[56:57], v[58:59]
	v_mov_b32_e32 v2, v1
	v_mov_b32_e32 v1, v0
	s_and_saveexec_b64 s[36:37], s[26:27]
; %bb.1893:                             ;   in Loop: Header=BB4_137 Depth=3
	v_bfe_u32 v1, v0, 21, 1
	v_add_co_u32_e64 v1, s[26:27], v0, v1
	v_add_co_u32_e64 v1, s[26:27], -1, v1
; %bb.1894:                             ;   in Loop: Header=BB4_137 Depth=3
	s_or_b64 exec, exec, s[36:37]
	v_add_u32_e32 v2, 0xffffff81, v51
	v_mov_b32_e32 v28, 0xffffff82
	v_cndmask_b32_e32 v2, v2, v28, vcc
	v_lshrrev_b32_e32 v28, 23, v0
	v_add3_u32 v46, v46, v2, v28
	v_add_u32_e32 v51, 14, v46
	v_and_b32_e32 v1, 0x1fffff, v1
	v_add_u32_e32 v0, v1, v0
	v_mov_b32_e32 v1, v17
	v_cmp_ne_u32_e32 vcc, 0, v51
                                        ; implicit-def: $vgpr2
	s_and_saveexec_b64 s[26:27], vcc
	s_xor_b64 s[26:27], exec, s[26:27]
; %bb.1895:                             ;   in Loop: Header=BB4_137 Depth=3
	v_cmp_lt_u64_e32 vcc, s[88:89], v[0:1]
	v_add_u32_e32 v2, 15, v46
	v_cndmask_b32_e64 v28, 0, 1, vcc
	v_lshrrev_b64 v[0:1], v28, v[0:1]
	v_cndmask_b32_e32 v2, v51, v2, vcc
; %bb.1896:                             ;   in Loop: Header=BB4_137 Depth=3
	s_or_saveexec_b64 s[26:27], s[26:27]
	v_mov_b32_e32 v58, v47
	v_mov_b32_e32 v59, v60
	v_mov_b32_e32 v57, v5
	s_xor_b64 exec, exec, s[26:27]
; %bb.1897:                             ;   in Loop: Header=BB4_137 Depth=3
	v_bfe_u32 v2, v0, 23, 1
; %bb.1898:                             ;   in Loop: Header=BB4_137 Depth=3
	s_or_b64 exec, exec, s[26:27]
	v_lshrrev_b64 v[0:1], 21, v[0:1]
	v_cmp_gt_i32_e32 vcc, 32, v2
	v_cndmask_b32_e32 v1, 0, v1, vcc
	v_cndmask_b32_e32 v0, 3, v0, vcc
	v_cmp_eq_u64_e64 s[26:27], 0, v[0:1]
	v_min_i32_e32 v1, 31, v2
	v_lshlrev_b32_e32 v1, 2, v1
	v_cmp_eq_u32_e32 vcc, 0, v2
	v_and_b32_e32 v1, 0xfc, v1
	v_and_or_b32 v0, v0, 3, v1
	s_and_b64 s[26:27], vcc, s[26:27]
	v_cndmask_b32_e64 v0, v0, 0, s[26:27]
	v_or_b32_e32 v51, v0, v53
.LBB4_1899:                             ;   in Loop: Header=BB4_137 Depth=3
	s_or_b64 exec, exec, s[34:35]
                                        ; implicit-def: $vgpr53
.LBB4_1900:                             ;   in Loop: Header=BB4_137 Depth=3
	s_andn2_saveexec_b64 s[26:27], s[30:31]
; %bb.1901:                             ;   in Loop: Header=BB4_137 Depth=3
	v_or_b32_e32 v51, 0x7b, v53
; %bb.1902:                             ;   in Loop: Header=BB4_137 Depth=3
	s_or_b64 exec, exec, s[26:27]
                                        ; implicit-def: $vgpr2
                                        ; implicit-def: $vgpr0_vgpr1
.LBB4_1903:                             ;   in Loop: Header=BB4_137 Depth=3
	s_andn2_saveexec_b64 s[26:27], s[94:95]
	s_cbranch_execz .LBB4_1909
; %bb.1904:                             ;   in Loop: Header=BB4_137 Depth=3
	v_cmp_ne_u64_e32 vcc, 0, v[0:1]
                                        ; implicit-def: $vgpr51
	s_and_saveexec_b64 s[94:95], vcc
	s_xor_b64 s[94:95], exec, s[94:95]
; %bb.1905:                             ;   in Loop: Header=BB4_137 Depth=3
	v_or_b32_sdwa v51, v2, s47 dst_sel:DWORD dst_unused:UNUSED_PAD src0_sel:BYTE_3 src1_sel:DWORD
                                        ; implicit-def: $vgpr2
; %bb.1906:                             ;   in Loop: Header=BB4_137 Depth=3
	s_andn2_saveexec_b64 s[94:95], s[94:95]
; %bb.1907:                             ;   in Loop: Header=BB4_137 Depth=3
	v_cmp_lt_i32_e32 vcc, -1, v2
	v_bfrev_b32_e32 v0, 0.5
	v_cndmask_b32_e32 v51, v0, v52, vcc
; %bb.1908:                             ;   in Loop: Header=BB4_137 Depth=3
	s_or_b64 exec, exec, s[94:95]
.LBB4_1909:                             ;   in Loop: Header=BB4_137 Depth=3
	s_or_b64 exec, exec, s[26:27]
	v_cmp_lt_u64_e32 vcc, s[56:57], v[10:11]
	v_mov_b32_e32 v1, 0
	s_and_saveexec_b64 s[26:27], vcc
	s_cbranch_execz .LBB4_1917
; %bb.1910:                             ;   in Loop: Header=BB4_137 Depth=3
	v_lshrrev_b32_e32 v0, 24, v11
	v_cmp_ne_u32_e32 vcc, s96, v0
	v_bfrev_b32_e32 v1, 1
	s_and_saveexec_b64 s[94:95], vcc
	s_cbranch_execz .LBB4_1916
; %bb.1911:                             ;   in Loop: Header=BB4_137 Depth=3
	v_and_b32_e32 v1, 0x7c000000, v11
	v_bfe_u32 v2, v11, 24, 2
	v_cmp_ne_u32_e32 vcc, s45, v1
                                        ; implicit-def: $vgpr1
	s_and_saveexec_b64 s[30:31], vcc
	s_xor_b64 s[30:31], exec, s[30:31]
	s_cbranch_execz .LBB4_1913
; %bb.1912:                             ;   in Loop: Header=BB4_137 Depth=3
	v_ffbh_u32_e32 v1, v2
	v_min_u32_e32 v28, 32, v1
	v_subrev_u32_e32 v1, 29, v28
	v_lshlrev_b64 v[0:1], v1, v[0:1]
	v_bfe_u32 v10, v11, 26, 5
	v_sub_u32_e32 v1, 30, v28
	v_and_b32_e32 v0, 3, v0
	v_cmp_eq_u32_e32 vcc, 0, v10
	v_cndmask_b32_e32 v1, v10, v1, vcc
	v_cndmask_b32_e32 v0, v2, v0, vcc
	v_and_b32_e32 v2, 0x80000000, v11
	v_lshl_add_u32 v1, v1, 23, v2
	v_lshl_or_b32 v0, v0, 21, v1
	v_add_u32_e32 v1, 0x38000000, v0
                                        ; implicit-def: $vgpr2
                                        ; implicit-def: $vgpr10_vgpr11
.LBB4_1913:                             ;   in Loop: Header=BB4_137 Depth=3
	s_andn2_saveexec_b64 s[30:31], s[30:31]
; %bb.1914:                             ;   in Loop: Header=BB4_137 Depth=3
	v_cmp_lt_i64_e32 vcc, -1, v[10:11]
	v_mov_b32_e32 v0, 0xff800000
	v_mov_b32_e32 v1, 0x7f800000
	v_cndmask_b32_e32 v0, v0, v1, vcc
	v_cmp_eq_u32_e32 vcc, 0, v2
	v_mov_b32_e32 v1, 0x7f800001
	v_cndmask_b32_e32 v1, v1, v0, vcc
; %bb.1915:                             ;   in Loop: Header=BB4_137 Depth=3
	s_or_b64 exec, exec, s[30:31]
.LBB4_1916:                             ;   in Loop: Header=BB4_137 Depth=3
	s_or_b64 exec, exec, s[94:95]
.LBB4_1917:                             ;   in Loop: Header=BB4_137 Depth=3
	s_or_b64 exec, exec, s[26:27]
	v_mul_f32_e32 v11, v21, v1
	v_and_b32_e32 v1, 0x7f800000, v11
	v_mov_b32_e32 v2, v17
	v_cmp_ne_u64_e32 vcc, s[76:77], v[1:2]
	v_and_b32_e32 v0, 0x7fffff, v11
	v_mov_b32_e32 v1, v17
                                        ; implicit-def: $vgpr2
	s_and_saveexec_b64 s[26:27], vcc
	s_xor_b64 s[94:95], exec, s[26:27]
	s_cbranch_execz .LBB4_1931
; %bb.1918:                             ;   in Loop: Header=BB4_137 Depth=3
	v_and_b32_e32 v46, 0x7fffffff, v11
	v_mov_b32_e32 v47, v17
	v_cmp_gt_u64_e32 vcc, s[78:79], v[46:47]
	v_and_b32_sdwa v10, v11, s96 dst_sel:DWORD dst_unused:UNUSED_PAD src0_sel:BYTE_3 src1_sel:DWORD
                                        ; implicit-def: $vgpr2
	s_and_saveexec_b64 s[26:27], vcc
	s_xor_b64 s[30:31], exec, s[26:27]
	s_cbranch_execz .LBB4_1928
; %bb.1919:                             ;   in Loop: Header=BB4_137 Depth=3
	v_mov_b32_e32 v2, 0
	v_cmp_ne_u32_e32 vcc, 0, v11
	s_and_saveexec_b64 s[34:35], vcc
	s_cbranch_execz .LBB4_1927
; %bb.1920:                             ;   in Loop: Header=BB4_137 Depth=3
	v_bfe_u32 v11, v11, 23, 8
	v_cmp_gt_u32_e64 s[26:27], s46, v11
	v_sub_u32_e32 v2, 0x71, v11
	v_cmp_eq_u32_e32 vcc, 0, v11
	v_cndmask_b32_e64 v2, 0, v2, s[26:27]
	v_mov_b32_e32 v21, 0x70
	v_cndmask_b32_e32 v21, v2, v21, vcc
	v_add_u32_e32 v2, 21, v21
	v_or_b32_e32 v28, 0x800000, v0
	v_lshlrev_b64 v[46:47], v2, -1
	v_cndmask_b32_e32 v0, v28, v0, vcc
	v_add_u32_e32 v2, 20, v21
	v_mov_b32_e32 v5, v57
	v_bfi_b32 v46, v46, 0, v0
	v_lshlrev_b64 v[56:57], v2, 1
	v_lshrrev_b64 v[0:1], v21, v[0:1]
	v_bfi_b32 v47, v47, 0, 0
	v_cmp_eq_u64_e64 s[26:27], v[46:47], v[56:57]
	v_mov_b32_e32 v2, v1
	v_mov_b32_e32 v1, v0
	s_and_saveexec_b64 s[36:37], s[26:27]
; %bb.1921:                             ;   in Loop: Header=BB4_137 Depth=3
	v_bfe_u32 v1, v0, 21, 1
	v_add_co_u32_e64 v1, s[26:27], v0, v1
	v_add_co_u32_e64 v1, s[26:27], -1, v1
; %bb.1922:                             ;   in Loop: Header=BB4_137 Depth=3
	s_or_b64 exec, exec, s[36:37]
	v_add_u32_e32 v2, 0xffffff81, v11
	v_mov_b32_e32 v11, 0xffffff82
	v_cndmask_b32_e32 v2, v2, v11, vcc
	v_lshrrev_b32_e32 v11, 23, v0
	v_add3_u32 v21, v21, v2, v11
	v_add_u32_e32 v11, 14, v21
	v_and_b32_e32 v1, 0x1fffff, v1
	v_add_u32_e32 v0, v1, v0
	v_mov_b32_e32 v1, v17
	v_cmp_ne_u32_e32 vcc, 0, v11
                                        ; implicit-def: $vgpr2
	s_and_saveexec_b64 s[26:27], vcc
	s_xor_b64 s[26:27], exec, s[26:27]
; %bb.1923:                             ;   in Loop: Header=BB4_137 Depth=3
	v_cmp_lt_u64_e32 vcc, s[88:89], v[0:1]
	v_add_u32_e32 v2, 15, v21
	v_cndmask_b32_e32 v2, v11, v2, vcc
	v_cndmask_b32_e64 v11, 0, 1, vcc
	v_lshrrev_b64 v[0:1], v11, v[0:1]
; %bb.1924:                             ;   in Loop: Header=BB4_137 Depth=3
	s_or_saveexec_b64 s[26:27], s[26:27]
	v_mov_b32_e32 v57, v5
	s_xor_b64 exec, exec, s[26:27]
; %bb.1925:                             ;   in Loop: Header=BB4_137 Depth=3
	v_bfe_u32 v2, v0, 23, 1
; %bb.1926:                             ;   in Loop: Header=BB4_137 Depth=3
	s_or_b64 exec, exec, s[26:27]
	v_lshrrev_b64 v[0:1], 21, v[0:1]
	v_cmp_gt_i32_e32 vcc, 32, v2
	v_cndmask_b32_e32 v1, 0, v1, vcc
	v_cndmask_b32_e32 v0, 3, v0, vcc
	v_cmp_eq_u64_e64 s[26:27], 0, v[0:1]
	v_min_i32_e32 v1, 31, v2
	v_lshlrev_b32_e32 v1, 2, v1
	v_cmp_eq_u32_e32 vcc, 0, v2
	v_and_b32_e32 v1, 0xfc, v1
	v_and_or_b32 v0, v0, 3, v1
	s_and_b64 s[26:27], vcc, s[26:27]
	v_cndmask_b32_e64 v0, v0, 0, s[26:27]
	v_or_b32_e32 v2, v0, v10
.LBB4_1927:                             ;   in Loop: Header=BB4_137 Depth=3
	s_or_b64 exec, exec, s[34:35]
                                        ; implicit-def: $vgpr10
.LBB4_1928:                             ;   in Loop: Header=BB4_137 Depth=3
	s_andn2_saveexec_b64 s[26:27], s[30:31]
; %bb.1929:                             ;   in Loop: Header=BB4_137 Depth=3
	v_or_b32_e32 v2, 0x7b, v10
; %bb.1930:                             ;   in Loop: Header=BB4_137 Depth=3
	s_or_b64 exec, exec, s[26:27]
                                        ; implicit-def: $vgpr11
                                        ; implicit-def: $vgpr0_vgpr1
.LBB4_1931:                             ;   in Loop: Header=BB4_137 Depth=3
	s_andn2_saveexec_b64 s[26:27], s[94:95]
	s_cbranch_execz .LBB4_136
; %bb.1932:                             ;   in Loop: Header=BB4_137 Depth=3
	v_cmp_ne_u64_e32 vcc, 0, v[0:1]
                                        ; implicit-def: $vgpr2
	s_and_saveexec_b64 s[94:95], vcc
	s_xor_b64 s[94:95], exec, s[94:95]
; %bb.1933:                             ;   in Loop: Header=BB4_137 Depth=3
	v_or_b32_sdwa v2, v11, s47 dst_sel:DWORD dst_unused:UNUSED_PAD src0_sel:BYTE_3 src1_sel:DWORD
                                        ; implicit-def: $vgpr11
; %bb.1934:                             ;   in Loop: Header=BB4_137 Depth=3
	s_andn2_saveexec_b64 s[94:95], s[94:95]
	s_cbranch_execz .LBB4_135
; %bb.1935:                             ;   in Loop: Header=BB4_137 Depth=3
	v_cmp_lt_i32_e32 vcc, -1, v11
	v_bfrev_b32_e32 v0, 0.5
	v_cndmask_b32_e32 v2, v0, v52, vcc
	s_branch .LBB4_135
.LBB4_1936:                             ;   in Loop: Header=BB4_57 Depth=2
	s_or_b64 exec, exec, s[28:29]
	buffer_load_dword v50, off, s[0:3], s33 offset:388 ; 4-byte Folded Reload
	buffer_load_dword v0, off, s[0:3], s33 offset:372 ; 4-byte Folded Reload
	;; [unrolled: 1-line block ×7, first 2 shown]
	s_waitcnt vmcnt(5)
	v_mov_b32_e32 v53, v0
.LBB4_1937:                             ;   in Loop: Header=BB4_57 Depth=2
	s_or_b64 exec, exec, s[40:41]
	s_waitcnt vmcnt(0)
	v_lshlrev_b32_e32 v5, 12, v1
	v_cmp_ne_u32_e32 vcc, v51, v5
	s_mov_b64 s[26:27], 0
	v_mov_b32_e32 v8, 0
                                        ; implicit-def: $vgpr9
                                        ; implicit-def: $vgpr10
	s_and_saveexec_b64 s[94:95], vcc
	s_cbranch_execz .LBB4_2399
; %bb.1938:                             ;   in Loop: Header=BB4_57 Depth=2
	buffer_load_dword v2, off, s[0:3], s33 offset:340 ; 4-byte Folded Reload
	v_lshlrev_b32_e32 v0, 6, v4
	v_sub_u32_e32 v1, v51, v5
	s_waitcnt vmcnt(0)
	v_sub_u32_e32 v0, v2, v0
	v_ashrrev_i32_e32 v2, 31, v0
	v_lshrrev_b32_e32 v2, 26, v2
	v_add_u32_e32 v2, v0, v2
	v_ashrrev_i32_e32 v3, 6, v2
	v_and_b32_e32 v2, 0xffffffc0, v2
	v_sub_u32_e32 v4, v0, v2
	v_ashrrev_i32_e32 v2, 31, v1
	v_lshrrev_b32_e32 v2, 22, v2
	v_add_u32_e32 v2, v1, v2
	v_and_b32_e32 v12, 0xfffffc00, v2
	v_lshlrev_b32_e32 v0, 4, v4
	v_sub_u32_e32 v13, v1, v12
	v_lshl_add_u32 v0, v3, 10, v0
	v_ashrrev_i32_e32 v8, 10, v2
	v_cmp_lt_i32_e64 s[26:27], 15, v13
	v_sub_u32_e32 v15, v1, v0
	v_addc_co_u32_e64 v1, vcc, 0, v8, s[26:27]
	v_sub_u32_e32 v14, v1, v3
	v_cmp_lt_i32_e32 vcc, 15, v15
	s_and_saveexec_b64 s[30:31], vcc
	s_cbranch_execz .LBB4_2398
; %bb.1939:                             ;   in Loop: Header=BB4_57 Depth=2
	s_trap 2
	ds_read_b64 v[1:2], v0
	v_add_u32_e32 v16, v0, v5
	v_ashrrev_i32_e32 v19, 31, v16
	s_waitcnt lgkmcnt(0)
	v_readfirstlane_b32 s40, v1
	s_bfe_i32 s34, s40, 0x80000
	s_and_b32 s41, s40, 3
	s_bfe_u32 s28, s40, 0x50002
	s_and_b32 s29, s40, 0x7c
	s_cmpk_eq_i32 s29, 0x7c
	s_flbit_i32_b32 s29, s41
	s_cselect_b64 vcc, -1, 0
	s_min_u32 s29, s29, 32
	s_sub_i32 s35, s29, 29
	v_lshlrev_b64 v[0:1], s35, v[1:2]
	s_sub_i32 s29, 30, s29
	s_cmp_eq_u32 s28, 0
	v_and_b32_e32 v0, 3, v0
	s_cselect_b32 s35, s29, s28
	v_mov_b32_e32 v1, s41
	s_cselect_b64 s[28:29], -1, 0
	v_cndmask_b32_e64 v0, v1, v0, s[28:29]
	s_lshl_b32 s28, s40, 24
	s_and_b32 s28, s28, 0x80000000
	s_lshl_b32 s29, s35, 23
	s_add_i32 s29, s29, s28
	v_lshlrev_b32_e32 v0, 21, v0
	s_cmp_eq_u32 s41, 0
	s_sext_i32_i8 s40, s40
	v_or_b32_e32 v0, s29, v0
	s_cselect_b64 s[28:29], -1, 0
	s_cmp_gt_i32 s40, -1
	s_cselect_b64 s[40:41], -1, 0
	v_mov_b32_e32 v1, 0xff800000
	v_mov_b32_e32 v2, 0x7f800000
	v_cndmask_b32_e64 v1, v1, v2, s[40:41]
	v_mov_b32_e32 v2, 0x7f800001
	v_add_u32_e32 v0, 0x38000000, v0
	v_cndmask_b32_e64 v1, v2, v1, s[28:29]
	v_cndmask_b32_e32 v20, v0, v1, vcc
	s_mov_b64 s[40:41], 0
	s_and_b32 s50, s34, 0xff
	s_branch .LBB4_1942
.LBB4_1940:                             ;   in Loop: Header=BB4_1942 Depth=3
	s_or_b64 exec, exec, s[34:35]
.LBB4_1941:                             ;   in Loop: Header=BB4_1942 Depth=3
	s_or_b64 exec, exec, s[28:29]
	v_lshl_or_b32 v10, v27, 8, v26
	v_lshlrev_b32_e32 v11, 16, v30
	v_lshlrev_b32_e32 v8, 24, v8
	v_or3_b32 v22, v10, v11, v8
	v_lshl_or_b32 v8, v23, 8, v21
	v_lshlrev_b32_e32 v10, 16, v24
	v_lshlrev_b32_e32 v11, 24, v25
	v_or3_b32 v21, v8, v10, v11
	v_lshl_or_b32 v8, v31, 8, v9
	v_lshlrev_b32_e32 v9, 16, v32
	v_lshlrev_b32_e32 v10, 24, v33
	v_add_co_u32_e32 v0, vcc, v54, v16
	v_or3_b32 v23, v8, v9, v10
	v_lshlrev_b32_e32 v2, 24, v2
	v_lshlrev_b32_e32 v8, 16, v35
	v_lshl_or_b32 v3, v34, 8, v3
	v_addc_co_u32_e32 v1, vcc, v55, v19, vcc
	v_or3_b32 v24, v3, v8, v2
	global_store_dwordx4 v[0:1], v[21:24], off glc slc
	buffer_load_dword v1, off, s[0:3], s33 offset:96 ; 4-byte Folded Reload
	s_nop 0
	buffer_load_dword v0, off, s[0:3], s33 offset:92 ; 4-byte Folded Reload
	s_waitcnt vmcnt(1)
	v_sub_u32_e32 v15, v15, v1
	v_cmp_gt_i32_e32 vcc, 16, v15
	s_or_b64 s[40:41], vcc, s[40:41]
	v_add_co_u32_e32 v16, vcc, v16, v1
	s_waitcnt vmcnt(0)
	v_sub_u32_e32 v14, v14, v0
	v_addc_co_u32_e32 v19, vcc, 0, v19, vcc
	s_andn2_b64 exec, exec, s[40:41]
	s_cbranch_execz .LBB4_2397
.LBB4_1942:                             ;   Parent Loop BB4_47 Depth=1
                                        ;     Parent Loop BB4_57 Depth=2
                                        ; =>    This Inner Loop Header: Depth=3
	s_cmpk_lt_i32 s50, 0x80
	s_cbranch_scc1 .LBB4_1946
; %bb.1943:                             ;   in Loop: Header=BB4_1942 Depth=3
	s_and_b32 vcc_lo, 0xffff, s50
	s_mov_b64 s[28:29], -1
	s_cmpk_eq_i32 vcc_lo, 0x80
	s_cbranch_scc0 .LBB4_1945
; %bb.1944:                             ;   in Loop: Header=BB4_1942 Depth=3
	s_mov_b64 s[28:29], 0
.LBB4_1945:                             ;   in Loop: Header=BB4_1942 Depth=3
	s_brev_b32 s34, 1
	s_branch .LBB4_1948
.LBB4_1946:                             ;   in Loop: Header=BB4_1942 Depth=3
	s_mov_b64 s[28:29], 0
	s_brev_b32 s34, 1
	s_cbranch_execz .LBB4_1948
; %bb.1947:                             ;   in Loop: Header=BB4_1942 Depth=3
	s_and_b32 s28, 0xffff, s50
	s_cmp_lg_u32 s28, 0
	s_mov_b32 s34, 0
	s_cselect_b64 s[28:29], -1, 0
.LBB4_1948:                             ;   in Loop: Header=BB4_1942 Depth=3
	s_andn2_b64 vcc, exec, s[28:29]
	v_mov_b32_e32 v22, s34
	s_cbranch_vccnz .LBB4_1950
; %bb.1949:                             ;   in Loop: Header=BB4_1942 Depth=3
	v_mov_b32_e32 v22, v20
.LBB4_1950:                             ;   in Loop: Header=BB4_1942 Depth=3
	v_add_co_u32_e32 v0, vcc, v6, v16
	v_addc_co_u32_e32 v1, vcc, v7, v19, vcc
	global_load_dwordx4 v[8:11], v[0:1], off glc slc
	v_mov_b32_e32 v0, 0
	s_waitcnt vmcnt(0)
	v_cmp_ne_u16_sdwa vcc, v8, v17 src0_sel:BYTE_0 src1_sel:DWORD
	s_and_saveexec_b64 s[28:29], vcc
	s_cbranch_execz .LBB4_1958
; %bb.1951:                             ;   in Loop: Header=BB4_1942 Depth=3
	v_cmp_ne_u16_sdwa vcc, sext(v8), s97 src0_sel:BYTE_0 src1_sel:DWORD
	v_bfrev_b32_e32 v0, 1
	s_and_saveexec_b64 s[34:35], vcc
	s_cbranch_execz .LBB4_1957
; %bb.1952:                             ;   in Loop: Header=BB4_1942 Depth=3
	v_and_b32_e32 v0, 0x7c, v8
	v_and_b32_e32 v1, 3, v8
	v_cmp_ne_u32_e32 vcc, s85, v0
                                        ; implicit-def: $vgpr0
	s_and_saveexec_b64 s[36:37], vcc
	s_xor_b64 s[36:37], exec, s[36:37]
	s_cbranch_execz .LBB4_1954
; %bb.1953:                             ;   in Loop: Header=BB4_1942 Depth=3
	v_ffbh_u32_e32 v2, v1
	v_min_u32_e32 v21, 32, v2
	v_subrev_u32_e32 v2, 29, v21
	v_lshlrev_b64 v[2:3], v2, v[8:9]
	v_bfe_u32 v0, v8, 2, 5
	v_and_b32_e32 v2, 3, v2
	v_cmp_eq_u32_e32 vcc, 0, v0
	v_sub_u32_e32 v3, 30, v21
	v_cndmask_b32_e32 v1, v1, v2, vcc
	v_lshlrev_b32_e32 v2, 24, v8
	v_cndmask_b32_e32 v0, v0, v3, vcc
	v_and_b32_e32 v2, 0x80000000, v2
	v_lshl_add_u32 v0, v0, 23, v2
	v_lshl_or_b32 v0, v1, 21, v0
	v_add_u32_e32 v0, 0x38000000, v0
                                        ; implicit-def: $vgpr1
.LBB4_1954:                             ;   in Loop: Header=BB4_1942 Depth=3
	s_andn2_saveexec_b64 s[36:37], s[36:37]
; %bb.1955:                             ;   in Loop: Header=BB4_1942 Depth=3
	v_mov_b32_e32 v0, -1
	v_cmp_gt_i16_sdwa vcc, sext(v8), v0 src0_sel:BYTE_0 src1_sel:DWORD
	v_mov_b32_e32 v0, 0xff800000
	v_mov_b32_e32 v2, 0x7f800000
	v_cndmask_b32_e32 v0, v0, v2, vcc
	v_cmp_eq_u32_e32 vcc, 0, v1
	v_mov_b32_e32 v1, 0x7f800001
	v_cndmask_b32_e32 v0, v1, v0, vcc
; %bb.1956:                             ;   in Loop: Header=BB4_1942 Depth=3
	s_or_b64 exec, exec, s[36:37]
.LBB4_1957:                             ;   in Loop: Header=BB4_1942 Depth=3
	s_or_b64 exec, exec, s[34:35]
.LBB4_1958:                             ;   in Loop: Header=BB4_1942 Depth=3
	s_or_b64 exec, exec, s[28:29]
	v_mul_f32_e32 v2, v22, v0
	v_and_b32_e32 v23, 0x7f800000, v2
	v_mov_b32_e32 v24, v17
	v_cmp_ne_u64_e32 vcc, s[76:77], v[23:24]
	v_and_b32_e32 v0, 0x7fffff, v2
	v_mov_b32_e32 v1, v17
                                        ; implicit-def: $vgpr21
	s_and_saveexec_b64 s[28:29], vcc
	s_xor_b64 s[34:35], exec, s[28:29]
	s_cbranch_execz .LBB4_1972
; %bb.1959:                             ;   in Loop: Header=BB4_1942 Depth=3
	v_and_b32_e32 v23, 0x7fffffff, v2
	v_mov_b32_e32 v24, v17
	v_cmp_gt_u64_e32 vcc, s[78:79], v[23:24]
	v_and_b32_sdwa v3, v2, s96 dst_sel:DWORD dst_unused:UNUSED_PAD src0_sel:BYTE_3 src1_sel:DWORD
                                        ; implicit-def: $vgpr21
	s_and_saveexec_b64 s[28:29], vcc
	s_xor_b64 s[36:37], exec, s[28:29]
	s_cbranch_execz .LBB4_1969
; %bb.1960:                             ;   in Loop: Header=BB4_1942 Depth=3
	v_mov_b32_e32 v21, 0
	v_cmp_ne_u32_e32 vcc, 0, v2
	s_and_saveexec_b64 s[38:39], vcc
	s_cbranch_execz .LBB4_1968
; %bb.1961:                             ;   in Loop: Header=BB4_1942 Depth=3
	v_bfe_u32 v21, v2, 23, 8
	v_cmp_gt_u32_e64 s[28:29], s46, v21
	v_sub_u32_e32 v2, 0x71, v21
	v_cmp_eq_u32_e32 vcc, 0, v21
	v_cndmask_b32_e64 v2, 0, v2, s[28:29]
	v_mov_b32_e32 v23, 0x70
	v_cndmask_b32_e32 v23, v2, v23, vcc
	v_or_b32_e32 v24, 0x800000, v0
	v_add_u32_e32 v2, 21, v23
	v_cndmask_b32_e32 v0, v24, v0, vcc
	v_lshlrev_b64 v[24:25], v2, -1
	v_add_u32_e32 v2, 20, v23
	v_bfi_b32 v24, v24, 0, v0
	v_lshlrev_b64 v[26:27], v2, 1
	v_lshrrev_b64 v[0:1], v23, v[0:1]
	v_bfi_b32 v25, v25, 0, 0
	v_cmp_eq_u64_e64 s[28:29], v[24:25], v[26:27]
	v_mov_b32_e32 v2, v1
	v_mov_b32_e32 v1, v0
	s_and_saveexec_b64 s[48:49], s[28:29]
; %bb.1962:                             ;   in Loop: Header=BB4_1942 Depth=3
	v_bfe_u32 v1, v0, 21, 1
	v_add_co_u32_e64 v1, s[28:29], v0, v1
	v_add_co_u32_e64 v1, s[28:29], -1, v1
; %bb.1963:                             ;   in Loop: Header=BB4_1942 Depth=3
	s_or_b64 exec, exec, s[48:49]
	v_add_u32_e32 v2, 0xffffff81, v21
	v_mov_b32_e32 v21, 0xffffff82
	v_cndmask_b32_e32 v2, v2, v21, vcc
	v_lshrrev_b32_e32 v21, 23, v0
	v_add3_u32 v23, v23, v2, v21
	v_add_u32_e32 v21, 14, v23
	v_and_b32_e32 v1, 0x1fffff, v1
	v_add_u32_e32 v0, v1, v0
	v_mov_b32_e32 v1, v17
	v_cmp_ne_u32_e32 vcc, 0, v21
                                        ; implicit-def: $vgpr2
	s_and_saveexec_b64 s[28:29], vcc
	s_xor_b64 s[28:29], exec, s[28:29]
; %bb.1964:                             ;   in Loop: Header=BB4_1942 Depth=3
	v_cmp_lt_u64_e32 vcc, s[88:89], v[0:1]
	v_add_u32_e32 v2, 15, v23
	v_cndmask_b32_e32 v2, v21, v2, vcc
	v_cndmask_b32_e64 v21, 0, 1, vcc
	v_lshrrev_b64 v[0:1], v21, v[0:1]
; %bb.1965:                             ;   in Loop: Header=BB4_1942 Depth=3
	s_andn2_saveexec_b64 s[28:29], s[28:29]
; %bb.1966:                             ;   in Loop: Header=BB4_1942 Depth=3
	v_bfe_u32 v2, v0, 23, 1
; %bb.1967:                             ;   in Loop: Header=BB4_1942 Depth=3
	s_or_b64 exec, exec, s[28:29]
	v_lshrrev_b64 v[0:1], 21, v[0:1]
	v_cmp_gt_i32_e32 vcc, 32, v2
	v_cndmask_b32_e32 v1, 0, v1, vcc
	v_cndmask_b32_e32 v0, 3, v0, vcc
	v_cmp_eq_u64_e64 s[28:29], 0, v[0:1]
	v_min_i32_e32 v1, 31, v2
	v_lshlrev_b32_e32 v1, 2, v1
	v_cmp_eq_u32_e32 vcc, 0, v2
	v_and_b32_e32 v1, 0xfc, v1
	v_and_or_b32 v0, v0, 3, v1
	s_and_b64 s[28:29], vcc, s[28:29]
	v_cndmask_b32_e64 v0, v0, 0, s[28:29]
	v_or_b32_e32 v21, v0, v3
.LBB4_1968:                             ;   in Loop: Header=BB4_1942 Depth=3
	s_or_b64 exec, exec, s[38:39]
                                        ; implicit-def: $vgpr3
.LBB4_1969:                             ;   in Loop: Header=BB4_1942 Depth=3
	s_andn2_saveexec_b64 s[28:29], s[36:37]
; %bb.1970:                             ;   in Loop: Header=BB4_1942 Depth=3
	v_or_b32_e32 v21, 0x7b, v3
; %bb.1971:                             ;   in Loop: Header=BB4_1942 Depth=3
	s_or_b64 exec, exec, s[28:29]
                                        ; implicit-def: $vgpr2
                                        ; implicit-def: $vgpr0_vgpr1
.LBB4_1972:                             ;   in Loop: Header=BB4_1942 Depth=3
	s_andn2_saveexec_b64 s[28:29], s[34:35]
	s_cbranch_execz .LBB4_1978
; %bb.1973:                             ;   in Loop: Header=BB4_1942 Depth=3
	v_cmp_ne_u64_e32 vcc, 0, v[0:1]
                                        ; implicit-def: $vgpr21
	s_and_saveexec_b64 s[34:35], vcc
	s_xor_b64 vcc, exec, s[34:35]
; %bb.1974:                             ;   in Loop: Header=BB4_1942 Depth=3
	v_or_b32_sdwa v21, v2, s47 dst_sel:DWORD dst_unused:UNUSED_PAD src0_sel:BYTE_3 src1_sel:DWORD
                                        ; implicit-def: $vgpr2
; %bb.1975:                             ;   in Loop: Header=BB4_1942 Depth=3
	s_andn2_saveexec_b64 s[34:35], vcc
; %bb.1976:                             ;   in Loop: Header=BB4_1942 Depth=3
	v_cmp_lt_i32_e32 vcc, -1, v2
	v_bfrev_b32_e32 v0, 0.5
	v_cndmask_b32_e32 v21, v0, v52, vcc
; %bb.1977:                             ;   in Loop: Header=BB4_1942 Depth=3
	s_or_b64 exec, exec, s[34:35]
.LBB4_1978:                             ;   in Loop: Header=BB4_1942 Depth=3
	s_or_b64 exec, exec, s[28:29]
	v_lshrrev_b16_e32 v0, 8, v8
	v_cmp_ne_u16_e32 vcc, 0, v0
	v_mov_b32_e32 v1, 0
	s_and_saveexec_b64 s[28:29], vcc
	s_cbranch_execz .LBB4_1986
; %bb.1979:                             ;   in Loop: Header=BB4_1942 Depth=3
	v_cmp_ne_u16_e32 vcc, s96, v0
	v_bfrev_b32_e32 v1, 1
	s_and_saveexec_b64 s[34:35], vcc
	s_cbranch_execz .LBB4_1985
; %bb.1980:                             ;   in Loop: Header=BB4_1942 Depth=3
	v_and_b32_e32 v1, 0x7c, v0
	v_and_b32_e32 v2, 3, v0
	v_cmp_ne_u32_e32 vcc, s85, v1
                                        ; implicit-def: $vgpr1
	s_and_saveexec_b64 s[36:37], vcc
	s_xor_b64 s[36:37], exec, s[36:37]
	s_cbranch_execz .LBB4_1982
; %bb.1981:                             ;   in Loop: Header=BB4_1942 Depth=3
	v_ffbh_u32_e32 v23, v2
	v_min_u32_e32 v23, 32, v23
	v_mov_b32_e32 v1, v17
	v_subrev_u32_e32 v24, 29, v23
	v_bfe_u32 v3, v0, 2, 5
	v_lshlrev_b64 v[0:1], v24, v[0:1]
	v_cmp_eq_u32_e32 vcc, 0, v3
	v_and_b32_e32 v0, 3, v0
	v_sub_u32_e32 v1, 30, v23
	v_cndmask_b32_e32 v0, v2, v0, vcc
	v_lshlrev_b32_e32 v2, 16, v8
	v_cndmask_b32_e32 v1, v3, v1, vcc
	v_and_b32_e32 v2, 0x80000000, v2
	v_lshl_add_u32 v1, v1, 23, v2
	v_lshl_or_b32 v0, v0, 21, v1
	v_add_u32_e32 v1, 0x38000000, v0
                                        ; implicit-def: $vgpr2
.LBB4_1982:                             ;   in Loop: Header=BB4_1942 Depth=3
	s_andn2_saveexec_b64 s[36:37], s[36:37]
; %bb.1983:                             ;   in Loop: Header=BB4_1942 Depth=3
	v_cmp_lt_i16_e32 vcc, -1, v8
	v_mov_b32_e32 v0, 0xff800000
	v_mov_b32_e32 v1, 0x7f800000
	v_cndmask_b32_e32 v0, v0, v1, vcc
	v_cmp_eq_u32_e32 vcc, 0, v2
	v_mov_b32_e32 v1, 0x7f800001
	v_cndmask_b32_e32 v1, v1, v0, vcc
; %bb.1984:                             ;   in Loop: Header=BB4_1942 Depth=3
	s_or_b64 exec, exec, s[36:37]
.LBB4_1985:                             ;   in Loop: Header=BB4_1942 Depth=3
	s_or_b64 exec, exec, s[34:35]
.LBB4_1986:                             ;   in Loop: Header=BB4_1942 Depth=3
	s_or_b64 exec, exec, s[28:29]
	v_mul_f32_e32 v2, v22, v1
	v_and_b32_e32 v23, 0x7f800000, v2
	v_mov_b32_e32 v24, v17
	v_cmp_ne_u64_e32 vcc, s[76:77], v[23:24]
	v_and_b32_e32 v0, 0x7fffff, v2
	v_mov_b32_e32 v1, v17
                                        ; implicit-def: $vgpr23
	s_and_saveexec_b64 s[28:29], vcc
	s_xor_b64 s[34:35], exec, s[28:29]
	s_cbranch_execz .LBB4_2000
; %bb.1987:                             ;   in Loop: Header=BB4_1942 Depth=3
	v_and_b32_e32 v23, 0x7fffffff, v2
	v_mov_b32_e32 v24, v17
	v_cmp_gt_u64_e32 vcc, s[78:79], v[23:24]
	v_and_b32_sdwa v3, v2, s96 dst_sel:DWORD dst_unused:UNUSED_PAD src0_sel:BYTE_3 src1_sel:DWORD
                                        ; implicit-def: $vgpr23
	s_and_saveexec_b64 s[28:29], vcc
	s_xor_b64 s[36:37], exec, s[28:29]
	s_cbranch_execz .LBB4_1997
; %bb.1988:                             ;   in Loop: Header=BB4_1942 Depth=3
	v_mov_b32_e32 v23, 0
	v_cmp_ne_u32_e32 vcc, 0, v2
	s_and_saveexec_b64 s[38:39], vcc
	s_cbranch_execz .LBB4_1996
; %bb.1989:                             ;   in Loop: Header=BB4_1942 Depth=3
	v_bfe_u32 v23, v2, 23, 8
	v_cmp_gt_u32_e64 s[28:29], s46, v23
	v_sub_u32_e32 v2, 0x71, v23
	v_cmp_eq_u32_e32 vcc, 0, v23
	v_cndmask_b32_e64 v2, 0, v2, s[28:29]
	v_mov_b32_e32 v24, 0x70
	v_cndmask_b32_e32 v24, v2, v24, vcc
	v_or_b32_e32 v25, 0x800000, v0
	v_add_u32_e32 v2, 21, v24
	v_cndmask_b32_e32 v0, v25, v0, vcc
	v_lshlrev_b64 v[25:26], v2, -1
	v_add_u32_e32 v2, 20, v24
	v_bfi_b32 v25, v25, 0, v0
	v_lshlrev_b64 v[30:31], v2, 1
	v_lshrrev_b64 v[0:1], v24, v[0:1]
	v_bfi_b32 v26, v26, 0, 0
	v_cmp_eq_u64_e64 s[28:29], v[25:26], v[30:31]
	v_mov_b32_e32 v2, v1
	v_mov_b32_e32 v1, v0
	s_and_saveexec_b64 s[48:49], s[28:29]
; %bb.1990:                             ;   in Loop: Header=BB4_1942 Depth=3
	v_bfe_u32 v1, v0, 21, 1
	v_add_co_u32_e64 v1, s[28:29], v0, v1
	v_add_co_u32_e64 v1, s[28:29], -1, v1
; %bb.1991:                             ;   in Loop: Header=BB4_1942 Depth=3
	s_or_b64 exec, exec, s[48:49]
	v_add_u32_e32 v2, 0xffffff81, v23
	v_mov_b32_e32 v23, 0xffffff82
	v_cndmask_b32_e32 v2, v2, v23, vcc
	v_lshrrev_b32_e32 v23, 23, v0
	v_add3_u32 v24, v24, v2, v23
	v_add_u32_e32 v23, 14, v24
	v_and_b32_e32 v1, 0x1fffff, v1
	v_add_u32_e32 v0, v1, v0
	v_mov_b32_e32 v1, v17
	v_cmp_ne_u32_e32 vcc, 0, v23
                                        ; implicit-def: $vgpr2
	s_and_saveexec_b64 s[28:29], vcc
	s_xor_b64 s[28:29], exec, s[28:29]
; %bb.1992:                             ;   in Loop: Header=BB4_1942 Depth=3
	v_cmp_lt_u64_e32 vcc, s[88:89], v[0:1]
	v_add_u32_e32 v2, 15, v24
	v_cndmask_b32_e32 v2, v23, v2, vcc
	v_cndmask_b32_e64 v23, 0, 1, vcc
	v_lshrrev_b64 v[0:1], v23, v[0:1]
; %bb.1993:                             ;   in Loop: Header=BB4_1942 Depth=3
	s_andn2_saveexec_b64 s[28:29], s[28:29]
; %bb.1994:                             ;   in Loop: Header=BB4_1942 Depth=3
	v_bfe_u32 v2, v0, 23, 1
; %bb.1995:                             ;   in Loop: Header=BB4_1942 Depth=3
	s_or_b64 exec, exec, s[28:29]
	v_lshrrev_b64 v[0:1], 21, v[0:1]
	v_cmp_gt_i32_e32 vcc, 32, v2
	v_cndmask_b32_e32 v1, 0, v1, vcc
	v_cndmask_b32_e32 v0, 3, v0, vcc
	v_cmp_eq_u64_e64 s[28:29], 0, v[0:1]
	v_min_i32_e32 v1, 31, v2
	v_lshlrev_b32_e32 v1, 2, v1
	v_cmp_eq_u32_e32 vcc, 0, v2
	v_and_b32_e32 v1, 0xfc, v1
	v_and_or_b32 v0, v0, 3, v1
	s_and_b64 s[28:29], vcc, s[28:29]
	v_cndmask_b32_e64 v0, v0, 0, s[28:29]
	v_or_b32_e32 v23, v0, v3
.LBB4_1996:                             ;   in Loop: Header=BB4_1942 Depth=3
	s_or_b64 exec, exec, s[38:39]
                                        ; implicit-def: $vgpr3
.LBB4_1997:                             ;   in Loop: Header=BB4_1942 Depth=3
	s_andn2_saveexec_b64 s[28:29], s[36:37]
; %bb.1998:                             ;   in Loop: Header=BB4_1942 Depth=3
	v_or_b32_e32 v23, 0x7b, v3
; %bb.1999:                             ;   in Loop: Header=BB4_1942 Depth=3
	s_or_b64 exec, exec, s[28:29]
                                        ; implicit-def: $vgpr2
                                        ; implicit-def: $vgpr0_vgpr1
.LBB4_2000:                             ;   in Loop: Header=BB4_1942 Depth=3
	s_andn2_saveexec_b64 s[28:29], s[34:35]
	s_cbranch_execz .LBB4_2006
; %bb.2001:                             ;   in Loop: Header=BB4_1942 Depth=3
	v_cmp_ne_u64_e32 vcc, 0, v[0:1]
                                        ; implicit-def: $vgpr23
	s_and_saveexec_b64 s[34:35], vcc
	s_xor_b64 vcc, exec, s[34:35]
; %bb.2002:                             ;   in Loop: Header=BB4_1942 Depth=3
	v_or_b32_sdwa v23, v2, s47 dst_sel:DWORD dst_unused:UNUSED_PAD src0_sel:BYTE_3 src1_sel:DWORD
                                        ; implicit-def: $vgpr2
; %bb.2003:                             ;   in Loop: Header=BB4_1942 Depth=3
	s_andn2_saveexec_b64 s[34:35], vcc
; %bb.2004:                             ;   in Loop: Header=BB4_1942 Depth=3
	v_cmp_lt_i32_e32 vcc, -1, v2
	v_bfrev_b32_e32 v0, 0.5
	v_cndmask_b32_e32 v23, v0, v52, vcc
; %bb.2005:                             ;   in Loop: Header=BB4_1942 Depth=3
	s_or_b64 exec, exec, s[34:35]
.LBB4_2006:                             ;   in Loop: Header=BB4_1942 Depth=3
	s_or_b64 exec, exec, s[28:29]
	v_lshrrev_b32_e32 v0, 16, v8
	v_cmp_ne_u16_sdwa vcc, v0, v17 src0_sel:BYTE_0 src1_sel:DWORD
	v_mov_b32_e32 v1, 0
	s_and_saveexec_b64 s[28:29], vcc
	s_cbranch_execz .LBB4_2014
; %bb.2007:                             ;   in Loop: Header=BB4_1942 Depth=3
	v_cmp_ne_u16_sdwa vcc, v0, s96 src0_sel:BYTE_0 src1_sel:DWORD
	v_bfrev_b32_e32 v1, 1
	s_and_saveexec_b64 s[34:35], vcc
	s_cbranch_execz .LBB4_2013
; %bb.2008:                             ;   in Loop: Header=BB4_1942 Depth=3
	v_and_b32_e32 v1, 0x7c0000, v8
	v_bfe_u32 v2, v8, 16, 2
	v_cmp_ne_u32_e32 vcc, s44, v1
                                        ; implicit-def: $vgpr1
	s_and_saveexec_b64 s[36:37], vcc
	s_xor_b64 s[36:37], exec, s[36:37]
	s_cbranch_execz .LBB4_2010
; %bb.2009:                             ;   in Loop: Header=BB4_1942 Depth=3
	v_ffbh_u32_e32 v1, v2
	v_min_u32_e32 v24, 32, v1
	v_subrev_u32_e32 v1, 29, v24
	v_lshlrev_b64 v[0:1], v1, v[0:1]
	v_bfe_u32 v3, v8, 18, 5
	v_and_b32_e32 v0, 3, v0
	v_cmp_eq_u32_e32 vcc, 0, v3
	v_sub_u32_e32 v1, 30, v24
	v_cndmask_b32_e32 v0, v2, v0, vcc
	v_lshlrev_b32_e32 v2, 8, v8
	v_cndmask_b32_e32 v1, v3, v1, vcc
	v_and_b32_e32 v2, 0x80000000, v2
	v_lshl_add_u32 v1, v1, 23, v2
	v_lshl_or_b32 v0, v0, 21, v1
	v_add_u32_e32 v1, 0x38000000, v0
                                        ; implicit-def: $vgpr2
                                        ; implicit-def: $vgpr0
.LBB4_2010:                             ;   in Loop: Header=BB4_1942 Depth=3
	s_andn2_saveexec_b64 s[36:37], s[36:37]
; %bb.2011:                             ;   in Loop: Header=BB4_1942 Depth=3
	v_mov_b32_e32 v1, -1
	v_cmp_gt_i16_sdwa vcc, sext(v0), v1 src0_sel:BYTE_0 src1_sel:DWORD
	v_mov_b32_e32 v0, 0xff800000
	v_mov_b32_e32 v1, 0x7f800000
	v_cndmask_b32_e32 v0, v0, v1, vcc
	v_cmp_eq_u32_e32 vcc, 0, v2
	v_mov_b32_e32 v1, 0x7f800001
	v_cndmask_b32_e32 v1, v1, v0, vcc
; %bb.2012:                             ;   in Loop: Header=BB4_1942 Depth=3
	s_or_b64 exec, exec, s[36:37]
.LBB4_2013:                             ;   in Loop: Header=BB4_1942 Depth=3
	s_or_b64 exec, exec, s[34:35]
.LBB4_2014:                             ;   in Loop: Header=BB4_1942 Depth=3
	s_or_b64 exec, exec, s[28:29]
	v_mul_f32_e32 v2, v22, v1
	v_and_b32_e32 v24, 0x7f800000, v2
	v_mov_b32_e32 v25, v17
	v_cmp_ne_u64_e32 vcc, s[76:77], v[24:25]
	v_and_b32_e32 v0, 0x7fffff, v2
	v_mov_b32_e32 v1, v17
                                        ; implicit-def: $vgpr24
	s_and_saveexec_b64 s[28:29], vcc
	s_xor_b64 s[34:35], exec, s[28:29]
	s_cbranch_execz .LBB4_2028
; %bb.2015:                             ;   in Loop: Header=BB4_1942 Depth=3
	v_and_b32_e32 v24, 0x7fffffff, v2
	v_mov_b32_e32 v25, v17
	v_cmp_gt_u64_e32 vcc, s[78:79], v[24:25]
	v_and_b32_sdwa v3, v2, s96 dst_sel:DWORD dst_unused:UNUSED_PAD src0_sel:BYTE_3 src1_sel:DWORD
                                        ; implicit-def: $vgpr24
	s_and_saveexec_b64 s[28:29], vcc
	s_xor_b64 s[36:37], exec, s[28:29]
	s_cbranch_execz .LBB4_2025
; %bb.2016:                             ;   in Loop: Header=BB4_1942 Depth=3
	v_mov_b32_e32 v24, 0
	v_cmp_ne_u32_e32 vcc, 0, v2
	s_and_saveexec_b64 s[38:39], vcc
	s_cbranch_execz .LBB4_2024
; %bb.2017:                             ;   in Loop: Header=BB4_1942 Depth=3
	v_bfe_u32 v24, v2, 23, 8
	v_cmp_gt_u32_e64 s[28:29], s46, v24
	v_sub_u32_e32 v2, 0x71, v24
	v_cmp_eq_u32_e32 vcc, 0, v24
	v_cndmask_b32_e64 v2, 0, v2, s[28:29]
	v_mov_b32_e32 v25, 0x70
	v_cndmask_b32_e32 v25, v2, v25, vcc
	v_or_b32_e32 v26, 0x800000, v0
	v_add_u32_e32 v2, 21, v25
	v_cndmask_b32_e32 v0, v26, v0, vcc
	v_lshlrev_b64 v[26:27], v2, -1
	v_add_u32_e32 v2, 20, v25
	v_bfi_b32 v26, v26, 0, v0
	v_lshlrev_b64 v[30:31], v2, 1
	v_lshrrev_b64 v[0:1], v25, v[0:1]
	v_bfi_b32 v27, v27, 0, 0
	v_cmp_eq_u64_e64 s[28:29], v[26:27], v[30:31]
	v_mov_b32_e32 v2, v1
	v_mov_b32_e32 v1, v0
	s_and_saveexec_b64 s[48:49], s[28:29]
; %bb.2018:                             ;   in Loop: Header=BB4_1942 Depth=3
	v_bfe_u32 v1, v0, 21, 1
	v_add_co_u32_e64 v1, s[28:29], v0, v1
	v_add_co_u32_e64 v1, s[28:29], -1, v1
; %bb.2019:                             ;   in Loop: Header=BB4_1942 Depth=3
	s_or_b64 exec, exec, s[48:49]
	v_add_u32_e32 v2, 0xffffff81, v24
	v_mov_b32_e32 v24, 0xffffff82
	v_cndmask_b32_e32 v2, v2, v24, vcc
	v_lshrrev_b32_e32 v24, 23, v0
	v_add3_u32 v25, v25, v2, v24
	v_add_u32_e32 v24, 14, v25
	v_and_b32_e32 v1, 0x1fffff, v1
	v_add_u32_e32 v0, v1, v0
	v_mov_b32_e32 v1, v17
	v_cmp_ne_u32_e32 vcc, 0, v24
                                        ; implicit-def: $vgpr2
	s_and_saveexec_b64 s[28:29], vcc
	s_xor_b64 s[28:29], exec, s[28:29]
; %bb.2020:                             ;   in Loop: Header=BB4_1942 Depth=3
	v_cmp_lt_u64_e32 vcc, s[88:89], v[0:1]
	v_add_u32_e32 v2, 15, v25
	v_cndmask_b32_e32 v2, v24, v2, vcc
	v_cndmask_b32_e64 v24, 0, 1, vcc
	v_lshrrev_b64 v[0:1], v24, v[0:1]
; %bb.2021:                             ;   in Loop: Header=BB4_1942 Depth=3
	s_andn2_saveexec_b64 s[28:29], s[28:29]
; %bb.2022:                             ;   in Loop: Header=BB4_1942 Depth=3
	v_bfe_u32 v2, v0, 23, 1
; %bb.2023:                             ;   in Loop: Header=BB4_1942 Depth=3
	s_or_b64 exec, exec, s[28:29]
	v_lshrrev_b64 v[0:1], 21, v[0:1]
	v_cmp_gt_i32_e32 vcc, 32, v2
	v_cndmask_b32_e32 v1, 0, v1, vcc
	v_cndmask_b32_e32 v0, 3, v0, vcc
	v_cmp_eq_u64_e64 s[28:29], 0, v[0:1]
	v_min_i32_e32 v1, 31, v2
	v_lshlrev_b32_e32 v1, 2, v1
	v_cmp_eq_u32_e32 vcc, 0, v2
	v_and_b32_e32 v1, 0xfc, v1
	v_and_or_b32 v0, v0, 3, v1
	s_and_b64 s[28:29], vcc, s[28:29]
	v_cndmask_b32_e64 v0, v0, 0, s[28:29]
	v_or_b32_e32 v24, v0, v3
.LBB4_2024:                             ;   in Loop: Header=BB4_1942 Depth=3
	s_or_b64 exec, exec, s[38:39]
                                        ; implicit-def: $vgpr3
.LBB4_2025:                             ;   in Loop: Header=BB4_1942 Depth=3
	s_andn2_saveexec_b64 s[28:29], s[36:37]
; %bb.2026:                             ;   in Loop: Header=BB4_1942 Depth=3
	v_or_b32_e32 v24, 0x7b, v3
; %bb.2027:                             ;   in Loop: Header=BB4_1942 Depth=3
	s_or_b64 exec, exec, s[28:29]
                                        ; implicit-def: $vgpr2
                                        ; implicit-def: $vgpr0_vgpr1
.LBB4_2028:                             ;   in Loop: Header=BB4_1942 Depth=3
	s_andn2_saveexec_b64 s[28:29], s[34:35]
	s_cbranch_execz .LBB4_2034
; %bb.2029:                             ;   in Loop: Header=BB4_1942 Depth=3
	v_cmp_ne_u64_e32 vcc, 0, v[0:1]
                                        ; implicit-def: $vgpr24
	s_and_saveexec_b64 s[34:35], vcc
	s_xor_b64 vcc, exec, s[34:35]
; %bb.2030:                             ;   in Loop: Header=BB4_1942 Depth=3
	v_or_b32_sdwa v24, v2, s47 dst_sel:DWORD dst_unused:UNUSED_PAD src0_sel:BYTE_3 src1_sel:DWORD
                                        ; implicit-def: $vgpr2
; %bb.2031:                             ;   in Loop: Header=BB4_1942 Depth=3
	s_andn2_saveexec_b64 s[34:35], vcc
; %bb.2032:                             ;   in Loop: Header=BB4_1942 Depth=3
	v_cmp_lt_i32_e32 vcc, -1, v2
	v_bfrev_b32_e32 v0, 0.5
	v_cndmask_b32_e32 v24, v0, v52, vcc
; %bb.2033:                             ;   in Loop: Header=BB4_1942 Depth=3
	s_or_b64 exec, exec, s[34:35]
.LBB4_2034:                             ;   in Loop: Header=BB4_1942 Depth=3
	s_or_b64 exec, exec, s[28:29]
	v_cmp_lt_u32_e32 vcc, s57, v8
	v_mov_b32_e32 v1, 0
	s_and_saveexec_b64 s[28:29], vcc
	s_cbranch_execz .LBB4_2042
; %bb.2035:                             ;   in Loop: Header=BB4_1942 Depth=3
	v_lshrrev_b32_e32 v0, 24, v8
	v_cmp_ne_u32_e32 vcc, s96, v0
	v_bfrev_b32_e32 v1, 1
	s_and_saveexec_b64 s[34:35], vcc
	s_cbranch_execz .LBB4_2041
; %bb.2036:                             ;   in Loop: Header=BB4_1942 Depth=3
	v_and_b32_e32 v1, 0x7c000000, v8
	v_bfe_u32 v2, v8, 24, 2
	v_cmp_ne_u32_e32 vcc, s45, v1
                                        ; implicit-def: $vgpr1
	s_and_saveexec_b64 s[36:37], vcc
	s_xor_b64 s[36:37], exec, s[36:37]
	s_cbranch_execz .LBB4_2038
; %bb.2037:                             ;   in Loop: Header=BB4_1942 Depth=3
	v_ffbh_u32_e32 v1, v2
	v_min_u32_e32 v25, 32, v1
	v_subrev_u32_e32 v1, 29, v25
	v_lshlrev_b64 v[0:1], v1, v[0:1]
	v_bfe_u32 v3, v8, 26, 5
	v_sub_u32_e32 v1, 30, v25
	v_and_b32_e32 v0, 3, v0
	v_cmp_eq_u32_e32 vcc, 0, v3
	v_cndmask_b32_e32 v1, v3, v1, vcc
	v_cndmask_b32_e32 v0, v2, v0, vcc
	v_and_b32_e32 v2, 0x80000000, v8
	v_lshl_add_u32 v1, v1, 23, v2
	v_lshl_or_b32 v0, v0, 21, v1
	v_add_u32_e32 v1, 0x38000000, v0
                                        ; implicit-def: $vgpr2
.LBB4_2038:                             ;   in Loop: Header=BB4_1942 Depth=3
	s_andn2_saveexec_b64 s[36:37], s[36:37]
; %bb.2039:                             ;   in Loop: Header=BB4_1942 Depth=3
	v_cmp_lt_i32_e32 vcc, -1, v8
	v_mov_b32_e32 v0, 0xff800000
	v_mov_b32_e32 v1, 0x7f800000
	v_cndmask_b32_e32 v0, v0, v1, vcc
	v_cmp_eq_u32_e32 vcc, 0, v2
	v_mov_b32_e32 v1, 0x7f800001
	v_cndmask_b32_e32 v1, v1, v0, vcc
; %bb.2040:                             ;   in Loop: Header=BB4_1942 Depth=3
	s_or_b64 exec, exec, s[36:37]
.LBB4_2041:                             ;   in Loop: Header=BB4_1942 Depth=3
	s_or_b64 exec, exec, s[34:35]
.LBB4_2042:                             ;   in Loop: Header=BB4_1942 Depth=3
	s_or_b64 exec, exec, s[28:29]
	v_mul_f32_e32 v2, v22, v1
	v_and_b32_e32 v25, 0x7f800000, v2
	v_mov_b32_e32 v26, v17
	v_cmp_ne_u64_e32 vcc, s[76:77], v[25:26]
	v_and_b32_e32 v0, 0x7fffff, v2
	v_mov_b32_e32 v1, v17
                                        ; implicit-def: $vgpr25
	s_and_saveexec_b64 s[28:29], vcc
	s_xor_b64 s[34:35], exec, s[28:29]
	s_cbranch_execz .LBB4_2056
; %bb.2043:                             ;   in Loop: Header=BB4_1942 Depth=3
	v_and_b32_e32 v25, 0x7fffffff, v2
	v_mov_b32_e32 v26, v17
	v_cmp_gt_u64_e32 vcc, s[78:79], v[25:26]
	v_and_b32_sdwa v3, v2, s96 dst_sel:DWORD dst_unused:UNUSED_PAD src0_sel:BYTE_3 src1_sel:DWORD
                                        ; implicit-def: $vgpr25
	s_and_saveexec_b64 s[28:29], vcc
	s_xor_b64 s[36:37], exec, s[28:29]
	s_cbranch_execz .LBB4_2053
; %bb.2044:                             ;   in Loop: Header=BB4_1942 Depth=3
	v_mov_b32_e32 v25, 0
	v_cmp_ne_u32_e32 vcc, 0, v2
	s_and_saveexec_b64 s[38:39], vcc
	s_cbranch_execz .LBB4_2052
; %bb.2045:                             ;   in Loop: Header=BB4_1942 Depth=3
	v_bfe_u32 v25, v2, 23, 8
	v_cmp_gt_u32_e64 s[28:29], s46, v25
	v_sub_u32_e32 v2, 0x71, v25
	v_cmp_eq_u32_e32 vcc, 0, v25
	v_cndmask_b32_e64 v2, 0, v2, s[28:29]
	v_mov_b32_e32 v26, 0x70
	v_cndmask_b32_e32 v26, v2, v26, vcc
	v_add_u32_e32 v2, 21, v26
	v_or_b32_e32 v27, 0x800000, v0
	v_lshlrev_b64 v[30:31], v2, -1
	v_cndmask_b32_e32 v0, v27, v0, vcc
	v_add_u32_e32 v2, 20, v26
	v_bfi_b32 v30, v30, 0, v0
	v_lshlrev_b64 v[32:33], v2, 1
	v_lshrrev_b64 v[0:1], v26, v[0:1]
	v_bfi_b32 v31, v31, 0, 0
	v_cmp_eq_u64_e64 s[28:29], v[30:31], v[32:33]
	v_mov_b32_e32 v2, v1
	v_mov_b32_e32 v1, v0
	s_and_saveexec_b64 s[48:49], s[28:29]
; %bb.2046:                             ;   in Loop: Header=BB4_1942 Depth=3
	v_bfe_u32 v1, v0, 21, 1
	v_add_co_u32_e64 v1, s[28:29], v0, v1
	v_add_co_u32_e64 v1, s[28:29], -1, v1
; %bb.2047:                             ;   in Loop: Header=BB4_1942 Depth=3
	s_or_b64 exec, exec, s[48:49]
	v_add_u32_e32 v2, 0xffffff81, v25
	v_mov_b32_e32 v25, 0xffffff82
	v_cndmask_b32_e32 v2, v2, v25, vcc
	v_lshrrev_b32_e32 v25, 23, v0
	v_add3_u32 v26, v26, v2, v25
	v_add_u32_e32 v25, 14, v26
	v_and_b32_e32 v1, 0x1fffff, v1
	v_add_u32_e32 v0, v1, v0
	v_mov_b32_e32 v1, v17
	v_cmp_ne_u32_e32 vcc, 0, v25
                                        ; implicit-def: $vgpr2
	s_and_saveexec_b64 s[28:29], vcc
	s_xor_b64 s[28:29], exec, s[28:29]
; %bb.2048:                             ;   in Loop: Header=BB4_1942 Depth=3
	v_cmp_lt_u64_e32 vcc, s[88:89], v[0:1]
	v_add_u32_e32 v2, 15, v26
	v_cndmask_b32_e32 v2, v25, v2, vcc
	v_cndmask_b32_e64 v25, 0, 1, vcc
	v_lshrrev_b64 v[0:1], v25, v[0:1]
; %bb.2049:                             ;   in Loop: Header=BB4_1942 Depth=3
	s_andn2_saveexec_b64 s[28:29], s[28:29]
; %bb.2050:                             ;   in Loop: Header=BB4_1942 Depth=3
	v_bfe_u32 v2, v0, 23, 1
; %bb.2051:                             ;   in Loop: Header=BB4_1942 Depth=3
	s_or_b64 exec, exec, s[28:29]
	v_lshrrev_b64 v[0:1], 21, v[0:1]
	v_cmp_gt_i32_e32 vcc, 32, v2
	v_cndmask_b32_e32 v1, 0, v1, vcc
	v_cndmask_b32_e32 v0, 3, v0, vcc
	v_cmp_eq_u64_e64 s[28:29], 0, v[0:1]
	v_min_i32_e32 v1, 31, v2
	v_lshlrev_b32_e32 v1, 2, v1
	v_cmp_eq_u32_e32 vcc, 0, v2
	v_and_b32_e32 v1, 0xfc, v1
	v_and_or_b32 v0, v0, 3, v1
	s_and_b64 s[28:29], vcc, s[28:29]
	v_cndmask_b32_e64 v0, v0, 0, s[28:29]
	v_or_b32_e32 v25, v0, v3
.LBB4_2052:                             ;   in Loop: Header=BB4_1942 Depth=3
	s_or_b64 exec, exec, s[38:39]
                                        ; implicit-def: $vgpr3
.LBB4_2053:                             ;   in Loop: Header=BB4_1942 Depth=3
	s_andn2_saveexec_b64 s[28:29], s[36:37]
; %bb.2054:                             ;   in Loop: Header=BB4_1942 Depth=3
	v_or_b32_e32 v25, 0x7b, v3
; %bb.2055:                             ;   in Loop: Header=BB4_1942 Depth=3
	s_or_b64 exec, exec, s[28:29]
                                        ; implicit-def: $vgpr2
                                        ; implicit-def: $vgpr0_vgpr1
.LBB4_2056:                             ;   in Loop: Header=BB4_1942 Depth=3
	s_andn2_saveexec_b64 s[28:29], s[34:35]
	s_cbranch_execz .LBB4_2062
; %bb.2057:                             ;   in Loop: Header=BB4_1942 Depth=3
	v_cmp_ne_u64_e32 vcc, 0, v[0:1]
                                        ; implicit-def: $vgpr25
	s_and_saveexec_b64 s[34:35], vcc
	s_xor_b64 vcc, exec, s[34:35]
; %bb.2058:                             ;   in Loop: Header=BB4_1942 Depth=3
	v_or_b32_sdwa v25, v2, s47 dst_sel:DWORD dst_unused:UNUSED_PAD src0_sel:BYTE_3 src1_sel:DWORD
                                        ; implicit-def: $vgpr2
; %bb.2059:                             ;   in Loop: Header=BB4_1942 Depth=3
	s_andn2_saveexec_b64 s[34:35], vcc
; %bb.2060:                             ;   in Loop: Header=BB4_1942 Depth=3
	v_cmp_lt_i32_e32 vcc, -1, v2
	v_bfrev_b32_e32 v0, 0.5
	v_cndmask_b32_e32 v25, v0, v52, vcc
; %bb.2061:                             ;   in Loop: Header=BB4_1942 Depth=3
	s_or_b64 exec, exec, s[34:35]
.LBB4_2062:                             ;   in Loop: Header=BB4_1942 Depth=3
	s_or_b64 exec, exec, s[28:29]
	v_mov_b32_e32 v0, v9
	v_mov_b32_e32 v1, v17
	v_cmp_ne_u16_sdwa vcc, v9, v17 src0_sel:BYTE_0 src1_sel:DWORD
	v_mov_b32_e32 v2, 0
	s_and_saveexec_b64 s[28:29], vcc
	s_cbranch_execz .LBB4_2070
; %bb.2063:                             ;   in Loop: Header=BB4_1942 Depth=3
	v_cmp_ne_u16_sdwa vcc, v9, s96 src0_sel:BYTE_0 src1_sel:DWORD
	v_bfrev_b32_e32 v2, 1
	s_and_saveexec_b64 s[34:35], vcc
	s_cbranch_execz .LBB4_2069
; %bb.2064:                             ;   in Loop: Header=BB4_1942 Depth=3
	v_and_b32_e32 v2, 0x7c, v9
	v_and_b32_e32 v3, 3, v9
	v_cmp_ne_u32_e32 vcc, s85, v2
                                        ; implicit-def: $vgpr2
	s_and_saveexec_b64 s[36:37], vcc
	s_xor_b64 s[36:37], exec, s[36:37]
	s_cbranch_execz .LBB4_2066
; %bb.2065:                             ;   in Loop: Header=BB4_1942 Depth=3
	v_ffbh_u32_e32 v2, v3
	v_min_u32_e32 v27, 32, v2
	v_subrev_u32_e32 v2, 29, v27
	v_lshlrev_b64 v[1:2], v2, v[0:1]
	v_bfe_u32 v26, v9, 2, 5
	v_and_b32_e32 v1, 3, v1
	v_cmp_eq_u32_e32 vcc, 0, v26
	v_sub_u32_e32 v2, 30, v27
	v_cndmask_b32_e32 v1, v3, v1, vcc
	v_lshlrev_b32_e32 v3, 24, v9
	v_cndmask_b32_e32 v2, v26, v2, vcc
	v_and_b32_e32 v3, 0x80000000, v3
	v_lshl_add_u32 v2, v2, 23, v3
	v_lshl_or_b32 v1, v1, 21, v2
	v_add_u32_e32 v2, 0x38000000, v1
                                        ; implicit-def: $vgpr3
.LBB4_2066:                             ;   in Loop: Header=BB4_1942 Depth=3
	s_andn2_saveexec_b64 s[36:37], s[36:37]
; %bb.2067:                             ;   in Loop: Header=BB4_1942 Depth=3
	v_mov_b32_e32 v1, -1
	v_cmp_gt_i16_sdwa vcc, sext(v9), v1 src0_sel:BYTE_0 src1_sel:DWORD
	v_mov_b32_e32 v1, 0xff800000
	v_mov_b32_e32 v2, 0x7f800000
	v_cndmask_b32_e32 v1, v1, v2, vcc
	v_cmp_eq_u32_e32 vcc, 0, v3
	v_mov_b32_e32 v2, 0x7f800001
	v_cndmask_b32_e32 v2, v2, v1, vcc
; %bb.2068:                             ;   in Loop: Header=BB4_1942 Depth=3
	s_or_b64 exec, exec, s[36:37]
.LBB4_2069:                             ;   in Loop: Header=BB4_1942 Depth=3
	s_or_b64 exec, exec, s[34:35]
.LBB4_2070:                             ;   in Loop: Header=BB4_1942 Depth=3
	s_or_b64 exec, exec, s[28:29]
	v_mul_f32_e32 v3, v22, v2
	v_and_b32_e32 v26, 0x7f800000, v3
	v_mov_b32_e32 v27, v17
	v_cmp_ne_u64_e32 vcc, s[76:77], v[26:27]
	v_and_b32_e32 v1, 0x7fffff, v3
	v_mov_b32_e32 v2, v17
                                        ; implicit-def: $vgpr26
	s_and_saveexec_b64 s[28:29], vcc
	s_xor_b64 s[34:35], exec, s[28:29]
	s_cbranch_execz .LBB4_2084
; %bb.2071:                             ;   in Loop: Header=BB4_1942 Depth=3
	v_and_b32_e32 v26, 0x7fffffff, v3
	v_mov_b32_e32 v27, v17
	v_cmp_gt_u64_e32 vcc, s[78:79], v[26:27]
	v_and_b32_sdwa v27, v3, s96 dst_sel:DWORD dst_unused:UNUSED_PAD src0_sel:BYTE_3 src1_sel:DWORD
                                        ; implicit-def: $vgpr26
	s_and_saveexec_b64 s[28:29], vcc
	s_xor_b64 s[36:37], exec, s[28:29]
	s_cbranch_execz .LBB4_2081
; %bb.2072:                             ;   in Loop: Header=BB4_1942 Depth=3
	v_mov_b32_e32 v26, 0
	v_cmp_ne_u32_e32 vcc, 0, v3
	s_and_saveexec_b64 s[38:39], vcc
	s_cbranch_execz .LBB4_2080
; %bb.2073:                             ;   in Loop: Header=BB4_1942 Depth=3
	v_bfe_u32 v26, v3, 23, 8
	v_cmp_gt_u32_e64 s[28:29], s46, v26
	v_sub_u32_e32 v3, 0x71, v26
	v_cmp_eq_u32_e32 vcc, 0, v26
	v_cndmask_b32_e64 v3, 0, v3, s[28:29]
	v_mov_b32_e32 v29, 0x70
	v_cndmask_b32_e32 v30, v3, v29, vcc
	v_add_u32_e32 v3, 21, v30
	v_or_b32_e32 v28, 0x800000, v1
	v_lshlrev_b64 v[31:32], v3, -1
	v_cndmask_b32_e32 v1, v28, v1, vcc
	v_add_u32_e32 v3, 20, v30
	v_bfi_b32 v31, v31, 0, v1
	v_lshlrev_b64 v[33:34], v3, 1
	v_lshrrev_b64 v[1:2], v30, v[1:2]
	v_bfi_b32 v32, v32, 0, 0
	v_cmp_eq_u64_e64 s[28:29], v[31:32], v[33:34]
	v_mov_b32_e32 v3, v2
	v_mov_b32_e32 v2, v1
	s_and_saveexec_b64 s[48:49], s[28:29]
; %bb.2074:                             ;   in Loop: Header=BB4_1942 Depth=3
	v_bfe_u32 v2, v1, 21, 1
	v_add_co_u32_e64 v2, s[28:29], v1, v2
	v_add_co_u32_e64 v2, s[28:29], -1, v2
; %bb.2075:                             ;   in Loop: Header=BB4_1942 Depth=3
	s_or_b64 exec, exec, s[48:49]
	v_add_u32_e32 v3, 0xffffff81, v26
	v_mov_b32_e32 v26, 0xffffff82
	v_cndmask_b32_e32 v3, v3, v26, vcc
	v_lshrrev_b32_e32 v26, 23, v1
	v_add3_u32 v30, v30, v3, v26
	v_add_u32_e32 v26, 14, v30
	v_and_b32_e32 v2, 0x1fffff, v2
	v_add_u32_e32 v1, v2, v1
	v_mov_b32_e32 v2, v17
	v_cmp_ne_u32_e32 vcc, 0, v26
                                        ; implicit-def: $vgpr3
	s_and_saveexec_b64 s[28:29], vcc
	s_xor_b64 s[28:29], exec, s[28:29]
; %bb.2076:                             ;   in Loop: Header=BB4_1942 Depth=3
	v_cmp_lt_u64_e32 vcc, s[88:89], v[1:2]
	v_add_u32_e32 v3, 15, v30
	v_cndmask_b32_e32 v3, v26, v3, vcc
	v_cndmask_b32_e64 v26, 0, 1, vcc
	v_lshrrev_b64 v[1:2], v26, v[1:2]
; %bb.2077:                             ;   in Loop: Header=BB4_1942 Depth=3
	s_andn2_saveexec_b64 s[28:29], s[28:29]
; %bb.2078:                             ;   in Loop: Header=BB4_1942 Depth=3
	v_bfe_u32 v3, v1, 23, 1
; %bb.2079:                             ;   in Loop: Header=BB4_1942 Depth=3
	s_or_b64 exec, exec, s[28:29]
	v_lshrrev_b64 v[1:2], 21, v[1:2]
	v_cmp_gt_i32_e32 vcc, 32, v3
	v_cndmask_b32_e32 v2, 0, v2, vcc
	v_cndmask_b32_e32 v1, 3, v1, vcc
	v_cmp_eq_u64_e64 s[28:29], 0, v[1:2]
	v_min_i32_e32 v2, 31, v3
	v_lshlrev_b32_e32 v2, 2, v2
	v_cmp_eq_u32_e32 vcc, 0, v3
	v_and_b32_e32 v2, 0xfc, v2
	v_and_or_b32 v1, v1, 3, v2
	s_and_b64 s[28:29], vcc, s[28:29]
	v_cndmask_b32_e64 v1, v1, 0, s[28:29]
	v_or_b32_e32 v26, v1, v27
.LBB4_2080:                             ;   in Loop: Header=BB4_1942 Depth=3
	s_or_b64 exec, exec, s[38:39]
                                        ; implicit-def: $vgpr27
.LBB4_2081:                             ;   in Loop: Header=BB4_1942 Depth=3
	s_andn2_saveexec_b64 s[28:29], s[36:37]
; %bb.2082:                             ;   in Loop: Header=BB4_1942 Depth=3
	v_or_b32_e32 v26, 0x7b, v27
; %bb.2083:                             ;   in Loop: Header=BB4_1942 Depth=3
	s_or_b64 exec, exec, s[28:29]
                                        ; implicit-def: $vgpr3
                                        ; implicit-def: $vgpr1_vgpr2
.LBB4_2084:                             ;   in Loop: Header=BB4_1942 Depth=3
	s_andn2_saveexec_b64 s[28:29], s[34:35]
	s_cbranch_execz .LBB4_2090
; %bb.2085:                             ;   in Loop: Header=BB4_1942 Depth=3
	v_cmp_ne_u64_e32 vcc, 0, v[1:2]
                                        ; implicit-def: $vgpr26
	s_and_saveexec_b64 s[34:35], vcc
	s_xor_b64 vcc, exec, s[34:35]
; %bb.2086:                             ;   in Loop: Header=BB4_1942 Depth=3
	v_or_b32_sdwa v26, v3, s47 dst_sel:DWORD dst_unused:UNUSED_PAD src0_sel:BYTE_3 src1_sel:DWORD
                                        ; implicit-def: $vgpr3
; %bb.2087:                             ;   in Loop: Header=BB4_1942 Depth=3
	s_andn2_saveexec_b64 s[34:35], vcc
; %bb.2088:                             ;   in Loop: Header=BB4_1942 Depth=3
	v_cmp_lt_i32_e32 vcc, -1, v3
	v_bfrev_b32_e32 v1, 0.5
	v_cndmask_b32_e32 v26, v1, v52, vcc
; %bb.2089:                             ;   in Loop: Header=BB4_1942 Depth=3
	s_or_b64 exec, exec, s[34:35]
.LBB4_2090:                             ;   in Loop: Header=BB4_1942 Depth=3
	s_or_b64 exec, exec, s[28:29]
	v_lshrrev_b16_e32 v1, 8, v0
	v_cmp_ne_u16_e32 vcc, 0, v1
	v_mov_b32_e32 v2, 0
	s_and_saveexec_b64 s[28:29], vcc
	s_cbranch_execz .LBB4_2098
; %bb.2091:                             ;   in Loop: Header=BB4_1942 Depth=3
	v_cmp_ne_u16_e32 vcc, s96, v1
	v_bfrev_b32_e32 v2, 1
	s_and_saveexec_b64 s[34:35], vcc
	s_cbranch_execz .LBB4_2097
; %bb.2092:                             ;   in Loop: Header=BB4_1942 Depth=3
	v_and_b32_e32 v2, 0x7c, v1
	v_and_b32_e32 v3, 3, v1
	v_cmp_ne_u32_e32 vcc, s85, v2
                                        ; implicit-def: $vgpr2
	s_and_saveexec_b64 s[36:37], vcc
	s_xor_b64 s[36:37], exec, s[36:37]
	s_cbranch_execz .LBB4_2094
; %bb.2093:                             ;   in Loop: Header=BB4_1942 Depth=3
	v_ffbh_u32_e32 v28, v3
	v_min_u32_e32 v28, 32, v28
	v_mov_b32_e32 v2, v17
	v_subrev_u32_e32 v29, 29, v28
	v_bfe_u32 v27, v1, 2, 5
	v_lshlrev_b64 v[1:2], v29, v[1:2]
	v_sub_u32_e32 v2, 30, v28
	v_cmp_eq_u32_e32 vcc, 0, v27
	v_lshlrev_b32_e32 v0, 16, v0
	v_and_b32_e32 v1, 3, v1
	v_cndmask_b32_e32 v2, v27, v2, vcc
	v_and_b32_e32 v0, 0x80000000, v0
	v_cndmask_b32_e32 v1, v3, v1, vcc
	v_lshl_add_u32 v0, v2, 23, v0
	v_lshl_or_b32 v0, v1, 21, v0
	v_add_u32_e32 v2, 0x38000000, v0
                                        ; implicit-def: $vgpr3
                                        ; implicit-def: $vgpr0_vgpr1
.LBB4_2094:                             ;   in Loop: Header=BB4_1942 Depth=3
	s_andn2_saveexec_b64 s[36:37], s[36:37]
; %bb.2095:                             ;   in Loop: Header=BB4_1942 Depth=3
	v_cmp_lt_i16_e32 vcc, -1, v0
	v_mov_b32_e32 v0, 0xff800000
	v_mov_b32_e32 v1, 0x7f800000
	v_cndmask_b32_e32 v0, v0, v1, vcc
	v_cmp_eq_u32_e32 vcc, 0, v3
	v_mov_b32_e32 v1, 0x7f800001
	v_cndmask_b32_e32 v2, v1, v0, vcc
; %bb.2096:                             ;   in Loop: Header=BB4_1942 Depth=3
	s_or_b64 exec, exec, s[36:37]
.LBB4_2097:                             ;   in Loop: Header=BB4_1942 Depth=3
	s_or_b64 exec, exec, s[34:35]
.LBB4_2098:                             ;   in Loop: Header=BB4_1942 Depth=3
	s_or_b64 exec, exec, s[28:29]
	v_mul_f32_e32 v2, v22, v2
	v_and_b32_e32 v30, 0x7f800000, v2
	v_mov_b32_e32 v31, v17
	v_cmp_ne_u64_e32 vcc, s[76:77], v[30:31]
	v_and_b32_e32 v0, 0x7fffff, v2
	v_mov_b32_e32 v1, v17
                                        ; implicit-def: $vgpr27
	s_and_saveexec_b64 s[28:29], vcc
	s_xor_b64 s[34:35], exec, s[28:29]
	s_cbranch_execz .LBB4_2112
; %bb.2099:                             ;   in Loop: Header=BB4_1942 Depth=3
	v_and_b32_e32 v30, 0x7fffffff, v2
	v_mov_b32_e32 v31, v17
	v_cmp_gt_u64_e32 vcc, s[78:79], v[30:31]
	v_and_b32_sdwa v3, v2, s96 dst_sel:DWORD dst_unused:UNUSED_PAD src0_sel:BYTE_3 src1_sel:DWORD
                                        ; implicit-def: $vgpr27
	s_and_saveexec_b64 s[28:29], vcc
	s_xor_b64 s[36:37], exec, s[28:29]
	s_cbranch_execz .LBB4_2109
; %bb.2100:                             ;   in Loop: Header=BB4_1942 Depth=3
	v_mov_b32_e32 v27, 0
	v_cmp_ne_u32_e32 vcc, 0, v2
	s_and_saveexec_b64 s[38:39], vcc
	s_cbranch_execz .LBB4_2108
; %bb.2101:                             ;   in Loop: Header=BB4_1942 Depth=3
	v_bfe_u32 v27, v2, 23, 8
	v_cmp_gt_u32_e64 s[28:29], s46, v27
	v_sub_u32_e32 v2, 0x71, v27
	v_cmp_eq_u32_e32 vcc, 0, v27
	v_cndmask_b32_e64 v2, 0, v2, s[28:29]
	v_mov_b32_e32 v29, 0x70
	v_cndmask_b32_e32 v30, v2, v29, vcc
	v_add_u32_e32 v2, 21, v30
	v_or_b32_e32 v28, 0x800000, v0
	v_lshlrev_b64 v[31:32], v2, -1
	v_cndmask_b32_e32 v0, v28, v0, vcc
	v_add_u32_e32 v2, 20, v30
	v_bfi_b32 v31, v31, 0, v0
	v_lshlrev_b64 v[33:34], v2, 1
	v_lshrrev_b64 v[0:1], v30, v[0:1]
	v_bfi_b32 v32, v32, 0, 0
	v_cmp_eq_u64_e64 s[28:29], v[31:32], v[33:34]
	v_mov_b32_e32 v2, v1
	v_mov_b32_e32 v1, v0
	s_and_saveexec_b64 s[48:49], s[28:29]
; %bb.2102:                             ;   in Loop: Header=BB4_1942 Depth=3
	v_bfe_u32 v1, v0, 21, 1
	v_add_co_u32_e64 v1, s[28:29], v0, v1
	v_add_co_u32_e64 v1, s[28:29], -1, v1
; %bb.2103:                             ;   in Loop: Header=BB4_1942 Depth=3
	s_or_b64 exec, exec, s[48:49]
	v_add_u32_e32 v2, 0xffffff81, v27
	v_mov_b32_e32 v27, 0xffffff82
	v_cndmask_b32_e32 v2, v2, v27, vcc
	v_lshrrev_b32_e32 v27, 23, v0
	v_add3_u32 v30, v30, v2, v27
	v_add_u32_e32 v27, 14, v30
	v_and_b32_e32 v1, 0x1fffff, v1
	v_add_u32_e32 v0, v1, v0
	v_mov_b32_e32 v1, v17
	v_cmp_ne_u32_e32 vcc, 0, v27
                                        ; implicit-def: $vgpr2
	s_and_saveexec_b64 s[28:29], vcc
	s_xor_b64 s[28:29], exec, s[28:29]
; %bb.2104:                             ;   in Loop: Header=BB4_1942 Depth=3
	v_cmp_lt_u64_e32 vcc, s[88:89], v[0:1]
	v_add_u32_e32 v2, 15, v30
	v_cndmask_b32_e32 v2, v27, v2, vcc
	v_cndmask_b32_e64 v27, 0, 1, vcc
	v_lshrrev_b64 v[0:1], v27, v[0:1]
; %bb.2105:                             ;   in Loop: Header=BB4_1942 Depth=3
	s_andn2_saveexec_b64 s[28:29], s[28:29]
; %bb.2106:                             ;   in Loop: Header=BB4_1942 Depth=3
	v_bfe_u32 v2, v0, 23, 1
; %bb.2107:                             ;   in Loop: Header=BB4_1942 Depth=3
	s_or_b64 exec, exec, s[28:29]
	v_lshrrev_b64 v[0:1], 21, v[0:1]
	v_cmp_gt_i32_e32 vcc, 32, v2
	v_cndmask_b32_e32 v1, 0, v1, vcc
	v_cndmask_b32_e32 v0, 3, v0, vcc
	v_cmp_eq_u64_e64 s[28:29], 0, v[0:1]
	v_min_i32_e32 v1, 31, v2
	v_lshlrev_b32_e32 v1, 2, v1
	v_cmp_eq_u32_e32 vcc, 0, v2
	v_and_b32_e32 v1, 0xfc, v1
	v_and_or_b32 v0, v0, 3, v1
	s_and_b64 s[28:29], vcc, s[28:29]
	v_cndmask_b32_e64 v0, v0, 0, s[28:29]
	v_or_b32_e32 v27, v0, v3
.LBB4_2108:                             ;   in Loop: Header=BB4_1942 Depth=3
	s_or_b64 exec, exec, s[38:39]
                                        ; implicit-def: $vgpr3
.LBB4_2109:                             ;   in Loop: Header=BB4_1942 Depth=3
	s_andn2_saveexec_b64 s[28:29], s[36:37]
; %bb.2110:                             ;   in Loop: Header=BB4_1942 Depth=3
	v_or_b32_e32 v27, 0x7b, v3
; %bb.2111:                             ;   in Loop: Header=BB4_1942 Depth=3
	s_or_b64 exec, exec, s[28:29]
                                        ; implicit-def: $vgpr2
                                        ; implicit-def: $vgpr0_vgpr1
.LBB4_2112:                             ;   in Loop: Header=BB4_1942 Depth=3
	s_andn2_saveexec_b64 s[28:29], s[34:35]
	s_cbranch_execz .LBB4_2118
; %bb.2113:                             ;   in Loop: Header=BB4_1942 Depth=3
	v_cmp_ne_u64_e32 vcc, 0, v[0:1]
                                        ; implicit-def: $vgpr27
	s_and_saveexec_b64 s[34:35], vcc
	s_xor_b64 vcc, exec, s[34:35]
; %bb.2114:                             ;   in Loop: Header=BB4_1942 Depth=3
	v_or_b32_sdwa v27, v2, s47 dst_sel:DWORD dst_unused:UNUSED_PAD src0_sel:BYTE_3 src1_sel:DWORD
                                        ; implicit-def: $vgpr2
; %bb.2115:                             ;   in Loop: Header=BB4_1942 Depth=3
	s_andn2_saveexec_b64 s[34:35], vcc
; %bb.2116:                             ;   in Loop: Header=BB4_1942 Depth=3
	v_cmp_lt_i32_e32 vcc, -1, v2
	v_bfrev_b32_e32 v0, 0.5
	v_cndmask_b32_e32 v27, v0, v52, vcc
; %bb.2117:                             ;   in Loop: Header=BB4_1942 Depth=3
	s_or_b64 exec, exec, s[34:35]
.LBB4_2118:                             ;   in Loop: Header=BB4_1942 Depth=3
	s_or_b64 exec, exec, s[28:29]
	v_lshrrev_b32_e32 v0, 16, v9
	v_cmp_ne_u16_sdwa vcc, v0, v17 src0_sel:BYTE_0 src1_sel:DWORD
	v_mov_b32_e32 v1, 0
	s_and_saveexec_b64 s[28:29], vcc
	s_cbranch_execz .LBB4_2126
; %bb.2119:                             ;   in Loop: Header=BB4_1942 Depth=3
	v_cmp_ne_u16_sdwa vcc, v0, s96 src0_sel:BYTE_0 src1_sel:DWORD
	v_bfrev_b32_e32 v1, 1
	s_and_saveexec_b64 s[34:35], vcc
	s_cbranch_execz .LBB4_2125
; %bb.2120:                             ;   in Loop: Header=BB4_1942 Depth=3
	v_and_b32_e32 v1, 0x7c0000, v9
	v_bfe_u32 v2, v9, 16, 2
	v_cmp_ne_u32_e32 vcc, s44, v1
                                        ; implicit-def: $vgpr1
	s_and_saveexec_b64 s[36:37], vcc
	s_xor_b64 s[36:37], exec, s[36:37]
	s_cbranch_execz .LBB4_2122
; %bb.2121:                             ;   in Loop: Header=BB4_1942 Depth=3
	v_ffbh_u32_e32 v1, v2
	v_min_u32_e32 v28, 32, v1
	v_subrev_u32_e32 v1, 29, v28
	v_lshlrev_b64 v[0:1], v1, v[0:1]
	v_bfe_u32 v3, v9, 18, 5
	v_and_b32_e32 v0, 3, v0
	v_cmp_eq_u32_e32 vcc, 0, v3
	v_sub_u32_e32 v1, 30, v28
	v_cndmask_b32_e32 v0, v2, v0, vcc
	v_lshlrev_b32_e32 v2, 8, v9
	v_cndmask_b32_e32 v1, v3, v1, vcc
	v_and_b32_e32 v2, 0x80000000, v2
	v_lshl_add_u32 v1, v1, 23, v2
	v_lshl_or_b32 v0, v0, 21, v1
	v_add_u32_e32 v1, 0x38000000, v0
                                        ; implicit-def: $vgpr2
                                        ; implicit-def: $vgpr0
.LBB4_2122:                             ;   in Loop: Header=BB4_1942 Depth=3
	s_andn2_saveexec_b64 s[36:37], s[36:37]
; %bb.2123:                             ;   in Loop: Header=BB4_1942 Depth=3
	v_mov_b32_e32 v1, -1
	v_cmp_gt_i16_sdwa vcc, sext(v0), v1 src0_sel:BYTE_0 src1_sel:DWORD
	v_mov_b32_e32 v0, 0xff800000
	v_mov_b32_e32 v1, 0x7f800000
	v_cndmask_b32_e32 v0, v0, v1, vcc
	v_cmp_eq_u32_e32 vcc, 0, v2
	v_mov_b32_e32 v1, 0x7f800001
	v_cndmask_b32_e32 v1, v1, v0, vcc
; %bb.2124:                             ;   in Loop: Header=BB4_1942 Depth=3
	s_or_b64 exec, exec, s[36:37]
.LBB4_2125:                             ;   in Loop: Header=BB4_1942 Depth=3
	s_or_b64 exec, exec, s[34:35]
.LBB4_2126:                             ;   in Loop: Header=BB4_1942 Depth=3
	s_or_b64 exec, exec, s[28:29]
	v_mul_f32_e32 v2, v22, v1
	v_and_b32_e32 v30, 0x7f800000, v2
	v_mov_b32_e32 v31, v17
	v_cmp_ne_u64_e32 vcc, s[76:77], v[30:31]
	v_and_b32_e32 v0, 0x7fffff, v2
	v_mov_b32_e32 v1, v17
                                        ; implicit-def: $vgpr30
	s_and_saveexec_b64 s[28:29], vcc
	s_xor_b64 s[34:35], exec, s[28:29]
	s_cbranch_execz .LBB4_2140
; %bb.2127:                             ;   in Loop: Header=BB4_1942 Depth=3
	v_and_b32_e32 v30, 0x7fffffff, v2
	v_mov_b32_e32 v31, v17
	v_cmp_gt_u64_e32 vcc, s[78:79], v[30:31]
	v_and_b32_sdwa v3, v2, s96 dst_sel:DWORD dst_unused:UNUSED_PAD src0_sel:BYTE_3 src1_sel:DWORD
                                        ; implicit-def: $vgpr30
	s_and_saveexec_b64 s[28:29], vcc
	s_xor_b64 s[36:37], exec, s[28:29]
	s_cbranch_execz .LBB4_2137
; %bb.2128:                             ;   in Loop: Header=BB4_1942 Depth=3
	v_mov_b32_e32 v30, 0
	v_cmp_ne_u32_e32 vcc, 0, v2
	s_and_saveexec_b64 s[38:39], vcc
	s_cbranch_execz .LBB4_2136
; %bb.2129:                             ;   in Loop: Header=BB4_1942 Depth=3
	v_bfe_u32 v30, v2, 23, 8
	v_cmp_gt_u32_e64 s[28:29], s46, v30
	v_sub_u32_e32 v2, 0x71, v30
	v_cmp_eq_u32_e32 vcc, 0, v30
	v_cndmask_b32_e64 v2, 0, v2, s[28:29]
	v_mov_b32_e32 v29, 0x70
	v_cndmask_b32_e32 v31, v2, v29, vcc
	v_add_u32_e32 v2, 21, v31
	v_or_b32_e32 v28, 0x800000, v0
	v_lshlrev_b64 v[32:33], v2, -1
	v_cndmask_b32_e32 v0, v28, v0, vcc
	v_add_u32_e32 v2, 20, v31
	v_bfi_b32 v32, v32, 0, v0
	v_lshlrev_b64 v[34:35], v2, 1
	v_lshrrev_b64 v[0:1], v31, v[0:1]
	v_bfi_b32 v33, v33, 0, 0
	v_cmp_eq_u64_e64 s[28:29], v[32:33], v[34:35]
	v_mov_b32_e32 v2, v1
	v_mov_b32_e32 v1, v0
	s_and_saveexec_b64 s[48:49], s[28:29]
; %bb.2130:                             ;   in Loop: Header=BB4_1942 Depth=3
	v_bfe_u32 v1, v0, 21, 1
	v_add_co_u32_e64 v1, s[28:29], v0, v1
	v_add_co_u32_e64 v1, s[28:29], -1, v1
; %bb.2131:                             ;   in Loop: Header=BB4_1942 Depth=3
	s_or_b64 exec, exec, s[48:49]
	v_add_u32_e32 v2, 0xffffff81, v30
	v_mov_b32_e32 v28, 0xffffff82
	v_cndmask_b32_e32 v2, v2, v28, vcc
	v_lshrrev_b32_e32 v28, 23, v0
	v_add3_u32 v31, v31, v2, v28
	v_add_u32_e32 v30, 14, v31
	v_and_b32_e32 v1, 0x1fffff, v1
	v_add_u32_e32 v0, v1, v0
	v_mov_b32_e32 v1, v17
	v_cmp_ne_u32_e32 vcc, 0, v30
                                        ; implicit-def: $vgpr2
	s_and_saveexec_b64 s[28:29], vcc
	s_xor_b64 s[28:29], exec, s[28:29]
; %bb.2132:                             ;   in Loop: Header=BB4_1942 Depth=3
	v_cmp_lt_u64_e32 vcc, s[88:89], v[0:1]
	v_add_u32_e32 v2, 15, v31
	v_cndmask_b32_e64 v28, 0, 1, vcc
	v_cndmask_b32_e32 v2, v30, v2, vcc
	v_lshrrev_b64 v[0:1], v28, v[0:1]
; %bb.2133:                             ;   in Loop: Header=BB4_1942 Depth=3
	s_andn2_saveexec_b64 s[28:29], s[28:29]
; %bb.2134:                             ;   in Loop: Header=BB4_1942 Depth=3
	v_bfe_u32 v2, v0, 23, 1
; %bb.2135:                             ;   in Loop: Header=BB4_1942 Depth=3
	s_or_b64 exec, exec, s[28:29]
	v_lshrrev_b64 v[0:1], 21, v[0:1]
	v_cmp_gt_i32_e32 vcc, 32, v2
	v_cndmask_b32_e32 v1, 0, v1, vcc
	v_cndmask_b32_e32 v0, 3, v0, vcc
	v_cmp_eq_u64_e64 s[28:29], 0, v[0:1]
	v_min_i32_e32 v1, 31, v2
	v_lshlrev_b32_e32 v1, 2, v1
	v_cmp_eq_u32_e32 vcc, 0, v2
	v_and_b32_e32 v1, 0xfc, v1
	v_and_or_b32 v0, v0, 3, v1
	s_and_b64 s[28:29], vcc, s[28:29]
	v_cndmask_b32_e64 v0, v0, 0, s[28:29]
	v_or_b32_e32 v30, v0, v3
.LBB4_2136:                             ;   in Loop: Header=BB4_1942 Depth=3
	s_or_b64 exec, exec, s[38:39]
                                        ; implicit-def: $vgpr3
.LBB4_2137:                             ;   in Loop: Header=BB4_1942 Depth=3
	s_andn2_saveexec_b64 s[28:29], s[36:37]
; %bb.2138:                             ;   in Loop: Header=BB4_1942 Depth=3
	v_or_b32_e32 v30, 0x7b, v3
; %bb.2139:                             ;   in Loop: Header=BB4_1942 Depth=3
	s_or_b64 exec, exec, s[28:29]
                                        ; implicit-def: $vgpr2
                                        ; implicit-def: $vgpr0_vgpr1
.LBB4_2140:                             ;   in Loop: Header=BB4_1942 Depth=3
	s_andn2_saveexec_b64 s[28:29], s[34:35]
	s_cbranch_execz .LBB4_2146
; %bb.2141:                             ;   in Loop: Header=BB4_1942 Depth=3
	v_cmp_ne_u64_e32 vcc, 0, v[0:1]
                                        ; implicit-def: $vgpr30
	s_and_saveexec_b64 s[34:35], vcc
	s_xor_b64 vcc, exec, s[34:35]
; %bb.2142:                             ;   in Loop: Header=BB4_1942 Depth=3
	v_or_b32_sdwa v30, v2, s47 dst_sel:DWORD dst_unused:UNUSED_PAD src0_sel:BYTE_3 src1_sel:DWORD
                                        ; implicit-def: $vgpr2
; %bb.2143:                             ;   in Loop: Header=BB4_1942 Depth=3
	s_andn2_saveexec_b64 s[34:35], vcc
; %bb.2144:                             ;   in Loop: Header=BB4_1942 Depth=3
	v_cmp_lt_i32_e32 vcc, -1, v2
	v_bfrev_b32_e32 v0, 0.5
	v_cndmask_b32_e32 v30, v0, v52, vcc
; %bb.2145:                             ;   in Loop: Header=BB4_1942 Depth=3
	s_or_b64 exec, exec, s[34:35]
.LBB4_2146:                             ;   in Loop: Header=BB4_1942 Depth=3
	s_or_b64 exec, exec, s[28:29]
	v_cmp_lt_u64_e32 vcc, s[56:57], v[8:9]
	v_mov_b32_e32 v1, 0
	s_and_saveexec_b64 s[28:29], vcc
	s_cbranch_execz .LBB4_2154
; %bb.2147:                             ;   in Loop: Header=BB4_1942 Depth=3
	v_lshrrev_b32_e32 v0, 24, v9
	v_cmp_ne_u32_e32 vcc, s96, v0
	v_bfrev_b32_e32 v1, 1
	s_and_saveexec_b64 s[34:35], vcc
	s_cbranch_execz .LBB4_2153
; %bb.2148:                             ;   in Loop: Header=BB4_1942 Depth=3
	v_and_b32_e32 v1, 0x7c000000, v9
	v_bfe_u32 v2, v9, 24, 2
	v_cmp_ne_u32_e32 vcc, s45, v1
                                        ; implicit-def: $vgpr1
	s_and_saveexec_b64 s[36:37], vcc
	s_xor_b64 s[36:37], exec, s[36:37]
	s_cbranch_execz .LBB4_2150
; %bb.2149:                             ;   in Loop: Header=BB4_1942 Depth=3
	v_ffbh_u32_e32 v1, v2
	v_min_u32_e32 v28, 32, v1
	v_subrev_u32_e32 v1, 29, v28
	v_lshlrev_b64 v[0:1], v1, v[0:1]
	v_bfe_u32 v3, v9, 26, 5
	v_sub_u32_e32 v1, 30, v28
	v_and_b32_e32 v0, 3, v0
	v_cmp_eq_u32_e32 vcc, 0, v3
	v_cndmask_b32_e32 v1, v3, v1, vcc
	v_cndmask_b32_e32 v0, v2, v0, vcc
	v_and_b32_e32 v2, 0x80000000, v9
	v_lshl_add_u32 v1, v1, 23, v2
	v_lshl_or_b32 v0, v0, 21, v1
	v_add_u32_e32 v1, 0x38000000, v0
                                        ; implicit-def: $vgpr2
.LBB4_2150:                             ;   in Loop: Header=BB4_1942 Depth=3
	s_andn2_saveexec_b64 s[36:37], s[36:37]
; %bb.2151:                             ;   in Loop: Header=BB4_1942 Depth=3
	v_cmp_lt_i64_e32 vcc, -1, v[8:9]
	v_mov_b32_e32 v0, 0xff800000
	v_mov_b32_e32 v1, 0x7f800000
	v_cndmask_b32_e32 v0, v0, v1, vcc
	v_cmp_eq_u32_e32 vcc, 0, v2
	v_mov_b32_e32 v1, 0x7f800001
	v_cndmask_b32_e32 v1, v1, v0, vcc
; %bb.2152:                             ;   in Loop: Header=BB4_1942 Depth=3
	s_or_b64 exec, exec, s[36:37]
.LBB4_2153:                             ;   in Loop: Header=BB4_1942 Depth=3
	s_or_b64 exec, exec, s[34:35]
.LBB4_2154:                             ;   in Loop: Header=BB4_1942 Depth=3
	s_or_b64 exec, exec, s[28:29]
	v_mul_f32_e32 v2, v22, v1
	v_and_b32_e32 v8, 0x7f800000, v2
	v_mov_b32_e32 v9, v17
	v_cmp_ne_u64_e32 vcc, s[76:77], v[8:9]
	v_and_b32_e32 v0, 0x7fffff, v2
	v_mov_b32_e32 v1, v17
                                        ; implicit-def: $vgpr8
	s_and_saveexec_b64 s[28:29], vcc
	s_xor_b64 s[34:35], exec, s[28:29]
	s_cbranch_execz .LBB4_2168
; %bb.2155:                             ;   in Loop: Header=BB4_1942 Depth=3
	v_and_b32_e32 v8, 0x7fffffff, v2
	v_mov_b32_e32 v9, v17
	v_cmp_gt_u64_e32 vcc, s[78:79], v[8:9]
	v_and_b32_sdwa v3, v2, s96 dst_sel:DWORD dst_unused:UNUSED_PAD src0_sel:BYTE_3 src1_sel:DWORD
                                        ; implicit-def: $vgpr8
	s_and_saveexec_b64 s[28:29], vcc
	s_xor_b64 s[36:37], exec, s[28:29]
	s_cbranch_execz .LBB4_2165
; %bb.2156:                             ;   in Loop: Header=BB4_1942 Depth=3
	v_mov_b32_e32 v8, 0
	v_cmp_ne_u32_e32 vcc, 0, v2
	s_and_saveexec_b64 s[38:39], vcc
	s_cbranch_execz .LBB4_2164
; %bb.2157:                             ;   in Loop: Header=BB4_1942 Depth=3
	v_bfe_u32 v8, v2, 23, 8
	v_cmp_gt_u32_e64 s[28:29], s46, v8
	v_sub_u32_e32 v2, 0x71, v8
	v_cmp_eq_u32_e32 vcc, 0, v8
	v_cndmask_b32_e64 v2, 0, v2, s[28:29]
	v_mov_b32_e32 v9, 0x70
	v_cndmask_b32_e32 v9, v2, v9, vcc
	v_add_u32_e32 v2, 21, v9
	v_or_b32_e32 v28, 0x800000, v0
	v_lshlrev_b64 v[31:32], v2, -1
	v_cndmask_b32_e32 v0, v28, v0, vcc
	v_add_u32_e32 v2, 20, v9
	v_bfi_b32 v31, v31, 0, v0
	v_lshlrev_b64 v[33:34], v2, 1
	v_lshrrev_b64 v[0:1], v9, v[0:1]
	v_bfi_b32 v32, v32, 0, 0
	v_cmp_eq_u64_e64 s[28:29], v[31:32], v[33:34]
	v_mov_b32_e32 v2, v1
	v_mov_b32_e32 v1, v0
	s_and_saveexec_b64 s[48:49], s[28:29]
; %bb.2158:                             ;   in Loop: Header=BB4_1942 Depth=3
	v_bfe_u32 v1, v0, 21, 1
	v_add_co_u32_e64 v1, s[28:29], v0, v1
	v_add_co_u32_e64 v1, s[28:29], -1, v1
; %bb.2159:                             ;   in Loop: Header=BB4_1942 Depth=3
	s_or_b64 exec, exec, s[48:49]
	v_add_u32_e32 v2, 0xffffff81, v8
	v_mov_b32_e32 v8, 0xffffff82
	v_cndmask_b32_e32 v2, v2, v8, vcc
	v_lshrrev_b32_e32 v8, 23, v0
	v_add3_u32 v9, v9, v2, v8
	v_add_u32_e32 v8, 14, v9
	v_and_b32_e32 v1, 0x1fffff, v1
	v_add_u32_e32 v0, v1, v0
	v_mov_b32_e32 v1, v17
	v_cmp_ne_u32_e32 vcc, 0, v8
                                        ; implicit-def: $vgpr2
	s_and_saveexec_b64 s[28:29], vcc
	s_xor_b64 s[28:29], exec, s[28:29]
; %bb.2160:                             ;   in Loop: Header=BB4_1942 Depth=3
	v_cmp_lt_u64_e32 vcc, s[88:89], v[0:1]
	v_add_u32_e32 v2, 15, v9
	v_cndmask_b32_e32 v2, v8, v2, vcc
	v_cndmask_b32_e64 v8, 0, 1, vcc
	v_lshrrev_b64 v[0:1], v8, v[0:1]
; %bb.2161:                             ;   in Loop: Header=BB4_1942 Depth=3
	s_andn2_saveexec_b64 s[28:29], s[28:29]
; %bb.2162:                             ;   in Loop: Header=BB4_1942 Depth=3
	v_bfe_u32 v2, v0, 23, 1
; %bb.2163:                             ;   in Loop: Header=BB4_1942 Depth=3
	s_or_b64 exec, exec, s[28:29]
	v_lshrrev_b64 v[0:1], 21, v[0:1]
	v_cmp_gt_i32_e32 vcc, 32, v2
	v_cndmask_b32_e32 v1, 0, v1, vcc
	v_cndmask_b32_e32 v0, 3, v0, vcc
	v_cmp_eq_u64_e64 s[28:29], 0, v[0:1]
	v_min_i32_e32 v1, 31, v2
	v_lshlrev_b32_e32 v1, 2, v1
	v_cmp_eq_u32_e32 vcc, 0, v2
	v_and_b32_e32 v1, 0xfc, v1
	v_and_or_b32 v0, v0, 3, v1
	s_and_b64 s[28:29], vcc, s[28:29]
	v_cndmask_b32_e64 v0, v0, 0, s[28:29]
	v_or_b32_e32 v8, v0, v3
.LBB4_2164:                             ;   in Loop: Header=BB4_1942 Depth=3
	s_or_b64 exec, exec, s[38:39]
                                        ; implicit-def: $vgpr3
.LBB4_2165:                             ;   in Loop: Header=BB4_1942 Depth=3
	s_andn2_saveexec_b64 s[28:29], s[36:37]
; %bb.2166:                             ;   in Loop: Header=BB4_1942 Depth=3
	v_or_b32_e32 v8, 0x7b, v3
; %bb.2167:                             ;   in Loop: Header=BB4_1942 Depth=3
	s_or_b64 exec, exec, s[28:29]
                                        ; implicit-def: $vgpr2
                                        ; implicit-def: $vgpr0_vgpr1
.LBB4_2168:                             ;   in Loop: Header=BB4_1942 Depth=3
	s_andn2_saveexec_b64 s[28:29], s[34:35]
	s_cbranch_execz .LBB4_2174
; %bb.2169:                             ;   in Loop: Header=BB4_1942 Depth=3
	v_cmp_ne_u64_e32 vcc, 0, v[0:1]
                                        ; implicit-def: $vgpr8
	s_and_saveexec_b64 s[34:35], vcc
	s_xor_b64 vcc, exec, s[34:35]
; %bb.2170:                             ;   in Loop: Header=BB4_1942 Depth=3
	v_or_b32_sdwa v8, v2, s47 dst_sel:DWORD dst_unused:UNUSED_PAD src0_sel:BYTE_3 src1_sel:DWORD
                                        ; implicit-def: $vgpr2
; %bb.2171:                             ;   in Loop: Header=BB4_1942 Depth=3
	s_andn2_saveexec_b64 s[34:35], vcc
; %bb.2172:                             ;   in Loop: Header=BB4_1942 Depth=3
	v_cmp_lt_i32_e32 vcc, -1, v2
	v_bfrev_b32_e32 v0, 0.5
	v_cndmask_b32_e32 v8, v0, v52, vcc
; %bb.2173:                             ;   in Loop: Header=BB4_1942 Depth=3
	s_or_b64 exec, exec, s[34:35]
.LBB4_2174:                             ;   in Loop: Header=BB4_1942 Depth=3
	s_or_b64 exec, exec, s[28:29]
	v_cmp_ne_u16_sdwa vcc, v10, v17 src0_sel:BYTE_0 src1_sel:DWORD
	v_mov_b32_e32 v0, 0
	s_and_saveexec_b64 s[28:29], vcc
	s_cbranch_execz .LBB4_2182
; %bb.2175:                             ;   in Loop: Header=BB4_1942 Depth=3
	v_cmp_ne_u16_sdwa vcc, sext(v10), s97 src0_sel:BYTE_0 src1_sel:DWORD
	v_bfrev_b32_e32 v0, 1
	s_and_saveexec_b64 s[34:35], vcc
	s_cbranch_execz .LBB4_2181
; %bb.2176:                             ;   in Loop: Header=BB4_1942 Depth=3
	v_and_b32_e32 v0, 0x7c, v10
	v_and_b32_e32 v1, 3, v10
	v_cmp_ne_u32_e32 vcc, s85, v0
                                        ; implicit-def: $vgpr0
	s_and_saveexec_b64 s[36:37], vcc
	s_xor_b64 s[36:37], exec, s[36:37]
	s_cbranch_execz .LBB4_2178
; %bb.2177:                             ;   in Loop: Header=BB4_1942 Depth=3
	v_ffbh_u32_e32 v2, v1
	v_min_u32_e32 v9, 32, v2
	v_subrev_u32_e32 v2, 29, v9
	v_lshlrev_b64 v[2:3], v2, v[10:11]
	v_bfe_u32 v0, v10, 2, 5
	v_and_b32_e32 v2, 3, v2
	v_cmp_eq_u32_e32 vcc, 0, v0
	v_sub_u32_e32 v3, 30, v9
	v_cndmask_b32_e32 v1, v1, v2, vcc
	v_lshlrev_b32_e32 v2, 24, v10
	v_cndmask_b32_e32 v0, v0, v3, vcc
	v_and_b32_e32 v2, 0x80000000, v2
	v_lshl_add_u32 v0, v0, 23, v2
	v_lshl_or_b32 v0, v1, 21, v0
	v_add_u32_e32 v0, 0x38000000, v0
                                        ; implicit-def: $vgpr1
.LBB4_2178:                             ;   in Loop: Header=BB4_1942 Depth=3
	s_andn2_saveexec_b64 s[36:37], s[36:37]
; %bb.2179:                             ;   in Loop: Header=BB4_1942 Depth=3
	v_mov_b32_e32 v0, -1
	v_cmp_gt_i16_sdwa vcc, sext(v10), v0 src0_sel:BYTE_0 src1_sel:DWORD
	v_mov_b32_e32 v0, 0xff800000
	v_mov_b32_e32 v2, 0x7f800000
	v_cndmask_b32_e32 v0, v0, v2, vcc
	v_cmp_eq_u32_e32 vcc, 0, v1
	v_mov_b32_e32 v1, 0x7f800001
	v_cndmask_b32_e32 v0, v1, v0, vcc
; %bb.2180:                             ;   in Loop: Header=BB4_1942 Depth=3
	s_or_b64 exec, exec, s[36:37]
.LBB4_2181:                             ;   in Loop: Header=BB4_1942 Depth=3
	s_or_b64 exec, exec, s[34:35]
.LBB4_2182:                             ;   in Loop: Header=BB4_1942 Depth=3
	s_or_b64 exec, exec, s[28:29]
	v_mul_f32_e32 v2, v22, v0
	v_and_b32_e32 v31, 0x7f800000, v2
	v_mov_b32_e32 v32, v17
	v_cmp_ne_u64_e32 vcc, s[76:77], v[31:32]
	v_and_b32_e32 v0, 0x7fffff, v2
	v_mov_b32_e32 v1, v17
                                        ; implicit-def: $vgpr9
	s_and_saveexec_b64 s[28:29], vcc
	s_xor_b64 s[34:35], exec, s[28:29]
	s_cbranch_execz .LBB4_2196
; %bb.2183:                             ;   in Loop: Header=BB4_1942 Depth=3
	v_and_b32_e32 v31, 0x7fffffff, v2
	v_mov_b32_e32 v32, v17
	v_cmp_gt_u64_e32 vcc, s[78:79], v[31:32]
	v_and_b32_sdwa v3, v2, s96 dst_sel:DWORD dst_unused:UNUSED_PAD src0_sel:BYTE_3 src1_sel:DWORD
                                        ; implicit-def: $vgpr9
	s_and_saveexec_b64 s[28:29], vcc
	s_xor_b64 s[36:37], exec, s[28:29]
	s_cbranch_execz .LBB4_2193
; %bb.2184:                             ;   in Loop: Header=BB4_1942 Depth=3
	v_mov_b32_e32 v9, 0
	v_cmp_ne_u32_e32 vcc, 0, v2
	s_and_saveexec_b64 s[38:39], vcc
	s_cbranch_execz .LBB4_2192
; %bb.2185:                             ;   in Loop: Header=BB4_1942 Depth=3
	v_bfe_u32 v9, v2, 23, 8
	v_cmp_gt_u32_e64 s[28:29], s46, v9
	v_sub_u32_e32 v2, 0x71, v9
	v_cmp_eq_u32_e32 vcc, 0, v9
	v_cndmask_b32_e64 v2, 0, v2, s[28:29]
	v_mov_b32_e32 v29, 0x70
	v_cndmask_b32_e32 v31, v2, v29, vcc
	v_add_u32_e32 v2, 21, v31
	v_or_b32_e32 v28, 0x800000, v0
	v_lshlrev_b64 v[32:33], v2, -1
	v_cndmask_b32_e32 v0, v28, v0, vcc
	v_add_u32_e32 v2, 20, v31
	v_bfi_b32 v32, v32, 0, v0
	v_lshlrev_b64 v[34:35], v2, 1
	v_lshrrev_b64 v[0:1], v31, v[0:1]
	v_bfi_b32 v33, v33, 0, 0
	v_cmp_eq_u64_e64 s[28:29], v[32:33], v[34:35]
	v_mov_b32_e32 v2, v1
	v_mov_b32_e32 v1, v0
	s_and_saveexec_b64 s[48:49], s[28:29]
; %bb.2186:                             ;   in Loop: Header=BB4_1942 Depth=3
	v_bfe_u32 v1, v0, 21, 1
	v_add_co_u32_e64 v1, s[28:29], v0, v1
	v_add_co_u32_e64 v1, s[28:29], -1, v1
; %bb.2187:                             ;   in Loop: Header=BB4_1942 Depth=3
	s_or_b64 exec, exec, s[48:49]
	v_add_u32_e32 v2, 0xffffff81, v9
	v_mov_b32_e32 v9, 0xffffff82
	v_cndmask_b32_e32 v2, v2, v9, vcc
	v_lshrrev_b32_e32 v9, 23, v0
	v_add3_u32 v31, v31, v2, v9
	v_add_u32_e32 v9, 14, v31
	v_and_b32_e32 v1, 0x1fffff, v1
	v_add_u32_e32 v0, v1, v0
	v_mov_b32_e32 v1, v17
	v_cmp_ne_u32_e32 vcc, 0, v9
                                        ; implicit-def: $vgpr2
	s_and_saveexec_b64 s[28:29], vcc
	s_xor_b64 s[28:29], exec, s[28:29]
; %bb.2188:                             ;   in Loop: Header=BB4_1942 Depth=3
	v_cmp_lt_u64_e32 vcc, s[88:89], v[0:1]
	v_add_u32_e32 v2, 15, v31
	v_cndmask_b32_e32 v2, v9, v2, vcc
	v_cndmask_b32_e64 v9, 0, 1, vcc
	v_lshrrev_b64 v[0:1], v9, v[0:1]
; %bb.2189:                             ;   in Loop: Header=BB4_1942 Depth=3
	s_andn2_saveexec_b64 s[28:29], s[28:29]
; %bb.2190:                             ;   in Loop: Header=BB4_1942 Depth=3
	v_bfe_u32 v2, v0, 23, 1
; %bb.2191:                             ;   in Loop: Header=BB4_1942 Depth=3
	s_or_b64 exec, exec, s[28:29]
	v_lshrrev_b64 v[0:1], 21, v[0:1]
	v_cmp_gt_i32_e32 vcc, 32, v2
	v_cndmask_b32_e32 v1, 0, v1, vcc
	v_cndmask_b32_e32 v0, 3, v0, vcc
	v_cmp_eq_u64_e64 s[28:29], 0, v[0:1]
	v_min_i32_e32 v1, 31, v2
	v_lshlrev_b32_e32 v1, 2, v1
	v_cmp_eq_u32_e32 vcc, 0, v2
	v_and_b32_e32 v1, 0xfc, v1
	v_and_or_b32 v0, v0, 3, v1
	s_and_b64 s[28:29], vcc, s[28:29]
	v_cndmask_b32_e64 v0, v0, 0, s[28:29]
	v_or_b32_e32 v9, v0, v3
.LBB4_2192:                             ;   in Loop: Header=BB4_1942 Depth=3
	s_or_b64 exec, exec, s[38:39]
                                        ; implicit-def: $vgpr3
.LBB4_2193:                             ;   in Loop: Header=BB4_1942 Depth=3
	s_andn2_saveexec_b64 s[28:29], s[36:37]
; %bb.2194:                             ;   in Loop: Header=BB4_1942 Depth=3
	v_or_b32_e32 v9, 0x7b, v3
; %bb.2195:                             ;   in Loop: Header=BB4_1942 Depth=3
	s_or_b64 exec, exec, s[28:29]
                                        ; implicit-def: $vgpr2
                                        ; implicit-def: $vgpr0_vgpr1
.LBB4_2196:                             ;   in Loop: Header=BB4_1942 Depth=3
	s_andn2_saveexec_b64 s[28:29], s[34:35]
	s_cbranch_execz .LBB4_2202
; %bb.2197:                             ;   in Loop: Header=BB4_1942 Depth=3
	v_cmp_ne_u64_e32 vcc, 0, v[0:1]
                                        ; implicit-def: $vgpr9
	s_and_saveexec_b64 s[34:35], vcc
	s_xor_b64 vcc, exec, s[34:35]
; %bb.2198:                             ;   in Loop: Header=BB4_1942 Depth=3
	v_or_b32_sdwa v9, v2, s47 dst_sel:DWORD dst_unused:UNUSED_PAD src0_sel:BYTE_3 src1_sel:DWORD
                                        ; implicit-def: $vgpr2
; %bb.2199:                             ;   in Loop: Header=BB4_1942 Depth=3
	s_andn2_saveexec_b64 s[34:35], vcc
; %bb.2200:                             ;   in Loop: Header=BB4_1942 Depth=3
	v_cmp_lt_i32_e32 vcc, -1, v2
	v_bfrev_b32_e32 v0, 0.5
	v_cndmask_b32_e32 v9, v0, v52, vcc
; %bb.2201:                             ;   in Loop: Header=BB4_1942 Depth=3
	s_or_b64 exec, exec, s[34:35]
.LBB4_2202:                             ;   in Loop: Header=BB4_1942 Depth=3
	s_or_b64 exec, exec, s[28:29]
	v_lshrrev_b16_e32 v0, 8, v10
	v_cmp_ne_u16_e32 vcc, 0, v0
	v_mov_b32_e32 v1, 0
	s_and_saveexec_b64 s[28:29], vcc
	s_cbranch_execz .LBB4_2210
; %bb.2203:                             ;   in Loop: Header=BB4_1942 Depth=3
	v_cmp_ne_u16_e32 vcc, s96, v0
	v_bfrev_b32_e32 v1, 1
	s_and_saveexec_b64 s[34:35], vcc
	s_cbranch_execz .LBB4_2209
; %bb.2204:                             ;   in Loop: Header=BB4_1942 Depth=3
	v_and_b32_e32 v1, 0x7c, v0
	v_and_b32_e32 v2, 3, v0
	v_cmp_ne_u32_e32 vcc, s85, v1
                                        ; implicit-def: $vgpr1
	s_and_saveexec_b64 s[36:37], vcc
	s_xor_b64 s[36:37], exec, s[36:37]
	s_cbranch_execz .LBB4_2206
; %bb.2205:                             ;   in Loop: Header=BB4_1942 Depth=3
	v_ffbh_u32_e32 v28, v2
	v_min_u32_e32 v28, 32, v28
	v_mov_b32_e32 v1, v17
	v_subrev_u32_e32 v29, 29, v28
	v_bfe_u32 v3, v0, 2, 5
	v_lshlrev_b64 v[0:1], v29, v[0:1]
	v_cmp_eq_u32_e32 vcc, 0, v3
	v_and_b32_e32 v0, 3, v0
	v_sub_u32_e32 v1, 30, v28
	v_cndmask_b32_e32 v0, v2, v0, vcc
	v_lshlrev_b32_e32 v2, 16, v10
	v_cndmask_b32_e32 v1, v3, v1, vcc
	v_and_b32_e32 v2, 0x80000000, v2
	v_lshl_add_u32 v1, v1, 23, v2
	v_lshl_or_b32 v0, v0, 21, v1
	v_add_u32_e32 v1, 0x38000000, v0
                                        ; implicit-def: $vgpr2
.LBB4_2206:                             ;   in Loop: Header=BB4_1942 Depth=3
	s_andn2_saveexec_b64 s[36:37], s[36:37]
; %bb.2207:                             ;   in Loop: Header=BB4_1942 Depth=3
	v_cmp_lt_i16_e32 vcc, -1, v10
	v_mov_b32_e32 v0, 0xff800000
	v_mov_b32_e32 v1, 0x7f800000
	v_cndmask_b32_e32 v0, v0, v1, vcc
	v_cmp_eq_u32_e32 vcc, 0, v2
	v_mov_b32_e32 v1, 0x7f800001
	v_cndmask_b32_e32 v1, v1, v0, vcc
; %bb.2208:                             ;   in Loop: Header=BB4_1942 Depth=3
	s_or_b64 exec, exec, s[36:37]
.LBB4_2209:                             ;   in Loop: Header=BB4_1942 Depth=3
	s_or_b64 exec, exec, s[34:35]
.LBB4_2210:                             ;   in Loop: Header=BB4_1942 Depth=3
	s_or_b64 exec, exec, s[28:29]
	v_mul_f32_e32 v2, v22, v1
	v_and_b32_e32 v31, 0x7f800000, v2
	v_mov_b32_e32 v32, v17
	v_cmp_ne_u64_e32 vcc, s[76:77], v[31:32]
	v_and_b32_e32 v0, 0x7fffff, v2
	v_mov_b32_e32 v1, v17
                                        ; implicit-def: $vgpr31
	s_and_saveexec_b64 s[28:29], vcc
	s_xor_b64 s[34:35], exec, s[28:29]
	s_cbranch_execz .LBB4_2224
; %bb.2211:                             ;   in Loop: Header=BB4_1942 Depth=3
	v_and_b32_e32 v31, 0x7fffffff, v2
	v_mov_b32_e32 v32, v17
	v_cmp_gt_u64_e32 vcc, s[78:79], v[31:32]
	v_and_b32_sdwa v3, v2, s96 dst_sel:DWORD dst_unused:UNUSED_PAD src0_sel:BYTE_3 src1_sel:DWORD
                                        ; implicit-def: $vgpr31
	s_and_saveexec_b64 s[28:29], vcc
	s_xor_b64 s[36:37], exec, s[28:29]
	s_cbranch_execz .LBB4_2221
; %bb.2212:                             ;   in Loop: Header=BB4_1942 Depth=3
	v_mov_b32_e32 v31, 0
	v_cmp_ne_u32_e32 vcc, 0, v2
	s_and_saveexec_b64 s[38:39], vcc
	s_cbranch_execz .LBB4_2220
; %bb.2213:                             ;   in Loop: Header=BB4_1942 Depth=3
	v_bfe_u32 v31, v2, 23, 8
	v_cmp_gt_u32_e64 s[28:29], s46, v31
	v_sub_u32_e32 v2, 0x71, v31
	v_cmp_eq_u32_e32 vcc, 0, v31
	v_cndmask_b32_e64 v2, 0, v2, s[28:29]
	v_mov_b32_e32 v29, 0x70
	v_cndmask_b32_e32 v32, v2, v29, vcc
	v_add_u32_e32 v2, 21, v32
	v_or_b32_e32 v28, 0x800000, v0
	v_lshlrev_b64 v[33:34], v2, -1
	v_cndmask_b32_e32 v0, v28, v0, vcc
	v_add_u32_e32 v2, 20, v32
	v_bfi_b32 v33, v33, 0, v0
	v_lshlrev_b64 v[35:36], v2, 1
	v_lshrrev_b64 v[0:1], v32, v[0:1]
	v_bfi_b32 v34, v34, 0, 0
	v_cmp_eq_u64_e64 s[28:29], v[33:34], v[35:36]
	v_mov_b32_e32 v2, v1
	v_mov_b32_e32 v1, v0
	s_and_saveexec_b64 s[48:49], s[28:29]
; %bb.2214:                             ;   in Loop: Header=BB4_1942 Depth=3
	v_bfe_u32 v1, v0, 21, 1
	v_add_co_u32_e64 v1, s[28:29], v0, v1
	v_add_co_u32_e64 v1, s[28:29], -1, v1
; %bb.2215:                             ;   in Loop: Header=BB4_1942 Depth=3
	s_or_b64 exec, exec, s[48:49]
	v_add_u32_e32 v2, 0xffffff81, v31
	v_mov_b32_e32 v28, 0xffffff82
	v_cndmask_b32_e32 v2, v2, v28, vcc
	v_lshrrev_b32_e32 v28, 23, v0
	v_add3_u32 v32, v32, v2, v28
	v_add_u32_e32 v31, 14, v32
	v_and_b32_e32 v1, 0x1fffff, v1
	v_add_u32_e32 v0, v1, v0
	v_mov_b32_e32 v1, v17
	v_cmp_ne_u32_e32 vcc, 0, v31
                                        ; implicit-def: $vgpr2
	s_and_saveexec_b64 s[28:29], vcc
	s_xor_b64 s[28:29], exec, s[28:29]
; %bb.2216:                             ;   in Loop: Header=BB4_1942 Depth=3
	v_cmp_lt_u64_e32 vcc, s[88:89], v[0:1]
	v_add_u32_e32 v2, 15, v32
	v_cndmask_b32_e64 v28, 0, 1, vcc
	v_cndmask_b32_e32 v2, v31, v2, vcc
	v_lshrrev_b64 v[0:1], v28, v[0:1]
; %bb.2217:                             ;   in Loop: Header=BB4_1942 Depth=3
	s_andn2_saveexec_b64 s[28:29], s[28:29]
; %bb.2218:                             ;   in Loop: Header=BB4_1942 Depth=3
	v_bfe_u32 v2, v0, 23, 1
; %bb.2219:                             ;   in Loop: Header=BB4_1942 Depth=3
	s_or_b64 exec, exec, s[28:29]
	v_lshrrev_b64 v[0:1], 21, v[0:1]
	v_cmp_gt_i32_e32 vcc, 32, v2
	v_cndmask_b32_e32 v1, 0, v1, vcc
	v_cndmask_b32_e32 v0, 3, v0, vcc
	v_cmp_eq_u64_e64 s[28:29], 0, v[0:1]
	v_min_i32_e32 v1, 31, v2
	v_lshlrev_b32_e32 v1, 2, v1
	v_cmp_eq_u32_e32 vcc, 0, v2
	v_and_b32_e32 v1, 0xfc, v1
	v_and_or_b32 v0, v0, 3, v1
	s_and_b64 s[28:29], vcc, s[28:29]
	v_cndmask_b32_e64 v0, v0, 0, s[28:29]
	v_or_b32_e32 v31, v0, v3
.LBB4_2220:                             ;   in Loop: Header=BB4_1942 Depth=3
	s_or_b64 exec, exec, s[38:39]
                                        ; implicit-def: $vgpr3
.LBB4_2221:                             ;   in Loop: Header=BB4_1942 Depth=3
	s_andn2_saveexec_b64 s[28:29], s[36:37]
; %bb.2222:                             ;   in Loop: Header=BB4_1942 Depth=3
	v_or_b32_e32 v31, 0x7b, v3
; %bb.2223:                             ;   in Loop: Header=BB4_1942 Depth=3
	s_or_b64 exec, exec, s[28:29]
                                        ; implicit-def: $vgpr2
                                        ; implicit-def: $vgpr0_vgpr1
.LBB4_2224:                             ;   in Loop: Header=BB4_1942 Depth=3
	s_andn2_saveexec_b64 s[28:29], s[34:35]
	s_cbranch_execz .LBB4_2230
; %bb.2225:                             ;   in Loop: Header=BB4_1942 Depth=3
	v_cmp_ne_u64_e32 vcc, 0, v[0:1]
                                        ; implicit-def: $vgpr31
	s_and_saveexec_b64 s[34:35], vcc
	s_xor_b64 vcc, exec, s[34:35]
; %bb.2226:                             ;   in Loop: Header=BB4_1942 Depth=3
	v_or_b32_sdwa v31, v2, s47 dst_sel:DWORD dst_unused:UNUSED_PAD src0_sel:BYTE_3 src1_sel:DWORD
                                        ; implicit-def: $vgpr2
; %bb.2227:                             ;   in Loop: Header=BB4_1942 Depth=3
	s_andn2_saveexec_b64 s[34:35], vcc
; %bb.2228:                             ;   in Loop: Header=BB4_1942 Depth=3
	v_cmp_lt_i32_e32 vcc, -1, v2
	v_bfrev_b32_e32 v0, 0.5
	v_cndmask_b32_e32 v31, v0, v52, vcc
; %bb.2229:                             ;   in Loop: Header=BB4_1942 Depth=3
	s_or_b64 exec, exec, s[34:35]
.LBB4_2230:                             ;   in Loop: Header=BB4_1942 Depth=3
	s_or_b64 exec, exec, s[28:29]
	v_lshrrev_b32_e32 v0, 16, v10
	v_cmp_ne_u16_sdwa vcc, v0, v17 src0_sel:BYTE_0 src1_sel:DWORD
	v_mov_b32_e32 v1, 0
	s_and_saveexec_b64 s[28:29], vcc
	s_cbranch_execz .LBB4_2238
; %bb.2231:                             ;   in Loop: Header=BB4_1942 Depth=3
	v_cmp_ne_u16_sdwa vcc, v0, s96 src0_sel:BYTE_0 src1_sel:DWORD
	v_bfrev_b32_e32 v1, 1
	s_and_saveexec_b64 s[34:35], vcc
	s_cbranch_execz .LBB4_2237
; %bb.2232:                             ;   in Loop: Header=BB4_1942 Depth=3
	v_and_b32_e32 v1, 0x7c0000, v10
	v_bfe_u32 v2, v10, 16, 2
	v_cmp_ne_u32_e32 vcc, s44, v1
                                        ; implicit-def: $vgpr1
	s_and_saveexec_b64 s[36:37], vcc
	s_xor_b64 s[36:37], exec, s[36:37]
	s_cbranch_execz .LBB4_2234
; %bb.2233:                             ;   in Loop: Header=BB4_1942 Depth=3
	v_ffbh_u32_e32 v1, v2
	v_min_u32_e32 v28, 32, v1
	v_subrev_u32_e32 v1, 29, v28
	v_lshlrev_b64 v[0:1], v1, v[0:1]
	v_bfe_u32 v3, v10, 18, 5
	v_and_b32_e32 v0, 3, v0
	v_cmp_eq_u32_e32 vcc, 0, v3
	v_sub_u32_e32 v1, 30, v28
	v_cndmask_b32_e32 v0, v2, v0, vcc
	v_lshlrev_b32_e32 v2, 8, v10
	v_cndmask_b32_e32 v1, v3, v1, vcc
	v_and_b32_e32 v2, 0x80000000, v2
	v_lshl_add_u32 v1, v1, 23, v2
	v_lshl_or_b32 v0, v0, 21, v1
	v_add_u32_e32 v1, 0x38000000, v0
                                        ; implicit-def: $vgpr2
                                        ; implicit-def: $vgpr0
.LBB4_2234:                             ;   in Loop: Header=BB4_1942 Depth=3
	s_andn2_saveexec_b64 s[36:37], s[36:37]
; %bb.2235:                             ;   in Loop: Header=BB4_1942 Depth=3
	v_mov_b32_e32 v1, -1
	v_cmp_gt_i16_sdwa vcc, sext(v0), v1 src0_sel:BYTE_0 src1_sel:DWORD
	v_mov_b32_e32 v0, 0xff800000
	v_mov_b32_e32 v1, 0x7f800000
	v_cndmask_b32_e32 v0, v0, v1, vcc
	v_cmp_eq_u32_e32 vcc, 0, v2
	v_mov_b32_e32 v1, 0x7f800001
	v_cndmask_b32_e32 v1, v1, v0, vcc
; %bb.2236:                             ;   in Loop: Header=BB4_1942 Depth=3
	s_or_b64 exec, exec, s[36:37]
.LBB4_2237:                             ;   in Loop: Header=BB4_1942 Depth=3
	s_or_b64 exec, exec, s[34:35]
.LBB4_2238:                             ;   in Loop: Header=BB4_1942 Depth=3
	s_or_b64 exec, exec, s[28:29]
	v_mul_f32_e32 v2, v22, v1
	v_and_b32_e32 v32, 0x7f800000, v2
	v_mov_b32_e32 v33, v17
	v_cmp_ne_u64_e32 vcc, s[76:77], v[32:33]
	v_and_b32_e32 v0, 0x7fffff, v2
	v_mov_b32_e32 v1, v17
                                        ; implicit-def: $vgpr32
	s_and_saveexec_b64 s[28:29], vcc
	s_xor_b64 s[34:35], exec, s[28:29]
	s_cbranch_execz .LBB4_2252
; %bb.2239:                             ;   in Loop: Header=BB4_1942 Depth=3
	v_and_b32_e32 v32, 0x7fffffff, v2
	v_mov_b32_e32 v33, v17
	v_cmp_gt_u64_e32 vcc, s[78:79], v[32:33]
	v_and_b32_sdwa v3, v2, s96 dst_sel:DWORD dst_unused:UNUSED_PAD src0_sel:BYTE_3 src1_sel:DWORD
                                        ; implicit-def: $vgpr32
	s_and_saveexec_b64 s[28:29], vcc
	s_xor_b64 s[36:37], exec, s[28:29]
	s_cbranch_execz .LBB4_2249
; %bb.2240:                             ;   in Loop: Header=BB4_1942 Depth=3
	v_mov_b32_e32 v32, 0
	v_cmp_ne_u32_e32 vcc, 0, v2
	s_and_saveexec_b64 s[38:39], vcc
	s_cbranch_execz .LBB4_2248
; %bb.2241:                             ;   in Loop: Header=BB4_1942 Depth=3
	v_bfe_u32 v32, v2, 23, 8
	v_cmp_gt_u32_e64 s[28:29], s46, v32
	v_sub_u32_e32 v2, 0x71, v32
	v_cmp_eq_u32_e32 vcc, 0, v32
	v_cndmask_b32_e64 v2, 0, v2, s[28:29]
	v_mov_b32_e32 v29, 0x70
	v_cndmask_b32_e32 v33, v2, v29, vcc
	v_add_u32_e32 v2, 21, v33
	v_or_b32_e32 v28, 0x800000, v0
	v_lshlrev_b64 v[34:35], v2, -1
	v_cndmask_b32_e32 v0, v28, v0, vcc
	v_add_u32_e32 v2, 20, v33
	v_bfi_b32 v34, v34, 0, v0
	v_lshlrev_b64 v[36:37], v2, 1
	v_lshrrev_b64 v[0:1], v33, v[0:1]
	v_bfi_b32 v35, v35, 0, 0
	v_cmp_eq_u64_e64 s[28:29], v[34:35], v[36:37]
	v_mov_b32_e32 v2, v1
	v_mov_b32_e32 v1, v0
	s_and_saveexec_b64 s[48:49], s[28:29]
; %bb.2242:                             ;   in Loop: Header=BB4_1942 Depth=3
	v_bfe_u32 v1, v0, 21, 1
	v_add_co_u32_e64 v1, s[28:29], v0, v1
	v_add_co_u32_e64 v1, s[28:29], -1, v1
; %bb.2243:                             ;   in Loop: Header=BB4_1942 Depth=3
	s_or_b64 exec, exec, s[48:49]
	v_add_u32_e32 v2, 0xffffff81, v32
	v_mov_b32_e32 v28, 0xffffff82
	v_cndmask_b32_e32 v2, v2, v28, vcc
	v_lshrrev_b32_e32 v28, 23, v0
	v_add3_u32 v33, v33, v2, v28
	v_add_u32_e32 v32, 14, v33
	v_and_b32_e32 v1, 0x1fffff, v1
	v_add_u32_e32 v0, v1, v0
	v_mov_b32_e32 v1, v17
	v_cmp_ne_u32_e32 vcc, 0, v32
                                        ; implicit-def: $vgpr2
	s_and_saveexec_b64 s[28:29], vcc
	s_xor_b64 s[28:29], exec, s[28:29]
; %bb.2244:                             ;   in Loop: Header=BB4_1942 Depth=3
	v_cmp_lt_u64_e32 vcc, s[88:89], v[0:1]
	v_add_u32_e32 v2, 15, v33
	v_cndmask_b32_e64 v28, 0, 1, vcc
	v_cndmask_b32_e32 v2, v32, v2, vcc
	v_lshrrev_b64 v[0:1], v28, v[0:1]
; %bb.2245:                             ;   in Loop: Header=BB4_1942 Depth=3
	s_andn2_saveexec_b64 s[28:29], s[28:29]
; %bb.2246:                             ;   in Loop: Header=BB4_1942 Depth=3
	v_bfe_u32 v2, v0, 23, 1
; %bb.2247:                             ;   in Loop: Header=BB4_1942 Depth=3
	s_or_b64 exec, exec, s[28:29]
	v_lshrrev_b64 v[0:1], 21, v[0:1]
	v_cmp_gt_i32_e32 vcc, 32, v2
	v_cndmask_b32_e32 v1, 0, v1, vcc
	v_cndmask_b32_e32 v0, 3, v0, vcc
	v_cmp_eq_u64_e64 s[28:29], 0, v[0:1]
	v_min_i32_e32 v1, 31, v2
	v_lshlrev_b32_e32 v1, 2, v1
	v_cmp_eq_u32_e32 vcc, 0, v2
	v_and_b32_e32 v1, 0xfc, v1
	v_and_or_b32 v0, v0, 3, v1
	s_and_b64 s[28:29], vcc, s[28:29]
	v_cndmask_b32_e64 v0, v0, 0, s[28:29]
	v_or_b32_e32 v32, v0, v3
.LBB4_2248:                             ;   in Loop: Header=BB4_1942 Depth=3
	s_or_b64 exec, exec, s[38:39]
                                        ; implicit-def: $vgpr3
.LBB4_2249:                             ;   in Loop: Header=BB4_1942 Depth=3
	s_andn2_saveexec_b64 s[28:29], s[36:37]
; %bb.2250:                             ;   in Loop: Header=BB4_1942 Depth=3
	v_or_b32_e32 v32, 0x7b, v3
; %bb.2251:                             ;   in Loop: Header=BB4_1942 Depth=3
	s_or_b64 exec, exec, s[28:29]
                                        ; implicit-def: $vgpr2
                                        ; implicit-def: $vgpr0_vgpr1
.LBB4_2252:                             ;   in Loop: Header=BB4_1942 Depth=3
	s_andn2_saveexec_b64 s[28:29], s[34:35]
	s_cbranch_execz .LBB4_2258
; %bb.2253:                             ;   in Loop: Header=BB4_1942 Depth=3
	v_cmp_ne_u64_e32 vcc, 0, v[0:1]
                                        ; implicit-def: $vgpr32
	s_and_saveexec_b64 s[34:35], vcc
	s_xor_b64 vcc, exec, s[34:35]
; %bb.2254:                             ;   in Loop: Header=BB4_1942 Depth=3
	v_or_b32_sdwa v32, v2, s47 dst_sel:DWORD dst_unused:UNUSED_PAD src0_sel:BYTE_3 src1_sel:DWORD
                                        ; implicit-def: $vgpr2
; %bb.2255:                             ;   in Loop: Header=BB4_1942 Depth=3
	s_andn2_saveexec_b64 s[34:35], vcc
; %bb.2256:                             ;   in Loop: Header=BB4_1942 Depth=3
	v_cmp_lt_i32_e32 vcc, -1, v2
	v_bfrev_b32_e32 v0, 0.5
	v_cndmask_b32_e32 v32, v0, v52, vcc
; %bb.2257:                             ;   in Loop: Header=BB4_1942 Depth=3
	s_or_b64 exec, exec, s[34:35]
.LBB4_2258:                             ;   in Loop: Header=BB4_1942 Depth=3
	s_or_b64 exec, exec, s[28:29]
	v_cmp_lt_u32_e32 vcc, s57, v10
	v_mov_b32_e32 v1, 0
	s_and_saveexec_b64 s[28:29], vcc
	s_cbranch_execz .LBB4_2266
; %bb.2259:                             ;   in Loop: Header=BB4_1942 Depth=3
	v_lshrrev_b32_e32 v0, 24, v10
	v_cmp_ne_u32_e32 vcc, s96, v0
	v_bfrev_b32_e32 v1, 1
	s_and_saveexec_b64 s[34:35], vcc
	s_cbranch_execz .LBB4_2265
; %bb.2260:                             ;   in Loop: Header=BB4_1942 Depth=3
	v_and_b32_e32 v1, 0x7c000000, v10
	v_bfe_u32 v2, v10, 24, 2
	v_cmp_ne_u32_e32 vcc, s45, v1
                                        ; implicit-def: $vgpr1
	s_and_saveexec_b64 s[36:37], vcc
	s_xor_b64 s[36:37], exec, s[36:37]
	s_cbranch_execz .LBB4_2262
; %bb.2261:                             ;   in Loop: Header=BB4_1942 Depth=3
	v_ffbh_u32_e32 v1, v2
	v_min_u32_e32 v28, 32, v1
	v_subrev_u32_e32 v1, 29, v28
	v_lshlrev_b64 v[0:1], v1, v[0:1]
	v_bfe_u32 v3, v10, 26, 5
	v_sub_u32_e32 v1, 30, v28
	v_and_b32_e32 v0, 3, v0
	v_cmp_eq_u32_e32 vcc, 0, v3
	v_cndmask_b32_e32 v1, v3, v1, vcc
	v_cndmask_b32_e32 v0, v2, v0, vcc
	v_and_b32_e32 v2, 0x80000000, v10
	v_lshl_add_u32 v1, v1, 23, v2
	v_lshl_or_b32 v0, v0, 21, v1
	v_add_u32_e32 v1, 0x38000000, v0
                                        ; implicit-def: $vgpr2
.LBB4_2262:                             ;   in Loop: Header=BB4_1942 Depth=3
	s_andn2_saveexec_b64 s[36:37], s[36:37]
; %bb.2263:                             ;   in Loop: Header=BB4_1942 Depth=3
	v_cmp_lt_i32_e32 vcc, -1, v10
	v_mov_b32_e32 v0, 0xff800000
	v_mov_b32_e32 v1, 0x7f800000
	v_cndmask_b32_e32 v0, v0, v1, vcc
	v_cmp_eq_u32_e32 vcc, 0, v2
	v_mov_b32_e32 v1, 0x7f800001
	v_cndmask_b32_e32 v1, v1, v0, vcc
; %bb.2264:                             ;   in Loop: Header=BB4_1942 Depth=3
	s_or_b64 exec, exec, s[36:37]
.LBB4_2265:                             ;   in Loop: Header=BB4_1942 Depth=3
	s_or_b64 exec, exec, s[34:35]
.LBB4_2266:                             ;   in Loop: Header=BB4_1942 Depth=3
	s_or_b64 exec, exec, s[28:29]
	v_mul_f32_e32 v2, v22, v1
	v_and_b32_e32 v33, 0x7f800000, v2
	v_mov_b32_e32 v34, v17
	v_cmp_ne_u64_e32 vcc, s[76:77], v[33:34]
	v_and_b32_e32 v0, 0x7fffff, v2
	v_mov_b32_e32 v1, v17
                                        ; implicit-def: $vgpr33
	s_and_saveexec_b64 s[28:29], vcc
	s_xor_b64 s[34:35], exec, s[28:29]
	s_cbranch_execz .LBB4_2280
; %bb.2267:                             ;   in Loop: Header=BB4_1942 Depth=3
	v_and_b32_e32 v33, 0x7fffffff, v2
	v_mov_b32_e32 v34, v17
	v_cmp_gt_u64_e32 vcc, s[78:79], v[33:34]
	v_and_b32_sdwa v3, v2, s96 dst_sel:DWORD dst_unused:UNUSED_PAD src0_sel:BYTE_3 src1_sel:DWORD
                                        ; implicit-def: $vgpr33
	s_and_saveexec_b64 s[28:29], vcc
	s_xor_b64 s[36:37], exec, s[28:29]
	s_cbranch_execz .LBB4_2277
; %bb.2268:                             ;   in Loop: Header=BB4_1942 Depth=3
	v_mov_b32_e32 v33, 0
	v_cmp_ne_u32_e32 vcc, 0, v2
	s_and_saveexec_b64 s[38:39], vcc
	s_cbranch_execz .LBB4_2276
; %bb.2269:                             ;   in Loop: Header=BB4_1942 Depth=3
	v_bfe_u32 v33, v2, 23, 8
	v_cmp_gt_u32_e64 s[28:29], s46, v33
	v_sub_u32_e32 v2, 0x71, v33
	v_cmp_eq_u32_e32 vcc, 0, v33
	v_cndmask_b32_e64 v2, 0, v2, s[28:29]
	v_mov_b32_e32 v29, 0x70
	v_cndmask_b32_e32 v34, v2, v29, vcc
	v_add_u32_e32 v2, 21, v34
	v_or_b32_e32 v28, 0x800000, v0
	v_lshlrev_b64 v[35:36], v2, -1
	v_cndmask_b32_e32 v0, v28, v0, vcc
	v_add_u32_e32 v2, 20, v34
	v_bfi_b32 v35, v35, 0, v0
	v_lshlrev_b64 v[37:38], v2, 1
	v_lshrrev_b64 v[0:1], v34, v[0:1]
	v_bfi_b32 v36, v36, 0, 0
	v_cmp_eq_u64_e64 s[28:29], v[35:36], v[37:38]
	v_mov_b32_e32 v2, v1
	v_mov_b32_e32 v1, v0
	s_and_saveexec_b64 s[48:49], s[28:29]
; %bb.2270:                             ;   in Loop: Header=BB4_1942 Depth=3
	v_bfe_u32 v1, v0, 21, 1
	v_add_co_u32_e64 v1, s[28:29], v0, v1
	v_add_co_u32_e64 v1, s[28:29], -1, v1
; %bb.2271:                             ;   in Loop: Header=BB4_1942 Depth=3
	s_or_b64 exec, exec, s[48:49]
	v_add_u32_e32 v2, 0xffffff81, v33
	v_mov_b32_e32 v28, 0xffffff82
	v_cndmask_b32_e32 v2, v2, v28, vcc
	v_lshrrev_b32_e32 v28, 23, v0
	v_add3_u32 v34, v34, v2, v28
	v_add_u32_e32 v33, 14, v34
	v_and_b32_e32 v1, 0x1fffff, v1
	v_add_u32_e32 v0, v1, v0
	v_mov_b32_e32 v1, v17
	v_cmp_ne_u32_e32 vcc, 0, v33
                                        ; implicit-def: $vgpr2
	s_and_saveexec_b64 s[28:29], vcc
	s_xor_b64 s[28:29], exec, s[28:29]
; %bb.2272:                             ;   in Loop: Header=BB4_1942 Depth=3
	v_cmp_lt_u64_e32 vcc, s[88:89], v[0:1]
	v_add_u32_e32 v2, 15, v34
	v_cndmask_b32_e64 v28, 0, 1, vcc
	v_cndmask_b32_e32 v2, v33, v2, vcc
	v_lshrrev_b64 v[0:1], v28, v[0:1]
; %bb.2273:                             ;   in Loop: Header=BB4_1942 Depth=3
	s_andn2_saveexec_b64 s[28:29], s[28:29]
; %bb.2274:                             ;   in Loop: Header=BB4_1942 Depth=3
	v_bfe_u32 v2, v0, 23, 1
; %bb.2275:                             ;   in Loop: Header=BB4_1942 Depth=3
	s_or_b64 exec, exec, s[28:29]
	v_lshrrev_b64 v[0:1], 21, v[0:1]
	v_cmp_gt_i32_e32 vcc, 32, v2
	v_cndmask_b32_e32 v1, 0, v1, vcc
	v_cndmask_b32_e32 v0, 3, v0, vcc
	v_cmp_eq_u64_e64 s[28:29], 0, v[0:1]
	v_min_i32_e32 v1, 31, v2
	v_lshlrev_b32_e32 v1, 2, v1
	v_cmp_eq_u32_e32 vcc, 0, v2
	v_and_b32_e32 v1, 0xfc, v1
	v_and_or_b32 v0, v0, 3, v1
	s_and_b64 s[28:29], vcc, s[28:29]
	v_cndmask_b32_e64 v0, v0, 0, s[28:29]
	v_or_b32_e32 v33, v0, v3
.LBB4_2276:                             ;   in Loop: Header=BB4_1942 Depth=3
	s_or_b64 exec, exec, s[38:39]
                                        ; implicit-def: $vgpr3
.LBB4_2277:                             ;   in Loop: Header=BB4_1942 Depth=3
	s_andn2_saveexec_b64 s[28:29], s[36:37]
; %bb.2278:                             ;   in Loop: Header=BB4_1942 Depth=3
	v_or_b32_e32 v33, 0x7b, v3
; %bb.2279:                             ;   in Loop: Header=BB4_1942 Depth=3
	s_or_b64 exec, exec, s[28:29]
                                        ; implicit-def: $vgpr2
                                        ; implicit-def: $vgpr0_vgpr1
.LBB4_2280:                             ;   in Loop: Header=BB4_1942 Depth=3
	s_andn2_saveexec_b64 s[28:29], s[34:35]
	s_cbranch_execz .LBB4_2286
; %bb.2281:                             ;   in Loop: Header=BB4_1942 Depth=3
	v_cmp_ne_u64_e32 vcc, 0, v[0:1]
                                        ; implicit-def: $vgpr33
	s_and_saveexec_b64 s[34:35], vcc
	s_xor_b64 vcc, exec, s[34:35]
; %bb.2282:                             ;   in Loop: Header=BB4_1942 Depth=3
	v_or_b32_sdwa v33, v2, s47 dst_sel:DWORD dst_unused:UNUSED_PAD src0_sel:BYTE_3 src1_sel:DWORD
                                        ; implicit-def: $vgpr2
; %bb.2283:                             ;   in Loop: Header=BB4_1942 Depth=3
	s_andn2_saveexec_b64 s[34:35], vcc
; %bb.2284:                             ;   in Loop: Header=BB4_1942 Depth=3
	v_cmp_lt_i32_e32 vcc, -1, v2
	v_bfrev_b32_e32 v0, 0.5
	v_cndmask_b32_e32 v33, v0, v52, vcc
; %bb.2285:                             ;   in Loop: Header=BB4_1942 Depth=3
	s_or_b64 exec, exec, s[34:35]
.LBB4_2286:                             ;   in Loop: Header=BB4_1942 Depth=3
	s_or_b64 exec, exec, s[28:29]
	v_mov_b32_e32 v0, v11
	v_mov_b32_e32 v1, v17
	v_cmp_ne_u16_sdwa vcc, v11, v17 src0_sel:BYTE_0 src1_sel:DWORD
	v_mov_b32_e32 v2, 0
	s_and_saveexec_b64 s[28:29], vcc
	s_cbranch_execz .LBB4_2294
; %bb.2287:                             ;   in Loop: Header=BB4_1942 Depth=3
	v_cmp_ne_u16_sdwa vcc, v11, s96 src0_sel:BYTE_0 src1_sel:DWORD
	v_bfrev_b32_e32 v2, 1
	s_and_saveexec_b64 s[34:35], vcc
	s_cbranch_execz .LBB4_2293
; %bb.2288:                             ;   in Loop: Header=BB4_1942 Depth=3
	v_and_b32_e32 v2, 0x7c, v11
	v_and_b32_e32 v3, 3, v11
	v_cmp_ne_u32_e32 vcc, s85, v2
                                        ; implicit-def: $vgpr2
	s_and_saveexec_b64 s[36:37], vcc
	s_xor_b64 s[36:37], exec, s[36:37]
	s_cbranch_execz .LBB4_2290
; %bb.2289:                             ;   in Loop: Header=BB4_1942 Depth=3
	v_ffbh_u32_e32 v2, v3
	v_min_u32_e32 v29, 32, v2
	v_subrev_u32_e32 v2, 29, v29
	v_lshlrev_b64 v[1:2], v2, v[0:1]
	v_bfe_u32 v28, v11, 2, 5
	v_and_b32_e32 v1, 3, v1
	v_cmp_eq_u32_e32 vcc, 0, v28
	v_sub_u32_e32 v2, 30, v29
	v_cndmask_b32_e32 v1, v3, v1, vcc
	v_lshlrev_b32_e32 v3, 24, v11
	v_cndmask_b32_e32 v2, v28, v2, vcc
	v_and_b32_e32 v3, 0x80000000, v3
	v_lshl_add_u32 v2, v2, 23, v3
	v_lshl_or_b32 v1, v1, 21, v2
	v_add_u32_e32 v2, 0x38000000, v1
                                        ; implicit-def: $vgpr3
.LBB4_2290:                             ;   in Loop: Header=BB4_1942 Depth=3
	s_andn2_saveexec_b64 s[36:37], s[36:37]
; %bb.2291:                             ;   in Loop: Header=BB4_1942 Depth=3
	v_mov_b32_e32 v1, -1
	v_cmp_gt_i16_sdwa vcc, sext(v11), v1 src0_sel:BYTE_0 src1_sel:DWORD
	v_mov_b32_e32 v1, 0xff800000
	v_mov_b32_e32 v2, 0x7f800000
	v_cndmask_b32_e32 v1, v1, v2, vcc
	v_cmp_eq_u32_e32 vcc, 0, v3
	v_mov_b32_e32 v2, 0x7f800001
	v_cndmask_b32_e32 v2, v2, v1, vcc
; %bb.2292:                             ;   in Loop: Header=BB4_1942 Depth=3
	s_or_b64 exec, exec, s[36:37]
.LBB4_2293:                             ;   in Loop: Header=BB4_1942 Depth=3
	s_or_b64 exec, exec, s[34:35]
.LBB4_2294:                             ;   in Loop: Header=BB4_1942 Depth=3
	s_or_b64 exec, exec, s[28:29]
	v_mul_f32_e32 v35, v22, v2
	v_and_b32_e32 v2, 0x7f800000, v35
	v_mov_b32_e32 v3, v17
	v_cmp_ne_u64_e32 vcc, s[76:77], v[2:3]
	v_and_b32_e32 v1, 0x7fffff, v35
	v_mov_b32_e32 v2, v17
                                        ; implicit-def: $vgpr3
	s_and_saveexec_b64 s[28:29], vcc
	s_xor_b64 s[34:35], exec, s[28:29]
	s_cbranch_execz .LBB4_2308
; %bb.2295:                             ;   in Loop: Header=BB4_1942 Depth=3
	v_and_b32_e32 v36, 0x7fffffff, v35
	v_mov_b32_e32 v37, v17
	v_cmp_gt_u64_e32 vcc, s[78:79], v[36:37]
	v_and_b32_sdwa v34, v35, s96 dst_sel:DWORD dst_unused:UNUSED_PAD src0_sel:BYTE_3 src1_sel:DWORD
                                        ; implicit-def: $vgpr3
	s_and_saveexec_b64 s[28:29], vcc
	s_xor_b64 s[36:37], exec, s[28:29]
	s_cbranch_execz .LBB4_2305
; %bb.2296:                             ;   in Loop: Header=BB4_1942 Depth=3
	v_mov_b32_e32 v3, 0
	v_cmp_ne_u32_e32 vcc, 0, v35
	s_and_saveexec_b64 s[38:39], vcc
	s_cbranch_execz .LBB4_2304
; %bb.2297:                             ;   in Loop: Header=BB4_1942 Depth=3
	v_bfe_u32 v35, v35, 23, 8
	v_cmp_gt_u32_e64 s[28:29], s46, v35
	v_sub_u32_e32 v3, 0x71, v35
	v_cmp_eq_u32_e32 vcc, 0, v35
	v_cndmask_b32_e64 v3, 0, v3, s[28:29]
	v_mov_b32_e32 v29, 0x70
	v_cndmask_b32_e32 v36, v3, v29, vcc
	v_add_u32_e32 v3, 21, v36
	v_or_b32_e32 v28, 0x800000, v1
	v_lshlrev_b64 v[37:38], v3, -1
	v_cndmask_b32_e32 v1, v28, v1, vcc
	v_add_u32_e32 v3, 20, v36
	v_bfi_b32 v37, v37, 0, v1
	v_lshlrev_b64 v[48:49], v3, 1
	v_lshrrev_b64 v[1:2], v36, v[1:2]
	v_bfi_b32 v38, v38, 0, 0
	v_cmp_eq_u64_e64 s[28:29], v[37:38], v[48:49]
	v_mov_b32_e32 v3, v2
	v_mov_b32_e32 v2, v1
	s_and_saveexec_b64 s[48:49], s[28:29]
; %bb.2298:                             ;   in Loop: Header=BB4_1942 Depth=3
	v_bfe_u32 v2, v1, 21, 1
	v_add_co_u32_e64 v2, s[28:29], v1, v2
	v_add_co_u32_e64 v2, s[28:29], -1, v2
; %bb.2299:                             ;   in Loop: Header=BB4_1942 Depth=3
	s_or_b64 exec, exec, s[48:49]
	v_add_u32_e32 v3, 0xffffff81, v35
	v_mov_b32_e32 v28, 0xffffff82
	v_cndmask_b32_e32 v3, v3, v28, vcc
	v_lshrrev_b32_e32 v28, 23, v1
	v_add3_u32 v36, v36, v3, v28
	v_add_u32_e32 v35, 14, v36
	v_and_b32_e32 v2, 0x1fffff, v2
	v_add_u32_e32 v1, v2, v1
	v_mov_b32_e32 v2, v17
	v_cmp_ne_u32_e32 vcc, 0, v35
                                        ; implicit-def: $vgpr3
	s_and_saveexec_b64 s[28:29], vcc
	s_xor_b64 s[28:29], exec, s[28:29]
; %bb.2300:                             ;   in Loop: Header=BB4_1942 Depth=3
	v_cmp_lt_u64_e32 vcc, s[88:89], v[1:2]
	v_add_u32_e32 v3, 15, v36
	v_cndmask_b32_e64 v28, 0, 1, vcc
	v_cndmask_b32_e32 v3, v35, v3, vcc
	v_lshrrev_b64 v[1:2], v28, v[1:2]
; %bb.2301:                             ;   in Loop: Header=BB4_1942 Depth=3
	s_andn2_saveexec_b64 s[28:29], s[28:29]
; %bb.2302:                             ;   in Loop: Header=BB4_1942 Depth=3
	v_bfe_u32 v3, v1, 23, 1
; %bb.2303:                             ;   in Loop: Header=BB4_1942 Depth=3
	s_or_b64 exec, exec, s[28:29]
	v_lshrrev_b64 v[1:2], 21, v[1:2]
	v_cmp_gt_i32_e32 vcc, 32, v3
	v_cndmask_b32_e32 v2, 0, v2, vcc
	v_cndmask_b32_e32 v1, 3, v1, vcc
	v_cmp_eq_u64_e64 s[28:29], 0, v[1:2]
	v_min_i32_e32 v2, 31, v3
	v_lshlrev_b32_e32 v2, 2, v2
	v_cmp_eq_u32_e32 vcc, 0, v3
	v_and_b32_e32 v2, 0xfc, v2
	v_and_or_b32 v1, v1, 3, v2
	s_and_b64 s[28:29], vcc, s[28:29]
	v_cndmask_b32_e64 v1, v1, 0, s[28:29]
	v_or_b32_e32 v3, v1, v34
.LBB4_2304:                             ;   in Loop: Header=BB4_1942 Depth=3
	s_or_b64 exec, exec, s[38:39]
                                        ; implicit-def: $vgpr34
.LBB4_2305:                             ;   in Loop: Header=BB4_1942 Depth=3
	s_andn2_saveexec_b64 s[28:29], s[36:37]
; %bb.2306:                             ;   in Loop: Header=BB4_1942 Depth=3
	v_or_b32_e32 v3, 0x7b, v34
; %bb.2307:                             ;   in Loop: Header=BB4_1942 Depth=3
	s_or_b64 exec, exec, s[28:29]
                                        ; implicit-def: $vgpr35
                                        ; implicit-def: $vgpr1_vgpr2
.LBB4_2308:                             ;   in Loop: Header=BB4_1942 Depth=3
	s_andn2_saveexec_b64 s[28:29], s[34:35]
	s_cbranch_execz .LBB4_2314
; %bb.2309:                             ;   in Loop: Header=BB4_1942 Depth=3
	v_cmp_ne_u64_e32 vcc, 0, v[1:2]
                                        ; implicit-def: $vgpr3
	s_and_saveexec_b64 s[34:35], vcc
	s_xor_b64 vcc, exec, s[34:35]
; %bb.2310:                             ;   in Loop: Header=BB4_1942 Depth=3
	v_or_b32_sdwa v3, v35, s47 dst_sel:DWORD dst_unused:UNUSED_PAD src0_sel:BYTE_3 src1_sel:DWORD
                                        ; implicit-def: $vgpr35
; %bb.2311:                             ;   in Loop: Header=BB4_1942 Depth=3
	s_andn2_saveexec_b64 s[34:35], vcc
; %bb.2312:                             ;   in Loop: Header=BB4_1942 Depth=3
	v_cmp_lt_i32_e32 vcc, -1, v35
	v_bfrev_b32_e32 v1, 0.5
	v_cndmask_b32_e32 v3, v1, v52, vcc
; %bb.2313:                             ;   in Loop: Header=BB4_1942 Depth=3
	s_or_b64 exec, exec, s[34:35]
.LBB4_2314:                             ;   in Loop: Header=BB4_1942 Depth=3
	s_or_b64 exec, exec, s[28:29]
	v_lshrrev_b16_e32 v1, 8, v0
	v_cmp_ne_u16_e32 vcc, 0, v1
	v_mov_b32_e32 v2, 0
	s_and_saveexec_b64 s[28:29], vcc
	s_cbranch_execz .LBB4_2322
; %bb.2315:                             ;   in Loop: Header=BB4_1942 Depth=3
	v_cmp_ne_u16_e32 vcc, s96, v1
	v_bfrev_b32_e32 v2, 1
	s_and_saveexec_b64 s[34:35], vcc
	s_cbranch_execz .LBB4_2321
; %bb.2316:                             ;   in Loop: Header=BB4_1942 Depth=3
	v_and_b32_e32 v2, 0x7c, v1
	v_and_b32_e32 v34, 3, v1
	v_cmp_ne_u32_e32 vcc, s85, v2
                                        ; implicit-def: $vgpr2
	s_and_saveexec_b64 s[36:37], vcc
	s_xor_b64 s[36:37], exec, s[36:37]
	s_cbranch_execz .LBB4_2318
; %bb.2317:                             ;   in Loop: Header=BB4_1942 Depth=3
	v_ffbh_u32_e32 v29, v34
	v_min_u32_e32 v29, 32, v29
	v_mov_b32_e32 v2, v17
	v_subrev_u32_e32 v35, 29, v29
	v_bfe_u32 v28, v1, 2, 5
	v_lshlrev_b64 v[1:2], v35, v[1:2]
	v_sub_u32_e32 v2, 30, v29
	v_cmp_eq_u32_e32 vcc, 0, v28
	v_lshlrev_b32_e32 v0, 16, v0
	v_and_b32_e32 v1, 3, v1
	v_cndmask_b32_e32 v2, v28, v2, vcc
	v_and_b32_e32 v0, 0x80000000, v0
	v_cndmask_b32_e32 v1, v34, v1, vcc
	v_lshl_add_u32 v0, v2, 23, v0
	v_lshl_or_b32 v0, v1, 21, v0
	v_add_u32_e32 v2, 0x38000000, v0
                                        ; implicit-def: $vgpr34
                                        ; implicit-def: $vgpr0_vgpr1
.LBB4_2318:                             ;   in Loop: Header=BB4_1942 Depth=3
	s_andn2_saveexec_b64 s[36:37], s[36:37]
; %bb.2319:                             ;   in Loop: Header=BB4_1942 Depth=3
	v_cmp_lt_i16_e32 vcc, -1, v0
	v_mov_b32_e32 v0, 0xff800000
	v_mov_b32_e32 v1, 0x7f800000
	v_cndmask_b32_e32 v0, v0, v1, vcc
	v_cmp_eq_u32_e32 vcc, 0, v34
	v_mov_b32_e32 v1, 0x7f800001
	v_cndmask_b32_e32 v2, v1, v0, vcc
; %bb.2320:                             ;   in Loop: Header=BB4_1942 Depth=3
	s_or_b64 exec, exec, s[36:37]
.LBB4_2321:                             ;   in Loop: Header=BB4_1942 Depth=3
	s_or_b64 exec, exec, s[34:35]
.LBB4_2322:                             ;   in Loop: Header=BB4_1942 Depth=3
	s_or_b64 exec, exec, s[28:29]
	v_mul_f32_e32 v2, v22, v2
	v_and_b32_e32 v34, 0x7f800000, v2
	v_mov_b32_e32 v35, v17
	v_cmp_ne_u64_e32 vcc, s[76:77], v[34:35]
	v_and_b32_e32 v0, 0x7fffff, v2
	v_mov_b32_e32 v1, v17
                                        ; implicit-def: $vgpr34
	s_and_saveexec_b64 s[28:29], vcc
	s_xor_b64 s[34:35], exec, s[28:29]
	s_cbranch_execz .LBB4_2336
; %bb.2323:                             ;   in Loop: Header=BB4_1942 Depth=3
	v_and_b32_e32 v34, 0x7fffffff, v2
	v_mov_b32_e32 v35, v17
	v_cmp_gt_u64_e32 vcc, s[78:79], v[34:35]
	v_and_b32_sdwa v35, v2, s96 dst_sel:DWORD dst_unused:UNUSED_PAD src0_sel:BYTE_3 src1_sel:DWORD
                                        ; implicit-def: $vgpr34
	s_and_saveexec_b64 s[28:29], vcc
	s_xor_b64 s[36:37], exec, s[28:29]
	s_cbranch_execz .LBB4_2333
; %bb.2324:                             ;   in Loop: Header=BB4_1942 Depth=3
	v_mov_b32_e32 v34, 0
	v_cmp_ne_u32_e32 vcc, 0, v2
	s_and_saveexec_b64 s[38:39], vcc
	s_cbranch_execz .LBB4_2332
; %bb.2325:                             ;   in Loop: Header=BB4_1942 Depth=3
	v_bfe_u32 v34, v2, 23, 8
	v_cmp_gt_u32_e64 s[28:29], s46, v34
	v_sub_u32_e32 v2, 0x71, v34
	v_cmp_eq_u32_e32 vcc, 0, v34
	v_cndmask_b32_e64 v2, 0, v2, s[28:29]
	v_mov_b32_e32 v29, 0x70
	v_cndmask_b32_e32 v36, v2, v29, vcc
	v_add_u32_e32 v2, 21, v36
	v_or_b32_e32 v28, 0x800000, v0
	v_lshlrev_b64 v[37:38], v2, -1
	v_cndmask_b32_e32 v0, v28, v0, vcc
	v_add_u32_e32 v2, 20, v36
	v_bfi_b32 v37, v37, 0, v0
	v_lshlrev_b64 v[48:49], v2, 1
	v_lshrrev_b64 v[0:1], v36, v[0:1]
	v_bfi_b32 v38, v38, 0, 0
	v_cmp_eq_u64_e64 s[28:29], v[37:38], v[48:49]
	v_mov_b32_e32 v2, v1
	v_mov_b32_e32 v1, v0
	s_and_saveexec_b64 s[48:49], s[28:29]
; %bb.2326:                             ;   in Loop: Header=BB4_1942 Depth=3
	v_bfe_u32 v1, v0, 21, 1
	v_add_co_u32_e64 v1, s[28:29], v0, v1
	v_add_co_u32_e64 v1, s[28:29], -1, v1
; %bb.2327:                             ;   in Loop: Header=BB4_1942 Depth=3
	s_or_b64 exec, exec, s[48:49]
	v_add_u32_e32 v2, 0xffffff81, v34
	v_mov_b32_e32 v28, 0xffffff82
	v_cndmask_b32_e32 v2, v2, v28, vcc
	v_lshrrev_b32_e32 v28, 23, v0
	v_add3_u32 v36, v36, v2, v28
	v_add_u32_e32 v34, 14, v36
	v_and_b32_e32 v1, 0x1fffff, v1
	v_add_u32_e32 v0, v1, v0
	v_mov_b32_e32 v1, v17
	v_cmp_ne_u32_e32 vcc, 0, v34
                                        ; implicit-def: $vgpr2
	s_and_saveexec_b64 s[28:29], vcc
	s_xor_b64 s[28:29], exec, s[28:29]
; %bb.2328:                             ;   in Loop: Header=BB4_1942 Depth=3
	v_cmp_lt_u64_e32 vcc, s[88:89], v[0:1]
	v_add_u32_e32 v2, 15, v36
	v_cndmask_b32_e64 v28, 0, 1, vcc
	v_cndmask_b32_e32 v2, v34, v2, vcc
	v_lshrrev_b64 v[0:1], v28, v[0:1]
; %bb.2329:                             ;   in Loop: Header=BB4_1942 Depth=3
	s_andn2_saveexec_b64 s[28:29], s[28:29]
; %bb.2330:                             ;   in Loop: Header=BB4_1942 Depth=3
	v_bfe_u32 v2, v0, 23, 1
; %bb.2331:                             ;   in Loop: Header=BB4_1942 Depth=3
	s_or_b64 exec, exec, s[28:29]
	v_lshrrev_b64 v[0:1], 21, v[0:1]
	v_cmp_gt_i32_e32 vcc, 32, v2
	v_cndmask_b32_e32 v1, 0, v1, vcc
	v_cndmask_b32_e32 v0, 3, v0, vcc
	v_cmp_eq_u64_e64 s[28:29], 0, v[0:1]
	v_min_i32_e32 v1, 31, v2
	v_lshlrev_b32_e32 v1, 2, v1
	v_cmp_eq_u32_e32 vcc, 0, v2
	v_and_b32_e32 v1, 0xfc, v1
	v_and_or_b32 v0, v0, 3, v1
	s_and_b64 s[28:29], vcc, s[28:29]
	v_cndmask_b32_e64 v0, v0, 0, s[28:29]
	v_or_b32_e32 v34, v0, v35
.LBB4_2332:                             ;   in Loop: Header=BB4_1942 Depth=3
	s_or_b64 exec, exec, s[38:39]
                                        ; implicit-def: $vgpr35
.LBB4_2333:                             ;   in Loop: Header=BB4_1942 Depth=3
	s_andn2_saveexec_b64 s[28:29], s[36:37]
; %bb.2334:                             ;   in Loop: Header=BB4_1942 Depth=3
	v_or_b32_e32 v34, 0x7b, v35
; %bb.2335:                             ;   in Loop: Header=BB4_1942 Depth=3
	s_or_b64 exec, exec, s[28:29]
                                        ; implicit-def: $vgpr2
                                        ; implicit-def: $vgpr0_vgpr1
.LBB4_2336:                             ;   in Loop: Header=BB4_1942 Depth=3
	s_andn2_saveexec_b64 s[28:29], s[34:35]
	s_cbranch_execz .LBB4_2342
; %bb.2337:                             ;   in Loop: Header=BB4_1942 Depth=3
	v_cmp_ne_u64_e32 vcc, 0, v[0:1]
                                        ; implicit-def: $vgpr34
	s_and_saveexec_b64 s[34:35], vcc
	s_xor_b64 vcc, exec, s[34:35]
; %bb.2338:                             ;   in Loop: Header=BB4_1942 Depth=3
	v_or_b32_sdwa v34, v2, s47 dst_sel:DWORD dst_unused:UNUSED_PAD src0_sel:BYTE_3 src1_sel:DWORD
                                        ; implicit-def: $vgpr2
; %bb.2339:                             ;   in Loop: Header=BB4_1942 Depth=3
	s_andn2_saveexec_b64 s[34:35], vcc
; %bb.2340:                             ;   in Loop: Header=BB4_1942 Depth=3
	v_cmp_lt_i32_e32 vcc, -1, v2
	v_bfrev_b32_e32 v0, 0.5
	v_cndmask_b32_e32 v34, v0, v52, vcc
; %bb.2341:                             ;   in Loop: Header=BB4_1942 Depth=3
	s_or_b64 exec, exec, s[34:35]
.LBB4_2342:                             ;   in Loop: Header=BB4_1942 Depth=3
	s_or_b64 exec, exec, s[28:29]
	v_lshrrev_b32_e32 v0, 16, v11
	v_cmp_ne_u16_sdwa vcc, v0, v17 src0_sel:BYTE_0 src1_sel:DWORD
	v_mov_b32_e32 v1, 0
	s_and_saveexec_b64 s[28:29], vcc
	s_cbranch_execz .LBB4_2350
; %bb.2343:                             ;   in Loop: Header=BB4_1942 Depth=3
	v_cmp_ne_u16_sdwa vcc, v0, s96 src0_sel:BYTE_0 src1_sel:DWORD
	v_bfrev_b32_e32 v1, 1
	s_and_saveexec_b64 s[34:35], vcc
	s_cbranch_execz .LBB4_2349
; %bb.2344:                             ;   in Loop: Header=BB4_1942 Depth=3
	v_and_b32_e32 v1, 0x7c0000, v11
	v_bfe_u32 v2, v11, 16, 2
	v_cmp_ne_u32_e32 vcc, s44, v1
                                        ; implicit-def: $vgpr1
	s_and_saveexec_b64 s[36:37], vcc
	s_xor_b64 s[36:37], exec, s[36:37]
	s_cbranch_execz .LBB4_2346
; %bb.2345:                             ;   in Loop: Header=BB4_1942 Depth=3
	v_ffbh_u32_e32 v1, v2
	v_min_u32_e32 v29, 32, v1
	v_subrev_u32_e32 v1, 29, v29
	v_lshlrev_b64 v[0:1], v1, v[0:1]
	v_bfe_u32 v28, v11, 18, 5
	v_and_b32_e32 v0, 3, v0
	v_cmp_eq_u32_e32 vcc, 0, v28
	v_sub_u32_e32 v1, 30, v29
	v_cndmask_b32_e32 v0, v2, v0, vcc
	v_lshlrev_b32_e32 v2, 8, v11
	v_cndmask_b32_e32 v1, v28, v1, vcc
	v_and_b32_e32 v2, 0x80000000, v2
	v_lshl_add_u32 v1, v1, 23, v2
	v_lshl_or_b32 v0, v0, 21, v1
	v_add_u32_e32 v1, 0x38000000, v0
                                        ; implicit-def: $vgpr2
                                        ; implicit-def: $vgpr0
.LBB4_2346:                             ;   in Loop: Header=BB4_1942 Depth=3
	s_andn2_saveexec_b64 s[36:37], s[36:37]
; %bb.2347:                             ;   in Loop: Header=BB4_1942 Depth=3
	v_mov_b32_e32 v1, -1
	v_cmp_gt_i16_sdwa vcc, sext(v0), v1 src0_sel:BYTE_0 src1_sel:DWORD
	v_mov_b32_e32 v0, 0xff800000
	v_mov_b32_e32 v1, 0x7f800000
	v_cndmask_b32_e32 v0, v0, v1, vcc
	v_cmp_eq_u32_e32 vcc, 0, v2
	v_mov_b32_e32 v1, 0x7f800001
	v_cndmask_b32_e32 v1, v1, v0, vcc
; %bb.2348:                             ;   in Loop: Header=BB4_1942 Depth=3
	s_or_b64 exec, exec, s[36:37]
.LBB4_2349:                             ;   in Loop: Header=BB4_1942 Depth=3
	s_or_b64 exec, exec, s[34:35]
.LBB4_2350:                             ;   in Loop: Header=BB4_1942 Depth=3
	s_or_b64 exec, exec, s[28:29]
	v_mul_f32_e32 v2, v22, v1
	v_and_b32_e32 v35, 0x7f800000, v2
	v_mov_b32_e32 v36, v17
	v_cmp_ne_u64_e32 vcc, s[76:77], v[35:36]
	v_and_b32_e32 v0, 0x7fffff, v2
	v_mov_b32_e32 v1, v17
                                        ; implicit-def: $vgpr35
	s_and_saveexec_b64 s[28:29], vcc
	s_xor_b64 s[34:35], exec, s[28:29]
	s_cbranch_execz .LBB4_2364
; %bb.2351:                             ;   in Loop: Header=BB4_1942 Depth=3
	v_and_b32_e32 v35, 0x7fffffff, v2
	v_mov_b32_e32 v36, v17
	v_cmp_gt_u64_e32 vcc, s[78:79], v[35:36]
	v_and_b32_sdwa v36, v2, s96 dst_sel:DWORD dst_unused:UNUSED_PAD src0_sel:BYTE_3 src1_sel:DWORD
                                        ; implicit-def: $vgpr35
	s_and_saveexec_b64 s[28:29], vcc
	s_xor_b64 s[36:37], exec, s[28:29]
	s_cbranch_execz .LBB4_2361
; %bb.2352:                             ;   in Loop: Header=BB4_1942 Depth=3
	v_mov_b32_e32 v35, 0
	v_cmp_ne_u32_e32 vcc, 0, v2
	s_and_saveexec_b64 s[38:39], vcc
	s_cbranch_execz .LBB4_2360
; %bb.2353:                             ;   in Loop: Header=BB4_1942 Depth=3
	v_bfe_u32 v35, v2, 23, 8
	v_cmp_gt_u32_e64 s[28:29], s46, v35
	v_sub_u32_e32 v2, 0x71, v35
	v_cmp_eq_u32_e32 vcc, 0, v35
	v_cndmask_b32_e64 v2, 0, v2, s[28:29]
	v_mov_b32_e32 v29, 0x70
	v_cndmask_b32_e32 v37, v2, v29, vcc
	v_add_u32_e32 v2, 21, v37
	v_or_b32_e32 v28, 0x800000, v0
	v_lshlrev_b64 v[38:39], v2, -1
	v_cndmask_b32_e32 v0, v28, v0, vcc
	v_add_u32_e32 v2, 20, v37
	v_bfi_b32 v38, v38, 0, v0
	v_lshlrev_b64 v[48:49], v2, 1
	v_lshrrev_b64 v[0:1], v37, v[0:1]
	v_bfi_b32 v39, v39, 0, 0
	v_cmp_eq_u64_e64 s[28:29], v[38:39], v[48:49]
	v_mov_b32_e32 v2, v1
	v_mov_b32_e32 v1, v0
	s_and_saveexec_b64 s[48:49], s[28:29]
; %bb.2354:                             ;   in Loop: Header=BB4_1942 Depth=3
	v_bfe_u32 v1, v0, 21, 1
	v_add_co_u32_e64 v1, s[28:29], v0, v1
	v_add_co_u32_e64 v1, s[28:29], -1, v1
; %bb.2355:                             ;   in Loop: Header=BB4_1942 Depth=3
	s_or_b64 exec, exec, s[48:49]
	v_add_u32_e32 v2, 0xffffff81, v35
	v_mov_b32_e32 v28, 0xffffff82
	v_cndmask_b32_e32 v2, v2, v28, vcc
	v_lshrrev_b32_e32 v28, 23, v0
	v_add3_u32 v37, v37, v2, v28
	v_add_u32_e32 v35, 14, v37
	v_and_b32_e32 v1, 0x1fffff, v1
	v_add_u32_e32 v0, v1, v0
	v_mov_b32_e32 v1, v17
	v_cmp_ne_u32_e32 vcc, 0, v35
                                        ; implicit-def: $vgpr2
	s_and_saveexec_b64 s[28:29], vcc
	s_xor_b64 s[28:29], exec, s[28:29]
; %bb.2356:                             ;   in Loop: Header=BB4_1942 Depth=3
	v_cmp_lt_u64_e32 vcc, s[88:89], v[0:1]
	v_add_u32_e32 v2, 15, v37
	v_cndmask_b32_e64 v28, 0, 1, vcc
	v_cndmask_b32_e32 v2, v35, v2, vcc
	v_lshrrev_b64 v[0:1], v28, v[0:1]
; %bb.2357:                             ;   in Loop: Header=BB4_1942 Depth=3
	s_andn2_saveexec_b64 s[28:29], s[28:29]
; %bb.2358:                             ;   in Loop: Header=BB4_1942 Depth=3
	v_bfe_u32 v2, v0, 23, 1
; %bb.2359:                             ;   in Loop: Header=BB4_1942 Depth=3
	s_or_b64 exec, exec, s[28:29]
	v_lshrrev_b64 v[0:1], 21, v[0:1]
	v_cmp_gt_i32_e32 vcc, 32, v2
	v_cndmask_b32_e32 v1, 0, v1, vcc
	v_cndmask_b32_e32 v0, 3, v0, vcc
	v_cmp_eq_u64_e64 s[28:29], 0, v[0:1]
	v_min_i32_e32 v1, 31, v2
	v_lshlrev_b32_e32 v1, 2, v1
	v_cmp_eq_u32_e32 vcc, 0, v2
	v_and_b32_e32 v1, 0xfc, v1
	v_and_or_b32 v0, v0, 3, v1
	s_and_b64 s[28:29], vcc, s[28:29]
	v_cndmask_b32_e64 v0, v0, 0, s[28:29]
	v_or_b32_e32 v35, v0, v36
.LBB4_2360:                             ;   in Loop: Header=BB4_1942 Depth=3
	s_or_b64 exec, exec, s[38:39]
                                        ; implicit-def: $vgpr36
.LBB4_2361:                             ;   in Loop: Header=BB4_1942 Depth=3
	s_andn2_saveexec_b64 s[28:29], s[36:37]
; %bb.2362:                             ;   in Loop: Header=BB4_1942 Depth=3
	v_or_b32_e32 v35, 0x7b, v36
; %bb.2363:                             ;   in Loop: Header=BB4_1942 Depth=3
	s_or_b64 exec, exec, s[28:29]
                                        ; implicit-def: $vgpr2
                                        ; implicit-def: $vgpr0_vgpr1
.LBB4_2364:                             ;   in Loop: Header=BB4_1942 Depth=3
	s_andn2_saveexec_b64 s[28:29], s[34:35]
	s_cbranch_execz .LBB4_2370
; %bb.2365:                             ;   in Loop: Header=BB4_1942 Depth=3
	v_cmp_ne_u64_e32 vcc, 0, v[0:1]
                                        ; implicit-def: $vgpr35
	s_and_saveexec_b64 s[34:35], vcc
	s_xor_b64 vcc, exec, s[34:35]
; %bb.2366:                             ;   in Loop: Header=BB4_1942 Depth=3
	v_or_b32_sdwa v35, v2, s47 dst_sel:DWORD dst_unused:UNUSED_PAD src0_sel:BYTE_3 src1_sel:DWORD
                                        ; implicit-def: $vgpr2
; %bb.2367:                             ;   in Loop: Header=BB4_1942 Depth=3
	s_andn2_saveexec_b64 s[34:35], vcc
; %bb.2368:                             ;   in Loop: Header=BB4_1942 Depth=3
	v_cmp_lt_i32_e32 vcc, -1, v2
	v_bfrev_b32_e32 v0, 0.5
	v_cndmask_b32_e32 v35, v0, v52, vcc
; %bb.2369:                             ;   in Loop: Header=BB4_1942 Depth=3
	s_or_b64 exec, exec, s[34:35]
.LBB4_2370:                             ;   in Loop: Header=BB4_1942 Depth=3
	s_or_b64 exec, exec, s[28:29]
	v_cmp_lt_u64_e32 vcc, s[56:57], v[10:11]
	v_mov_b32_e32 v1, 0
	s_and_saveexec_b64 s[28:29], vcc
	s_cbranch_execz .LBB4_2378
; %bb.2371:                             ;   in Loop: Header=BB4_1942 Depth=3
	v_lshrrev_b32_e32 v0, 24, v11
	v_cmp_ne_u32_e32 vcc, s96, v0
	v_bfrev_b32_e32 v1, 1
	s_and_saveexec_b64 s[34:35], vcc
	s_cbranch_execz .LBB4_2377
; %bb.2372:                             ;   in Loop: Header=BB4_1942 Depth=3
	v_and_b32_e32 v1, 0x7c000000, v11
	v_bfe_u32 v2, v11, 24, 2
	v_cmp_ne_u32_e32 vcc, s45, v1
                                        ; implicit-def: $vgpr1
	s_and_saveexec_b64 s[36:37], vcc
	s_xor_b64 s[36:37], exec, s[36:37]
	s_cbranch_execz .LBB4_2374
; %bb.2373:                             ;   in Loop: Header=BB4_1942 Depth=3
	v_ffbh_u32_e32 v1, v2
	v_min_u32_e32 v28, 32, v1
	v_subrev_u32_e32 v1, 29, v28
	v_lshlrev_b64 v[0:1], v1, v[0:1]
	v_bfe_u32 v10, v11, 26, 5
	v_sub_u32_e32 v1, 30, v28
	v_and_b32_e32 v0, 3, v0
	v_cmp_eq_u32_e32 vcc, 0, v10
	v_cndmask_b32_e32 v1, v10, v1, vcc
	v_cndmask_b32_e32 v0, v2, v0, vcc
	v_and_b32_e32 v2, 0x80000000, v11
	v_lshl_add_u32 v1, v1, 23, v2
	v_lshl_or_b32 v0, v0, 21, v1
	v_add_u32_e32 v1, 0x38000000, v0
                                        ; implicit-def: $vgpr2
                                        ; implicit-def: $vgpr10_vgpr11
.LBB4_2374:                             ;   in Loop: Header=BB4_1942 Depth=3
	s_andn2_saveexec_b64 s[36:37], s[36:37]
; %bb.2375:                             ;   in Loop: Header=BB4_1942 Depth=3
	v_cmp_lt_i64_e32 vcc, -1, v[10:11]
	v_mov_b32_e32 v0, 0xff800000
	v_mov_b32_e32 v1, 0x7f800000
	v_cndmask_b32_e32 v0, v0, v1, vcc
	v_cmp_eq_u32_e32 vcc, 0, v2
	v_mov_b32_e32 v1, 0x7f800001
	v_cndmask_b32_e32 v1, v1, v0, vcc
; %bb.2376:                             ;   in Loop: Header=BB4_1942 Depth=3
	s_or_b64 exec, exec, s[36:37]
.LBB4_2377:                             ;   in Loop: Header=BB4_1942 Depth=3
	s_or_b64 exec, exec, s[34:35]
.LBB4_2378:                             ;   in Loop: Header=BB4_1942 Depth=3
	s_or_b64 exec, exec, s[28:29]
	v_mul_f32_e32 v11, v22, v1
	v_and_b32_e32 v1, 0x7f800000, v11
	v_mov_b32_e32 v2, v17
	v_cmp_ne_u64_e32 vcc, s[76:77], v[1:2]
	v_and_b32_e32 v0, 0x7fffff, v11
	v_mov_b32_e32 v1, v17
                                        ; implicit-def: $vgpr2
	s_and_saveexec_b64 s[28:29], vcc
	s_xor_b64 s[34:35], exec, s[28:29]
	s_cbranch_execz .LBB4_2392
; %bb.2379:                             ;   in Loop: Header=BB4_1942 Depth=3
	v_and_b32_e32 v36, 0x7fffffff, v11
	v_mov_b32_e32 v37, v17
	v_cmp_gt_u64_e32 vcc, s[78:79], v[36:37]
	v_and_b32_sdwa v10, v11, s96 dst_sel:DWORD dst_unused:UNUSED_PAD src0_sel:BYTE_3 src1_sel:DWORD
                                        ; implicit-def: $vgpr2
	s_and_saveexec_b64 s[28:29], vcc
	s_xor_b64 s[36:37], exec, s[28:29]
	s_cbranch_execz .LBB4_2389
; %bb.2380:                             ;   in Loop: Header=BB4_1942 Depth=3
	v_mov_b32_e32 v2, 0
	v_cmp_ne_u32_e32 vcc, 0, v11
	s_and_saveexec_b64 s[38:39], vcc
	s_cbranch_execz .LBB4_2388
; %bb.2381:                             ;   in Loop: Header=BB4_1942 Depth=3
	v_bfe_u32 v11, v11, 23, 8
	v_cmp_gt_u32_e64 s[28:29], s46, v11
	v_sub_u32_e32 v2, 0x71, v11
	v_cmp_eq_u32_e32 vcc, 0, v11
	v_cndmask_b32_e64 v2, 0, v2, s[28:29]
	v_mov_b32_e32 v22, 0x70
	v_cndmask_b32_e32 v22, v2, v22, vcc
	v_add_u32_e32 v2, 21, v22
	v_or_b32_e32 v28, 0x800000, v0
	v_lshlrev_b64 v[36:37], v2, -1
	v_cndmask_b32_e32 v0, v28, v0, vcc
	v_add_u32_e32 v2, 20, v22
	v_bfi_b32 v36, v36, 0, v0
	v_lshlrev_b64 v[38:39], v2, 1
	v_lshrrev_b64 v[0:1], v22, v[0:1]
	v_bfi_b32 v37, v37, 0, 0
	v_cmp_eq_u64_e64 s[28:29], v[36:37], v[38:39]
	v_mov_b32_e32 v2, v1
	v_mov_b32_e32 v1, v0
	s_and_saveexec_b64 s[48:49], s[28:29]
; %bb.2382:                             ;   in Loop: Header=BB4_1942 Depth=3
	v_bfe_u32 v1, v0, 21, 1
	v_add_co_u32_e64 v1, s[28:29], v0, v1
	v_add_co_u32_e64 v1, s[28:29], -1, v1
; %bb.2383:                             ;   in Loop: Header=BB4_1942 Depth=3
	s_or_b64 exec, exec, s[48:49]
	v_add_u32_e32 v2, 0xffffff81, v11
	v_mov_b32_e32 v11, 0xffffff82
	v_cndmask_b32_e32 v2, v2, v11, vcc
	v_lshrrev_b32_e32 v11, 23, v0
	v_add3_u32 v22, v22, v2, v11
	v_add_u32_e32 v11, 14, v22
	v_and_b32_e32 v1, 0x1fffff, v1
	v_add_u32_e32 v0, v1, v0
	v_mov_b32_e32 v1, v17
	v_cmp_ne_u32_e32 vcc, 0, v11
                                        ; implicit-def: $vgpr2
	s_and_saveexec_b64 s[28:29], vcc
	s_xor_b64 s[28:29], exec, s[28:29]
; %bb.2384:                             ;   in Loop: Header=BB4_1942 Depth=3
	v_cmp_lt_u64_e32 vcc, s[88:89], v[0:1]
	v_add_u32_e32 v2, 15, v22
	v_cndmask_b32_e32 v2, v11, v2, vcc
	v_cndmask_b32_e64 v11, 0, 1, vcc
	v_lshrrev_b64 v[0:1], v11, v[0:1]
; %bb.2385:                             ;   in Loop: Header=BB4_1942 Depth=3
	s_andn2_saveexec_b64 s[28:29], s[28:29]
; %bb.2386:                             ;   in Loop: Header=BB4_1942 Depth=3
	v_bfe_u32 v2, v0, 23, 1
; %bb.2387:                             ;   in Loop: Header=BB4_1942 Depth=3
	s_or_b64 exec, exec, s[28:29]
	v_lshrrev_b64 v[0:1], 21, v[0:1]
	v_cmp_gt_i32_e32 vcc, 32, v2
	v_cndmask_b32_e32 v1, 0, v1, vcc
	v_cndmask_b32_e32 v0, 3, v0, vcc
	v_cmp_eq_u64_e64 s[28:29], 0, v[0:1]
	v_min_i32_e32 v1, 31, v2
	v_lshlrev_b32_e32 v1, 2, v1
	v_cmp_eq_u32_e32 vcc, 0, v2
	v_and_b32_e32 v1, 0xfc, v1
	v_and_or_b32 v0, v0, 3, v1
	s_and_b64 s[28:29], vcc, s[28:29]
	v_cndmask_b32_e64 v0, v0, 0, s[28:29]
	v_or_b32_e32 v2, v0, v10
.LBB4_2388:                             ;   in Loop: Header=BB4_1942 Depth=3
	s_or_b64 exec, exec, s[38:39]
                                        ; implicit-def: $vgpr10
.LBB4_2389:                             ;   in Loop: Header=BB4_1942 Depth=3
	s_andn2_saveexec_b64 s[28:29], s[36:37]
; %bb.2390:                             ;   in Loop: Header=BB4_1942 Depth=3
	v_or_b32_e32 v2, 0x7b, v10
; %bb.2391:                             ;   in Loop: Header=BB4_1942 Depth=3
	s_or_b64 exec, exec, s[28:29]
                                        ; implicit-def: $vgpr11
                                        ; implicit-def: $vgpr0_vgpr1
.LBB4_2392:                             ;   in Loop: Header=BB4_1942 Depth=3
	s_andn2_saveexec_b64 s[28:29], s[34:35]
	s_cbranch_execz .LBB4_1941
; %bb.2393:                             ;   in Loop: Header=BB4_1942 Depth=3
	v_cmp_ne_u64_e32 vcc, 0, v[0:1]
                                        ; implicit-def: $vgpr2
	s_and_saveexec_b64 s[34:35], vcc
	s_xor_b64 vcc, exec, s[34:35]
; %bb.2394:                             ;   in Loop: Header=BB4_1942 Depth=3
	v_or_b32_sdwa v2, v11, s47 dst_sel:DWORD dst_unused:UNUSED_PAD src0_sel:BYTE_3 src1_sel:DWORD
                                        ; implicit-def: $vgpr11
; %bb.2395:                             ;   in Loop: Header=BB4_1942 Depth=3
	s_andn2_saveexec_b64 s[34:35], vcc
	s_cbranch_execz .LBB4_1940
; %bb.2396:                             ;   in Loop: Header=BB4_1942 Depth=3
	v_cmp_lt_i32_e32 vcc, -1, v11
	v_bfrev_b32_e32 v0, 0.5
	v_cndmask_b32_e32 v2, v0, v52, vcc
	s_branch .LBB4_1940
.LBB4_2397:                             ;   in Loop: Header=BB4_57 Depth=2
	s_or_b64 exec, exec, s[40:41]
.LBB4_2398:                             ;   in Loop: Header=BB4_57 Depth=2
	s_or_b64 exec, exec, s[30:31]
	v_and_b32_e32 v0, 15, v51
	v_sub_u32_e32 v1, v13, v0
	v_cndmask_b32_e64 v9, v13, v0, s[26:27]
	buffer_load_dword v0, off, s[0:3], s33 offset:92 ; 4-byte Folded Reload
	v_cmp_lt_i32_e32 vcc, 0, v14
	v_cndmask_b32_e64 v1, 0, v1, s[26:27]
	v_add3_u32 v8, v12, v5, v1
	s_waitcnt vmcnt(0)
	v_cndmask_b32_e32 v0, 0, v0, vcc
	v_sub_u32_e32 v0, v0, v14
	v_cmp_ne_u32_e32 vcc, 0, v9
	v_lshl_add_u32 v10, v0, 6, v4
	s_and_b64 s[26:27], vcc, exec
.LBB4_2399:                             ;   in Loop: Header=BB4_57 Depth=2
	s_or_b64 exec, exec, s[94:95]
	s_and_saveexec_b64 s[28:29], s[26:27]
	s_cbranch_execz .LBB4_2964
.LBB4_2400:                             ;   in Loop: Header=BB4_57 Depth=2
	s_waitcnt vmcnt(0)
	v_ashrrev_i32_e32 v0, 31, v10
	v_ashrrev_i32_e32 v1, 31, v9
	v_lshrrev_b32_e32 v0, 26, v0
	v_lshrrev_b32_e32 v1, 22, v1
	v_add_u32_e32 v0, v10, v0
	v_add_u32_e32 v1, v9, v1
	v_ashrrev_i32_e32 v11, 6, v0
	v_ashrrev_i32_e32 v13, 10, v1
	v_sub_u32_e32 v12, v13, v11
	v_cmp_lt_i32_e32 vcc, 0, v12
	s_and_saveexec_b64 s[40:41], vcc
	s_cbranch_execz .LBB4_2922
; %bb.2401:                             ;   in Loop: Header=BB4_57 Depth=2
	v_and_b32_e32 v0, 0xffffffc0, v0
	v_sub_u32_e32 v0, v10, v0
	v_lshlrev_b32_e32 v1, 10, v11
	v_add3_u32 v14, v8, v0, v1
	v_ashrrev_i32_e32 v15, 31, v14
	s_mov_b64 s[94:95], 0
	s_branch .LBB4_2404
.LBB4_2402:                             ;   in Loop: Header=BB4_2404 Depth=3
	s_or_b64 exec, exec, s[30:31]
.LBB4_2403:                             ;   in Loop: Header=BB4_2404 Depth=3
	s_or_b64 exec, exec, s[26:27]
	v_add_co_u32_e32 v0, vcc, v14, v54
	v_addc_co_u32_e32 v1, vcc, v15, v55, vcc
	flat_store_byte v[0:1], v16 glc slc
	flat_store_byte v[0:1], v20 offset:64 glc slc
	flat_store_byte v[0:1], v21 offset:128 glc slc
	;; [unrolled: 1-line block ×15, first 2 shown]
	buffer_load_dword v0, off, s[0:3], s33 offset:92 ; 4-byte Folded Reload
	s_waitcnt vmcnt(0)
	v_sub_u32_e32 v12, v12, v0
	buffer_load_dword v0, off, s[0:3], s33 offset:96 ; 4-byte Folded Reload
	s_waitcnt vmcnt(0)
	v_add_co_u32_e32 v6, vcc, v6, v0
	v_addc_co_u32_e32 v7, vcc, 0, v7, vcc
	v_cmp_gt_i32_e32 vcc, 1, v12
	s_or_b64 s[94:95], vcc, s[94:95]
	v_add_co_u32_e32 v54, vcc, v54, v0
	v_addc_co_u32_e32 v55, vcc, 0, v55, vcc
	s_andn2_b64 exec, exec, s[94:95]
	s_cbranch_execz .LBB4_2921
.LBB4_2404:                             ;   Parent Loop BB4_47 Depth=1
                                        ;     Parent Loop BB4_57 Depth=2
                                        ; =>    This Inner Loop Header: Depth=3
	s_trap 2
	ds_read_b64 v[0:1], v0
	v_mov_b32_e32 v19, 0
	s_waitcnt lgkmcnt(0)
	v_cmp_eq_u32_sdwa vcc, v0, v17 src0_sel:BYTE_0 src1_sel:DWORD
	v_readfirstlane_b32 s26, v0
	v_readfirstlane_b32 s27, v1
	v_mov_b32_e32 v1, 0
	s_and_b64 vcc, exec, vcc
	s_cbranch_vccnz .LBB4_2410
; %bb.2405:                             ;   in Loop: Header=BB4_2404 Depth=3
	s_bfe_i32 s31, s26, 0x80000
	s_and_b32 vcc_lo, 0xffff, s31
	s_cmpk_eq_u32 vcc_lo, 0xff80
	v_bfrev_b32_e32 v19, 1
	s_cbranch_scc1 .LBB4_2410
; %bb.2406:                             ;   in Loop: Header=BB4_2404 Depth=3
	s_and_b32 s30, s26, 3
	s_and_b32 s34, s26, 0x7c
	s_mov_b64 vcc, -1
	s_cmpk_lg_i32 s34, 0x7c
	s_sext_i32_i16 s31, s31
                                        ; implicit-def: $sgpr34
	s_cbranch_scc0 .LBB4_2408
; %bb.2407:                             ;   in Loop: Header=BB4_2404 Depth=3
	s_flbit_i32_b32 vcc_hi, s30
	s_min_u32 vcc_hi, vcc_hi, 32
	s_sub_i32 s34, vcc_hi, 29
	s_bfe_u32 vcc_lo, s26, 0x50002
	s_lshl_b64 s[26:27], s[26:27], s34
	s_sub_i32 s27, 30, vcc_hi
	s_and_b32 s26, s26, 3
	s_cmp_eq_u32 vcc_lo, 0
	s_cselect_b32 s27, s27, vcc_lo
	s_cselect_b32 s26, s26, s30
	s_and_b32 vcc_lo, s31, 0x80000000
	s_lshl_b32 s27, s27, 23
	s_add_i32 s27, s27, vcc_lo
	s_lshl_b32 s26, s26, 21
	s_or_b32 s26, s27, s26
	s_add_i32 s34, s26, 0x38000000
	s_mov_b64 vcc, 0
.LBB4_2408:                             ;   in Loop: Header=BB4_2404 Depth=3
	s_andn2_b64 vcc, exec, vcc
	v_mov_b32_e32 v19, s34
	s_cbranch_vccnz .LBB4_2410
; %bb.2409:                             ;   in Loop: Header=BB4_2404 Depth=3
	s_cmp_eq_u32 s30, 0
	s_cselect_b64 vcc, -1, 0
	s_cmp_gt_i32 s31, -1
	s_cselect_b64 s[26:27], -1, 0
	v_mov_b32_e32 v0, 0xff800000
	v_mov_b32_e32 v2, 0x7f800000
	v_cndmask_b32_e64 v0, v0, v2, s[26:27]
	v_mov_b32_e32 v2, 0x7f800001
	v_cndmask_b32_e32 v19, v2, v0, vcc
.LBB4_2410:                             ;   in Loop: Header=BB4_2404 Depth=3
	v_add_co_u32_e32 v2, vcc, v14, v6
	v_addc_co_u32_e32 v3, vcc, v15, v7, vcc
	flat_load_sbyte v0, v[2:3] glc slc
	s_waitcnt vmcnt(0) lgkmcnt(0)
	v_cmp_ne_u16_e32 vcc, 0, v0
	s_and_saveexec_b64 s[26:27], vcc
	s_cbranch_execz .LBB4_2418
; %bb.2411:                             ;   in Loop: Header=BB4_2404 Depth=3
	v_cmp_ne_u16_e32 vcc, s97, v0
	v_bfrev_b32_e32 v1, 1
	s_and_saveexec_b64 s[30:31], vcc
	s_cbranch_execz .LBB4_2417
; %bb.2412:                             ;   in Loop: Header=BB4_2404 Depth=3
	v_and_b32_e32 v1, 0x7c, v0
	v_and_b32_e32 v4, 3, v0
	v_cmp_ne_u32_e32 vcc, s85, v1
                                        ; implicit-def: $vgpr1
	s_and_saveexec_b64 s[34:35], vcc
	s_xor_b64 s[34:35], exec, s[34:35]
	s_cbranch_execz .LBB4_2414
; %bb.2413:                             ;   in Loop: Header=BB4_2404 Depth=3
	v_ffbh_u32_e32 v16, v4
	v_min_u32_e32 v16, 32, v16
	v_and_b32_e32 v5, 0xff, v0
	v_mov_b32_e32 v1, v17
	v_subrev_u32_e32 v20, 29, v16
	v_bfe_u32 v5, v5, 2, 5
	v_lshlrev_b64 v[20:21], v20, v[0:1]
	v_sub_u32_e32 v1, 30, v16
	v_cmp_eq_u32_e32 vcc, 0, v5
	v_and_b32_e32 v16, 3, v20
	v_cndmask_b32_e32 v1, v5, v1, vcc
	v_and_b32_sdwa v0, sext(v0), s86 dst_sel:DWORD dst_unused:UNUSED_PAD src0_sel:WORD_0 src1_sel:DWORD
	v_cndmask_b32_e32 v4, v4, v16, vcc
	v_lshl_add_u32 v0, v1, 23, v0
	v_lshl_or_b32 v0, v4, 21, v0
	v_add_u32_e32 v1, 0x38000000, v0
                                        ; implicit-def: $vgpr4
                                        ; implicit-def: $vgpr0
.LBB4_2414:                             ;   in Loop: Header=BB4_2404 Depth=3
	s_andn2_saveexec_b64 s[34:35], s[34:35]
; %bb.2415:                             ;   in Loop: Header=BB4_2404 Depth=3
	v_cmp_lt_i16_e32 vcc, -1, v0
	v_mov_b32_e32 v0, 0xff800000
	v_mov_b32_e32 v1, 0x7f800000
	v_cndmask_b32_e32 v0, v0, v1, vcc
	v_cmp_eq_u32_e32 vcc, 0, v4
	v_mov_b32_e32 v1, 0x7f800001
	v_cndmask_b32_e32 v1, v1, v0, vcc
; %bb.2416:                             ;   in Loop: Header=BB4_2404 Depth=3
	s_or_b64 exec, exec, s[34:35]
.LBB4_2417:                             ;   in Loop: Header=BB4_2404 Depth=3
	s_or_b64 exec, exec, s[30:31]
.LBB4_2418:                             ;   in Loop: Header=BB4_2404 Depth=3
	s_or_b64 exec, exec, s[26:27]
	v_mul_f32_e32 v4, v19, v1
	v_and_b32_e32 v20, 0x7f800000, v4
	v_mov_b32_e32 v21, v17
	v_cmp_ne_u64_e32 vcc, s[76:77], v[20:21]
	v_and_b32_e32 v0, 0x7fffff, v4
	v_mov_b32_e32 v1, v17
                                        ; implicit-def: $vgpr16
	s_and_saveexec_b64 s[26:27], vcc
	s_xor_b64 s[30:31], exec, s[26:27]
	s_cbranch_execz .LBB4_2436
; %bb.2419:                             ;   in Loop: Header=BB4_2404 Depth=3
	v_and_b32_e32 v20, 0x7fffffff, v4
	v_mov_b32_e32 v21, v17
	v_cmp_gt_u64_e32 vcc, s[78:79], v[20:21]
	v_and_b32_sdwa v20, v4, s96 dst_sel:DWORD dst_unused:UNUSED_PAD src0_sel:BYTE_3 src1_sel:DWORD
                                        ; implicit-def: $vgpr16
	s_and_saveexec_b64 s[26:27], vcc
	s_xor_b64 s[34:35], exec, s[26:27]
	s_cbranch_execz .LBB4_2433
; %bb.2420:                             ;   in Loop: Header=BB4_2404 Depth=3
	v_cmp_ne_u32_e32 vcc, 0, v4
	v_mov_b32_e32 v16, 0
	s_and_saveexec_b64 s[36:37], vcc
	s_cbranch_execz .LBB4_2432
; %bb.2421:                             ;   in Loop: Header=BB4_2404 Depth=3
	v_bfe_u32 v16, v4, 23, 8
	v_cmp_gt_u32_e64 s[26:27], s46, v16
	v_sub_u32_e32 v4, 0x71, v16
	v_cmp_eq_u32_e32 vcc, 0, v16
	v_cndmask_b32_e64 v4, 0, v4, s[26:27]
	v_mov_b32_e32 v21, 0x70
	v_cndmask_b32_e32 v21, v4, v21, vcc
	v_or_b32_e32 v5, 0x800000, v0
	v_add_u32_e32 v4, 21, v21
	v_cndmask_b32_e32 v0, v5, v0, vcc
	v_lshlrev_b64 v[4:5], v4, -1
	v_add_u32_e32 v22, 20, v21
	v_bfi_b32 v4, v4, 0, v0
	v_lshlrev_b64 v[22:23], v22, 1
	v_lshrrev_b64 v[0:1], v21, v[0:1]
	v_bfi_b32 v5, v5, 0, 0
	v_cmp_eq_u64_e64 s[26:27], v[4:5], v[22:23]
	v_mov_b32_e32 v5, v1
	v_mov_b32_e32 v4, v0
	s_and_saveexec_b64 s[38:39], s[26:27]
; %bb.2422:                             ;   in Loop: Header=BB4_2404 Depth=3
	v_bfe_u32 v1, v0, 21, 1
	v_add_co_u32_e64 v1, s[26:27], v0, v1
	v_add_co_u32_e64 v4, s[26:27], -1, v1
; %bb.2423:                             ;   in Loop: Header=BB4_2404 Depth=3
	s_or_b64 exec, exec, s[38:39]
	v_add_u32_e32 v1, 0xffffff81, v16
	v_mov_b32_e32 v5, 0xffffff82
	v_cndmask_b32_e32 v1, v1, v5, vcc
	v_lshrrev_b32_e32 v5, 23, v0
	v_add3_u32 v16, v21, v1, v5
	v_add_u32_e32 v5, 14, v16
	v_and_b32_e32 v1, 0x1fffff, v4
	v_add_u32_e32 v0, v1, v0
	v_mov_b32_e32 v1, v17
	v_cmp_ne_u32_e32 vcc, 0, v5
                                        ; implicit-def: $vgpr4
	s_and_saveexec_b64 s[26:27], vcc
	s_xor_b64 s[26:27], exec, s[26:27]
; %bb.2424:                             ;   in Loop: Header=BB4_2404 Depth=3
	v_cmp_lt_u64_e32 vcc, s[88:89], v[0:1]
	v_add_u32_e32 v4, 15, v16
	v_cndmask_b32_e32 v4, v5, v4, vcc
	v_cndmask_b32_e64 v5, 0, 1, vcc
	v_lshrrev_b64 v[0:1], v5, v[0:1]
; %bb.2425:                             ;   in Loop: Header=BB4_2404 Depth=3
	s_andn2_saveexec_b64 s[26:27], s[26:27]
; %bb.2426:                             ;   in Loop: Header=BB4_2404 Depth=3
	v_bfe_u32 v4, v0, 23, 1
; %bb.2427:                             ;   in Loop: Header=BB4_2404 Depth=3
	s_or_b64 exec, exec, s[26:27]
	v_lshrrev_b64 v[0:1], 21, v[0:1]
	v_cmp_gt_i32_e32 vcc, 32, v4
	v_cndmask_b32_e32 v1, 0, v1, vcc
	v_cndmask_b32_e32 v0, 3, v0, vcc
	v_cmp_ne_u64_e32 vcc, 0, v[0:1]
	v_cmp_ne_u32_e64 s[26:27], 0, v4
	s_or_b64 s[26:27], s[26:27], vcc
                                        ; implicit-def: $vgpr16
	s_and_saveexec_b64 vcc, s[26:27]
	s_xor_b64 s[26:27], exec, vcc
; %bb.2428:                             ;   in Loop: Header=BB4_2404 Depth=3
	v_min_i32_e32 v1, 31, v4
	v_lshl_or_b32 v1, v1, 2, v20
	v_and_or_b32 v16, v0, 3, v1
                                        ; implicit-def: $vgpr20
; %bb.2429:                             ;   in Loop: Header=BB4_2404 Depth=3
	s_andn2_saveexec_b64 s[26:27], s[26:27]
; %bb.2430:                             ;   in Loop: Header=BB4_2404 Depth=3
	v_mov_b32_e32 v16, v20
; %bb.2431:                             ;   in Loop: Header=BB4_2404 Depth=3
	s_or_b64 exec, exec, s[26:27]
.LBB4_2432:                             ;   in Loop: Header=BB4_2404 Depth=3
	s_or_b64 exec, exec, s[36:37]
                                        ; implicit-def: $vgpr20
.LBB4_2433:                             ;   in Loop: Header=BB4_2404 Depth=3
	s_andn2_saveexec_b64 s[26:27], s[34:35]
; %bb.2434:                             ;   in Loop: Header=BB4_2404 Depth=3
	v_or_b32_e32 v16, 0x7b, v20
; %bb.2435:                             ;   in Loop: Header=BB4_2404 Depth=3
	s_or_b64 exec, exec, s[26:27]
                                        ; implicit-def: $vgpr4
                                        ; implicit-def: $vgpr0_vgpr1
.LBB4_2436:                             ;   in Loop: Header=BB4_2404 Depth=3
	s_andn2_saveexec_b64 s[26:27], s[30:31]
	s_cbranch_execz .LBB4_2442
; %bb.2437:                             ;   in Loop: Header=BB4_2404 Depth=3
	v_cmp_ne_u64_e32 vcc, 0, v[0:1]
                                        ; implicit-def: $vgpr16
	s_and_saveexec_b64 s[30:31], vcc
	s_xor_b64 vcc, exec, s[30:31]
; %bb.2438:                             ;   in Loop: Header=BB4_2404 Depth=3
	v_or_b32_sdwa v16, v4, s47 dst_sel:DWORD dst_unused:UNUSED_PAD src0_sel:BYTE_3 src1_sel:DWORD
                                        ; implicit-def: $vgpr4
; %bb.2439:                             ;   in Loop: Header=BB4_2404 Depth=3
	s_andn2_saveexec_b64 s[30:31], vcc
; %bb.2440:                             ;   in Loop: Header=BB4_2404 Depth=3
	v_cmp_lt_i32_e32 vcc, -1, v4
	v_cndmask_b32_e32 v16, -4, v52, vcc
; %bb.2441:                             ;   in Loop: Header=BB4_2404 Depth=3
	s_or_b64 exec, exec, s[30:31]
.LBB4_2442:                             ;   in Loop: Header=BB4_2404 Depth=3
	s_or_b64 exec, exec, s[26:27]
	flat_load_sbyte v0, v[2:3] offset:64 glc slc
	v_mov_b32_e32 v1, 0
	s_waitcnt vmcnt(0) lgkmcnt(0)
	v_cmp_ne_u16_e32 vcc, 0, v0
	s_and_saveexec_b64 s[26:27], vcc
	s_cbranch_execz .LBB4_2450
; %bb.2443:                             ;   in Loop: Header=BB4_2404 Depth=3
	v_cmp_ne_u16_e32 vcc, s97, v0
	v_bfrev_b32_e32 v1, 1
	s_and_saveexec_b64 s[30:31], vcc
	s_cbranch_execz .LBB4_2449
; %bb.2444:                             ;   in Loop: Header=BB4_2404 Depth=3
	v_and_b32_e32 v1, 0x7c, v0
	v_and_b32_e32 v4, 3, v0
	v_cmp_ne_u32_e32 vcc, s85, v1
                                        ; implicit-def: $vgpr1
	s_and_saveexec_b64 s[34:35], vcc
	s_xor_b64 s[34:35], exec, s[34:35]
	s_cbranch_execz .LBB4_2446
; %bb.2445:                             ;   in Loop: Header=BB4_2404 Depth=3
	v_ffbh_u32_e32 v20, v4
	v_min_u32_e32 v22, 32, v20
	v_and_b32_e32 v5, 0xff, v0
	v_mov_b32_e32 v1, v17
	v_subrev_u32_e32 v20, 29, v22
	v_bfe_u32 v5, v5, 2, 5
	v_lshlrev_b64 v[20:21], v20, v[0:1]
	v_sub_u32_e32 v1, 30, v22
	v_cmp_eq_u32_e32 vcc, 0, v5
	v_and_b32_e32 v20, 3, v20
	v_cndmask_b32_e32 v1, v5, v1, vcc
	v_and_b32_sdwa v0, sext(v0), s86 dst_sel:DWORD dst_unused:UNUSED_PAD src0_sel:WORD_0 src1_sel:DWORD
	v_cndmask_b32_e32 v4, v4, v20, vcc
	v_lshl_add_u32 v0, v1, 23, v0
	v_lshl_or_b32 v0, v4, 21, v0
	v_add_u32_e32 v1, 0x38000000, v0
                                        ; implicit-def: $vgpr4
                                        ; implicit-def: $vgpr0
.LBB4_2446:                             ;   in Loop: Header=BB4_2404 Depth=3
	s_andn2_saveexec_b64 s[34:35], s[34:35]
; %bb.2447:                             ;   in Loop: Header=BB4_2404 Depth=3
	v_cmp_lt_i16_e32 vcc, -1, v0
	v_mov_b32_e32 v0, 0xff800000
	v_mov_b32_e32 v1, 0x7f800000
	v_cndmask_b32_e32 v0, v0, v1, vcc
	v_cmp_eq_u32_e32 vcc, 0, v4
	v_mov_b32_e32 v1, 0x7f800001
	v_cndmask_b32_e32 v1, v1, v0, vcc
; %bb.2448:                             ;   in Loop: Header=BB4_2404 Depth=3
	s_or_b64 exec, exec, s[34:35]
.LBB4_2449:                             ;   in Loop: Header=BB4_2404 Depth=3
	s_or_b64 exec, exec, s[30:31]
.LBB4_2450:                             ;   in Loop: Header=BB4_2404 Depth=3
	s_or_b64 exec, exec, s[26:27]
	v_mul_f32_e32 v4, v19, v1
	v_and_b32_e32 v20, 0x7f800000, v4
	v_mov_b32_e32 v21, v17
	v_cmp_ne_u64_e32 vcc, s[76:77], v[20:21]
	v_and_b32_e32 v0, 0x7fffff, v4
	v_mov_b32_e32 v1, v17
                                        ; implicit-def: $vgpr20
	s_and_saveexec_b64 s[26:27], vcc
	s_xor_b64 s[30:31], exec, s[26:27]
	s_cbranch_execz .LBB4_2468
; %bb.2451:                             ;   in Loop: Header=BB4_2404 Depth=3
	v_and_b32_e32 v20, 0x7fffffff, v4
	v_mov_b32_e32 v21, v17
	v_cmp_gt_u64_e32 vcc, s[78:79], v[20:21]
	v_and_b32_sdwa v21, v4, s96 dst_sel:DWORD dst_unused:UNUSED_PAD src0_sel:BYTE_3 src1_sel:DWORD
                                        ; implicit-def: $vgpr20
	s_and_saveexec_b64 s[26:27], vcc
	s_xor_b64 s[34:35], exec, s[26:27]
	s_cbranch_execz .LBB4_2465
; %bb.2452:                             ;   in Loop: Header=BB4_2404 Depth=3
	v_cmp_ne_u32_e32 vcc, 0, v4
	v_mov_b32_e32 v20, 0
	s_and_saveexec_b64 s[36:37], vcc
	s_cbranch_execz .LBB4_2464
; %bb.2453:                             ;   in Loop: Header=BB4_2404 Depth=3
	v_bfe_u32 v20, v4, 23, 8
	v_cmp_gt_u32_e64 s[26:27], s46, v20
	v_sub_u32_e32 v4, 0x71, v20
	v_cmp_eq_u32_e32 vcc, 0, v20
	v_cndmask_b32_e64 v4, 0, v4, s[26:27]
	v_mov_b32_e32 v22, 0x70
	v_cndmask_b32_e32 v22, v4, v22, vcc
	v_or_b32_e32 v5, 0x800000, v0
	v_add_u32_e32 v4, 21, v22
	v_cndmask_b32_e32 v0, v5, v0, vcc
	v_lshlrev_b64 v[4:5], v4, -1
	v_add_u32_e32 v23, 20, v22
	v_bfi_b32 v4, v4, 0, v0
	v_lshlrev_b64 v[23:24], v23, 1
	v_lshrrev_b64 v[0:1], v22, v[0:1]
	v_bfi_b32 v5, v5, 0, 0
	v_cmp_eq_u64_e64 s[26:27], v[4:5], v[23:24]
	v_mov_b32_e32 v5, v1
	v_mov_b32_e32 v4, v0
	s_and_saveexec_b64 s[38:39], s[26:27]
; %bb.2454:                             ;   in Loop: Header=BB4_2404 Depth=3
	v_bfe_u32 v1, v0, 21, 1
	v_add_co_u32_e64 v1, s[26:27], v0, v1
	v_add_co_u32_e64 v4, s[26:27], -1, v1
; %bb.2455:                             ;   in Loop: Header=BB4_2404 Depth=3
	s_or_b64 exec, exec, s[38:39]
	v_add_u32_e32 v1, 0xffffff81, v20
	v_mov_b32_e32 v5, 0xffffff82
	v_cndmask_b32_e32 v1, v1, v5, vcc
	v_lshrrev_b32_e32 v5, 23, v0
	v_add3_u32 v20, v22, v1, v5
	v_add_u32_e32 v5, 14, v20
	v_and_b32_e32 v1, 0x1fffff, v4
	v_add_u32_e32 v0, v1, v0
	v_mov_b32_e32 v1, v17
	v_cmp_ne_u32_e32 vcc, 0, v5
                                        ; implicit-def: $vgpr4
	s_and_saveexec_b64 s[26:27], vcc
	s_xor_b64 s[26:27], exec, s[26:27]
; %bb.2456:                             ;   in Loop: Header=BB4_2404 Depth=3
	v_cmp_lt_u64_e32 vcc, s[88:89], v[0:1]
	v_add_u32_e32 v4, 15, v20
	v_cndmask_b32_e32 v4, v5, v4, vcc
	v_cndmask_b32_e64 v5, 0, 1, vcc
	v_lshrrev_b64 v[0:1], v5, v[0:1]
; %bb.2457:                             ;   in Loop: Header=BB4_2404 Depth=3
	s_andn2_saveexec_b64 s[26:27], s[26:27]
; %bb.2458:                             ;   in Loop: Header=BB4_2404 Depth=3
	v_bfe_u32 v4, v0, 23, 1
; %bb.2459:                             ;   in Loop: Header=BB4_2404 Depth=3
	s_or_b64 exec, exec, s[26:27]
	v_lshrrev_b64 v[0:1], 21, v[0:1]
	v_cmp_gt_i32_e32 vcc, 32, v4
	v_cndmask_b32_e32 v1, 0, v1, vcc
	v_cndmask_b32_e32 v0, 3, v0, vcc
	v_cmp_ne_u64_e32 vcc, 0, v[0:1]
	v_cmp_ne_u32_e64 s[26:27], 0, v4
	s_or_b64 s[26:27], s[26:27], vcc
                                        ; implicit-def: $vgpr20
	s_and_saveexec_b64 vcc, s[26:27]
	s_xor_b64 s[26:27], exec, vcc
; %bb.2460:                             ;   in Loop: Header=BB4_2404 Depth=3
	v_min_i32_e32 v1, 31, v4
	v_lshl_or_b32 v1, v1, 2, v21
	v_and_or_b32 v20, v0, 3, v1
                                        ; implicit-def: $vgpr21
; %bb.2461:                             ;   in Loop: Header=BB4_2404 Depth=3
	s_andn2_saveexec_b64 s[26:27], s[26:27]
; %bb.2462:                             ;   in Loop: Header=BB4_2404 Depth=3
	v_mov_b32_e32 v20, v21
; %bb.2463:                             ;   in Loop: Header=BB4_2404 Depth=3
	s_or_b64 exec, exec, s[26:27]
.LBB4_2464:                             ;   in Loop: Header=BB4_2404 Depth=3
	s_or_b64 exec, exec, s[36:37]
                                        ; implicit-def: $vgpr21
.LBB4_2465:                             ;   in Loop: Header=BB4_2404 Depth=3
	s_andn2_saveexec_b64 s[26:27], s[34:35]
; %bb.2466:                             ;   in Loop: Header=BB4_2404 Depth=3
	v_or_b32_e32 v20, 0x7b, v21
; %bb.2467:                             ;   in Loop: Header=BB4_2404 Depth=3
	s_or_b64 exec, exec, s[26:27]
                                        ; implicit-def: $vgpr4
                                        ; implicit-def: $vgpr0_vgpr1
.LBB4_2468:                             ;   in Loop: Header=BB4_2404 Depth=3
	s_andn2_saveexec_b64 s[26:27], s[30:31]
	s_cbranch_execz .LBB4_2474
; %bb.2469:                             ;   in Loop: Header=BB4_2404 Depth=3
	v_cmp_ne_u64_e32 vcc, 0, v[0:1]
                                        ; implicit-def: $vgpr20
	s_and_saveexec_b64 s[30:31], vcc
	s_xor_b64 vcc, exec, s[30:31]
; %bb.2470:                             ;   in Loop: Header=BB4_2404 Depth=3
	v_or_b32_sdwa v20, v4, s47 dst_sel:DWORD dst_unused:UNUSED_PAD src0_sel:BYTE_3 src1_sel:DWORD
                                        ; implicit-def: $vgpr4
; %bb.2471:                             ;   in Loop: Header=BB4_2404 Depth=3
	s_andn2_saveexec_b64 s[30:31], vcc
; %bb.2472:                             ;   in Loop: Header=BB4_2404 Depth=3
	v_cmp_lt_i32_e32 vcc, -1, v4
	v_cndmask_b32_e32 v20, -4, v52, vcc
; %bb.2473:                             ;   in Loop: Header=BB4_2404 Depth=3
	s_or_b64 exec, exec, s[30:31]
.LBB4_2474:                             ;   in Loop: Header=BB4_2404 Depth=3
	s_or_b64 exec, exec, s[26:27]
	flat_load_sbyte v0, v[2:3] offset:128 glc slc
	v_mov_b32_e32 v1, 0
	s_waitcnt vmcnt(0) lgkmcnt(0)
	v_cmp_ne_u16_e32 vcc, 0, v0
	s_and_saveexec_b64 s[26:27], vcc
	s_cbranch_execz .LBB4_2482
; %bb.2475:                             ;   in Loop: Header=BB4_2404 Depth=3
	v_cmp_ne_u16_e32 vcc, s97, v0
	v_bfrev_b32_e32 v1, 1
	s_and_saveexec_b64 s[30:31], vcc
	s_cbranch_execz .LBB4_2481
; %bb.2476:                             ;   in Loop: Header=BB4_2404 Depth=3
	v_and_b32_e32 v1, 0x7c, v0
	v_and_b32_e32 v4, 3, v0
	v_cmp_ne_u32_e32 vcc, s85, v1
                                        ; implicit-def: $vgpr1
	s_and_saveexec_b64 s[34:35], vcc
	s_xor_b64 s[34:35], exec, s[34:35]
	s_cbranch_execz .LBB4_2478
; %bb.2477:                             ;   in Loop: Header=BB4_2404 Depth=3
	v_ffbh_u32_e32 v21, v4
	v_min_u32_e32 v23, 32, v21
	v_and_b32_e32 v5, 0xff, v0
	v_mov_b32_e32 v1, v17
	v_subrev_u32_e32 v21, 29, v23
	v_bfe_u32 v5, v5, 2, 5
	v_lshlrev_b64 v[21:22], v21, v[0:1]
	v_sub_u32_e32 v1, 30, v23
	v_cmp_eq_u32_e32 vcc, 0, v5
	v_and_b32_e32 v21, 3, v21
	v_cndmask_b32_e32 v1, v5, v1, vcc
	v_and_b32_sdwa v0, sext(v0), s86 dst_sel:DWORD dst_unused:UNUSED_PAD src0_sel:WORD_0 src1_sel:DWORD
	v_cndmask_b32_e32 v4, v4, v21, vcc
	v_lshl_add_u32 v0, v1, 23, v0
	v_lshl_or_b32 v0, v4, 21, v0
	v_add_u32_e32 v1, 0x38000000, v0
                                        ; implicit-def: $vgpr4
                                        ; implicit-def: $vgpr0
.LBB4_2478:                             ;   in Loop: Header=BB4_2404 Depth=3
	s_andn2_saveexec_b64 s[34:35], s[34:35]
; %bb.2479:                             ;   in Loop: Header=BB4_2404 Depth=3
	v_cmp_lt_i16_e32 vcc, -1, v0
	v_mov_b32_e32 v0, 0xff800000
	v_mov_b32_e32 v1, 0x7f800000
	v_cndmask_b32_e32 v0, v0, v1, vcc
	v_cmp_eq_u32_e32 vcc, 0, v4
	v_mov_b32_e32 v1, 0x7f800001
	v_cndmask_b32_e32 v1, v1, v0, vcc
; %bb.2480:                             ;   in Loop: Header=BB4_2404 Depth=3
	s_or_b64 exec, exec, s[34:35]
.LBB4_2481:                             ;   in Loop: Header=BB4_2404 Depth=3
	s_or_b64 exec, exec, s[30:31]
.LBB4_2482:                             ;   in Loop: Header=BB4_2404 Depth=3
	s_or_b64 exec, exec, s[26:27]
	v_mul_f32_e32 v4, v19, v1
	v_and_b32_e32 v21, 0x7f800000, v4
	v_mov_b32_e32 v22, v17
	v_cmp_ne_u64_e32 vcc, s[76:77], v[21:22]
	v_and_b32_e32 v0, 0x7fffff, v4
	v_mov_b32_e32 v1, v17
                                        ; implicit-def: $vgpr21
	s_and_saveexec_b64 s[26:27], vcc
	s_xor_b64 s[30:31], exec, s[26:27]
	s_cbranch_execz .LBB4_2500
; %bb.2483:                             ;   in Loop: Header=BB4_2404 Depth=3
	v_and_b32_e32 v21, 0x7fffffff, v4
	v_mov_b32_e32 v22, v17
	v_cmp_gt_u64_e32 vcc, s[78:79], v[21:22]
	v_and_b32_sdwa v22, v4, s96 dst_sel:DWORD dst_unused:UNUSED_PAD src0_sel:BYTE_3 src1_sel:DWORD
                                        ; implicit-def: $vgpr21
	s_and_saveexec_b64 s[26:27], vcc
	s_xor_b64 s[34:35], exec, s[26:27]
	s_cbranch_execz .LBB4_2497
; %bb.2484:                             ;   in Loop: Header=BB4_2404 Depth=3
	v_cmp_ne_u32_e32 vcc, 0, v4
	v_mov_b32_e32 v21, 0
	s_and_saveexec_b64 s[36:37], vcc
	s_cbranch_execz .LBB4_2496
; %bb.2485:                             ;   in Loop: Header=BB4_2404 Depth=3
	v_bfe_u32 v21, v4, 23, 8
	v_cmp_gt_u32_e64 s[26:27], s46, v21
	v_sub_u32_e32 v4, 0x71, v21
	v_cmp_eq_u32_e32 vcc, 0, v21
	v_cndmask_b32_e64 v4, 0, v4, s[26:27]
	v_mov_b32_e32 v23, 0x70
	v_cndmask_b32_e32 v23, v4, v23, vcc
	v_or_b32_e32 v5, 0x800000, v0
	v_add_u32_e32 v4, 21, v23
	v_cndmask_b32_e32 v0, v5, v0, vcc
	v_lshlrev_b64 v[4:5], v4, -1
	v_add_u32_e32 v24, 20, v23
	v_bfi_b32 v4, v4, 0, v0
	v_lshlrev_b64 v[24:25], v24, 1
	v_lshrrev_b64 v[0:1], v23, v[0:1]
	v_bfi_b32 v5, v5, 0, 0
	v_cmp_eq_u64_e64 s[26:27], v[4:5], v[24:25]
	v_mov_b32_e32 v5, v1
	v_mov_b32_e32 v4, v0
	s_and_saveexec_b64 s[38:39], s[26:27]
; %bb.2486:                             ;   in Loop: Header=BB4_2404 Depth=3
	v_bfe_u32 v1, v0, 21, 1
	v_add_co_u32_e64 v1, s[26:27], v0, v1
	v_add_co_u32_e64 v4, s[26:27], -1, v1
; %bb.2487:                             ;   in Loop: Header=BB4_2404 Depth=3
	s_or_b64 exec, exec, s[38:39]
	v_add_u32_e32 v1, 0xffffff81, v21
	v_mov_b32_e32 v5, 0xffffff82
	v_cndmask_b32_e32 v1, v1, v5, vcc
	v_lshrrev_b32_e32 v5, 23, v0
	v_add3_u32 v21, v23, v1, v5
	v_add_u32_e32 v5, 14, v21
	v_and_b32_e32 v1, 0x1fffff, v4
	v_add_u32_e32 v0, v1, v0
	v_mov_b32_e32 v1, v17
	v_cmp_ne_u32_e32 vcc, 0, v5
                                        ; implicit-def: $vgpr4
	s_and_saveexec_b64 s[26:27], vcc
	s_xor_b64 s[26:27], exec, s[26:27]
; %bb.2488:                             ;   in Loop: Header=BB4_2404 Depth=3
	v_cmp_lt_u64_e32 vcc, s[88:89], v[0:1]
	v_add_u32_e32 v4, 15, v21
	v_cndmask_b32_e32 v4, v5, v4, vcc
	v_cndmask_b32_e64 v5, 0, 1, vcc
	v_lshrrev_b64 v[0:1], v5, v[0:1]
; %bb.2489:                             ;   in Loop: Header=BB4_2404 Depth=3
	s_andn2_saveexec_b64 s[26:27], s[26:27]
; %bb.2490:                             ;   in Loop: Header=BB4_2404 Depth=3
	v_bfe_u32 v4, v0, 23, 1
; %bb.2491:                             ;   in Loop: Header=BB4_2404 Depth=3
	s_or_b64 exec, exec, s[26:27]
	v_lshrrev_b64 v[0:1], 21, v[0:1]
	v_cmp_gt_i32_e32 vcc, 32, v4
	v_cndmask_b32_e32 v1, 0, v1, vcc
	v_cndmask_b32_e32 v0, 3, v0, vcc
	v_cmp_ne_u64_e32 vcc, 0, v[0:1]
	v_cmp_ne_u32_e64 s[26:27], 0, v4
	s_or_b64 s[26:27], s[26:27], vcc
                                        ; implicit-def: $vgpr21
	s_and_saveexec_b64 vcc, s[26:27]
	s_xor_b64 s[26:27], exec, vcc
; %bb.2492:                             ;   in Loop: Header=BB4_2404 Depth=3
	v_min_i32_e32 v1, 31, v4
	v_lshl_or_b32 v1, v1, 2, v22
	v_and_or_b32 v21, v0, 3, v1
                                        ; implicit-def: $vgpr22
; %bb.2493:                             ;   in Loop: Header=BB4_2404 Depth=3
	s_andn2_saveexec_b64 s[26:27], s[26:27]
; %bb.2494:                             ;   in Loop: Header=BB4_2404 Depth=3
	v_mov_b32_e32 v21, v22
; %bb.2495:                             ;   in Loop: Header=BB4_2404 Depth=3
	s_or_b64 exec, exec, s[26:27]
.LBB4_2496:                             ;   in Loop: Header=BB4_2404 Depth=3
	s_or_b64 exec, exec, s[36:37]
                                        ; implicit-def: $vgpr22
.LBB4_2497:                             ;   in Loop: Header=BB4_2404 Depth=3
	s_andn2_saveexec_b64 s[26:27], s[34:35]
; %bb.2498:                             ;   in Loop: Header=BB4_2404 Depth=3
	v_or_b32_e32 v21, 0x7b, v22
; %bb.2499:                             ;   in Loop: Header=BB4_2404 Depth=3
	s_or_b64 exec, exec, s[26:27]
                                        ; implicit-def: $vgpr4
                                        ; implicit-def: $vgpr0_vgpr1
.LBB4_2500:                             ;   in Loop: Header=BB4_2404 Depth=3
	s_andn2_saveexec_b64 s[26:27], s[30:31]
	s_cbranch_execz .LBB4_2506
; %bb.2501:                             ;   in Loop: Header=BB4_2404 Depth=3
	v_cmp_ne_u64_e32 vcc, 0, v[0:1]
                                        ; implicit-def: $vgpr21
	s_and_saveexec_b64 s[30:31], vcc
	s_xor_b64 vcc, exec, s[30:31]
; %bb.2502:                             ;   in Loop: Header=BB4_2404 Depth=3
	v_or_b32_sdwa v21, v4, s47 dst_sel:DWORD dst_unused:UNUSED_PAD src0_sel:BYTE_3 src1_sel:DWORD
                                        ; implicit-def: $vgpr4
; %bb.2503:                             ;   in Loop: Header=BB4_2404 Depth=3
	s_andn2_saveexec_b64 s[30:31], vcc
; %bb.2504:                             ;   in Loop: Header=BB4_2404 Depth=3
	v_cmp_lt_i32_e32 vcc, -1, v4
	v_cndmask_b32_e32 v21, -4, v52, vcc
; %bb.2505:                             ;   in Loop: Header=BB4_2404 Depth=3
	s_or_b64 exec, exec, s[30:31]
.LBB4_2506:                             ;   in Loop: Header=BB4_2404 Depth=3
	s_or_b64 exec, exec, s[26:27]
	flat_load_sbyte v0, v[2:3] offset:192 glc slc
	v_mov_b32_e32 v1, 0
	s_waitcnt vmcnt(0) lgkmcnt(0)
	v_cmp_ne_u16_e32 vcc, 0, v0
	s_and_saveexec_b64 s[26:27], vcc
	s_cbranch_execz .LBB4_2514
; %bb.2507:                             ;   in Loop: Header=BB4_2404 Depth=3
	v_cmp_ne_u16_e32 vcc, s97, v0
	v_bfrev_b32_e32 v1, 1
	s_and_saveexec_b64 s[30:31], vcc
	s_cbranch_execz .LBB4_2513
; %bb.2508:                             ;   in Loop: Header=BB4_2404 Depth=3
	v_and_b32_e32 v1, 0x7c, v0
	v_and_b32_e32 v4, 3, v0
	v_cmp_ne_u32_e32 vcc, s85, v1
                                        ; implicit-def: $vgpr1
	s_and_saveexec_b64 s[34:35], vcc
	s_xor_b64 s[34:35], exec, s[34:35]
	s_cbranch_execz .LBB4_2510
; %bb.2509:                             ;   in Loop: Header=BB4_2404 Depth=3
	v_ffbh_u32_e32 v22, v4
	v_min_u32_e32 v24, 32, v22
	v_and_b32_e32 v5, 0xff, v0
	v_mov_b32_e32 v1, v17
	v_subrev_u32_e32 v22, 29, v24
	v_bfe_u32 v5, v5, 2, 5
	v_lshlrev_b64 v[22:23], v22, v[0:1]
	v_sub_u32_e32 v1, 30, v24
	v_cmp_eq_u32_e32 vcc, 0, v5
	v_and_b32_e32 v22, 3, v22
	v_cndmask_b32_e32 v1, v5, v1, vcc
	v_and_b32_sdwa v0, sext(v0), s86 dst_sel:DWORD dst_unused:UNUSED_PAD src0_sel:WORD_0 src1_sel:DWORD
	v_cndmask_b32_e32 v4, v4, v22, vcc
	v_lshl_add_u32 v0, v1, 23, v0
	v_lshl_or_b32 v0, v4, 21, v0
	v_add_u32_e32 v1, 0x38000000, v0
                                        ; implicit-def: $vgpr4
                                        ; implicit-def: $vgpr0
.LBB4_2510:                             ;   in Loop: Header=BB4_2404 Depth=3
	s_andn2_saveexec_b64 s[34:35], s[34:35]
; %bb.2511:                             ;   in Loop: Header=BB4_2404 Depth=3
	v_cmp_lt_i16_e32 vcc, -1, v0
	v_mov_b32_e32 v0, 0xff800000
	v_mov_b32_e32 v1, 0x7f800000
	v_cndmask_b32_e32 v0, v0, v1, vcc
	v_cmp_eq_u32_e32 vcc, 0, v4
	v_mov_b32_e32 v1, 0x7f800001
	v_cndmask_b32_e32 v1, v1, v0, vcc
; %bb.2512:                             ;   in Loop: Header=BB4_2404 Depth=3
	s_or_b64 exec, exec, s[34:35]
.LBB4_2513:                             ;   in Loop: Header=BB4_2404 Depth=3
	s_or_b64 exec, exec, s[30:31]
.LBB4_2514:                             ;   in Loop: Header=BB4_2404 Depth=3
	s_or_b64 exec, exec, s[26:27]
	v_mul_f32_e32 v4, v19, v1
	v_and_b32_e32 v22, 0x7f800000, v4
	v_mov_b32_e32 v23, v17
	v_cmp_ne_u64_e32 vcc, s[76:77], v[22:23]
	v_and_b32_e32 v0, 0x7fffff, v4
	v_mov_b32_e32 v1, v17
                                        ; implicit-def: $vgpr22
	s_and_saveexec_b64 s[26:27], vcc
	s_xor_b64 s[30:31], exec, s[26:27]
	s_cbranch_execz .LBB4_2532
; %bb.2515:                             ;   in Loop: Header=BB4_2404 Depth=3
	v_and_b32_e32 v22, 0x7fffffff, v4
	v_mov_b32_e32 v23, v17
	v_cmp_gt_u64_e32 vcc, s[78:79], v[22:23]
	v_and_b32_sdwa v23, v4, s96 dst_sel:DWORD dst_unused:UNUSED_PAD src0_sel:BYTE_3 src1_sel:DWORD
                                        ; implicit-def: $vgpr22
	s_and_saveexec_b64 s[26:27], vcc
	s_xor_b64 s[34:35], exec, s[26:27]
	s_cbranch_execz .LBB4_2529
; %bb.2516:                             ;   in Loop: Header=BB4_2404 Depth=3
	v_cmp_ne_u32_e32 vcc, 0, v4
	v_mov_b32_e32 v22, 0
	s_and_saveexec_b64 s[36:37], vcc
	s_cbranch_execz .LBB4_2528
; %bb.2517:                             ;   in Loop: Header=BB4_2404 Depth=3
	v_bfe_u32 v22, v4, 23, 8
	v_cmp_gt_u32_e64 s[26:27], s46, v22
	v_sub_u32_e32 v4, 0x71, v22
	v_cmp_eq_u32_e32 vcc, 0, v22
	v_cndmask_b32_e64 v4, 0, v4, s[26:27]
	v_mov_b32_e32 v24, 0x70
	v_cndmask_b32_e32 v24, v4, v24, vcc
	v_or_b32_e32 v5, 0x800000, v0
	v_add_u32_e32 v4, 21, v24
	v_cndmask_b32_e32 v0, v5, v0, vcc
	v_lshlrev_b64 v[4:5], v4, -1
	v_add_u32_e32 v25, 20, v24
	v_bfi_b32 v4, v4, 0, v0
	v_lshlrev_b64 v[25:26], v25, 1
	v_lshrrev_b64 v[0:1], v24, v[0:1]
	v_bfi_b32 v5, v5, 0, 0
	v_cmp_eq_u64_e64 s[26:27], v[4:5], v[25:26]
	v_mov_b32_e32 v5, v1
	v_mov_b32_e32 v4, v0
	s_and_saveexec_b64 s[38:39], s[26:27]
; %bb.2518:                             ;   in Loop: Header=BB4_2404 Depth=3
	v_bfe_u32 v1, v0, 21, 1
	v_add_co_u32_e64 v1, s[26:27], v0, v1
	v_add_co_u32_e64 v4, s[26:27], -1, v1
; %bb.2519:                             ;   in Loop: Header=BB4_2404 Depth=3
	s_or_b64 exec, exec, s[38:39]
	v_add_u32_e32 v1, 0xffffff81, v22
	v_mov_b32_e32 v5, 0xffffff82
	v_cndmask_b32_e32 v1, v1, v5, vcc
	v_lshrrev_b32_e32 v5, 23, v0
	v_add3_u32 v22, v24, v1, v5
	v_add_u32_e32 v5, 14, v22
	v_and_b32_e32 v1, 0x1fffff, v4
	v_add_u32_e32 v0, v1, v0
	v_mov_b32_e32 v1, v17
	v_cmp_ne_u32_e32 vcc, 0, v5
                                        ; implicit-def: $vgpr4
	s_and_saveexec_b64 s[26:27], vcc
	s_xor_b64 s[26:27], exec, s[26:27]
; %bb.2520:                             ;   in Loop: Header=BB4_2404 Depth=3
	v_cmp_lt_u64_e32 vcc, s[88:89], v[0:1]
	v_add_u32_e32 v4, 15, v22
	v_cndmask_b32_e32 v4, v5, v4, vcc
	v_cndmask_b32_e64 v5, 0, 1, vcc
	v_lshrrev_b64 v[0:1], v5, v[0:1]
; %bb.2521:                             ;   in Loop: Header=BB4_2404 Depth=3
	s_andn2_saveexec_b64 s[26:27], s[26:27]
; %bb.2522:                             ;   in Loop: Header=BB4_2404 Depth=3
	v_bfe_u32 v4, v0, 23, 1
; %bb.2523:                             ;   in Loop: Header=BB4_2404 Depth=3
	s_or_b64 exec, exec, s[26:27]
	v_lshrrev_b64 v[0:1], 21, v[0:1]
	v_cmp_gt_i32_e32 vcc, 32, v4
	v_cndmask_b32_e32 v1, 0, v1, vcc
	v_cndmask_b32_e32 v0, 3, v0, vcc
	v_cmp_ne_u64_e32 vcc, 0, v[0:1]
	v_cmp_ne_u32_e64 s[26:27], 0, v4
	s_or_b64 s[26:27], s[26:27], vcc
                                        ; implicit-def: $vgpr22
	s_and_saveexec_b64 vcc, s[26:27]
	s_xor_b64 s[26:27], exec, vcc
; %bb.2524:                             ;   in Loop: Header=BB4_2404 Depth=3
	v_min_i32_e32 v1, 31, v4
	v_lshl_or_b32 v1, v1, 2, v23
	v_and_or_b32 v22, v0, 3, v1
                                        ; implicit-def: $vgpr23
; %bb.2525:                             ;   in Loop: Header=BB4_2404 Depth=3
	s_andn2_saveexec_b64 s[26:27], s[26:27]
; %bb.2526:                             ;   in Loop: Header=BB4_2404 Depth=3
	v_mov_b32_e32 v22, v23
; %bb.2527:                             ;   in Loop: Header=BB4_2404 Depth=3
	s_or_b64 exec, exec, s[26:27]
.LBB4_2528:                             ;   in Loop: Header=BB4_2404 Depth=3
	s_or_b64 exec, exec, s[36:37]
                                        ; implicit-def: $vgpr23
.LBB4_2529:                             ;   in Loop: Header=BB4_2404 Depth=3
	s_andn2_saveexec_b64 s[26:27], s[34:35]
; %bb.2530:                             ;   in Loop: Header=BB4_2404 Depth=3
	v_or_b32_e32 v22, 0x7b, v23
; %bb.2531:                             ;   in Loop: Header=BB4_2404 Depth=3
	s_or_b64 exec, exec, s[26:27]
                                        ; implicit-def: $vgpr4
                                        ; implicit-def: $vgpr0_vgpr1
.LBB4_2532:                             ;   in Loop: Header=BB4_2404 Depth=3
	s_andn2_saveexec_b64 s[26:27], s[30:31]
	s_cbranch_execz .LBB4_2538
; %bb.2533:                             ;   in Loop: Header=BB4_2404 Depth=3
	v_cmp_ne_u64_e32 vcc, 0, v[0:1]
                                        ; implicit-def: $vgpr22
	s_and_saveexec_b64 s[30:31], vcc
	s_xor_b64 vcc, exec, s[30:31]
; %bb.2534:                             ;   in Loop: Header=BB4_2404 Depth=3
	v_or_b32_sdwa v22, v4, s47 dst_sel:DWORD dst_unused:UNUSED_PAD src0_sel:BYTE_3 src1_sel:DWORD
                                        ; implicit-def: $vgpr4
; %bb.2535:                             ;   in Loop: Header=BB4_2404 Depth=3
	s_andn2_saveexec_b64 s[30:31], vcc
; %bb.2536:                             ;   in Loop: Header=BB4_2404 Depth=3
	v_cmp_lt_i32_e32 vcc, -1, v4
	v_cndmask_b32_e32 v22, -4, v52, vcc
; %bb.2537:                             ;   in Loop: Header=BB4_2404 Depth=3
	s_or_b64 exec, exec, s[30:31]
.LBB4_2538:                             ;   in Loop: Header=BB4_2404 Depth=3
	s_or_b64 exec, exec, s[26:27]
	flat_load_sbyte v0, v[2:3] offset:256 glc slc
	v_mov_b32_e32 v1, 0
	s_waitcnt vmcnt(0) lgkmcnt(0)
	v_cmp_ne_u16_e32 vcc, 0, v0
	s_and_saveexec_b64 s[26:27], vcc
	s_cbranch_execz .LBB4_2546
; %bb.2539:                             ;   in Loop: Header=BB4_2404 Depth=3
	v_cmp_ne_u16_e32 vcc, s97, v0
	v_bfrev_b32_e32 v1, 1
	s_and_saveexec_b64 s[30:31], vcc
	s_cbranch_execz .LBB4_2545
; %bb.2540:                             ;   in Loop: Header=BB4_2404 Depth=3
	v_and_b32_e32 v1, 0x7c, v0
	v_and_b32_e32 v4, 3, v0
	v_cmp_ne_u32_e32 vcc, s85, v1
                                        ; implicit-def: $vgpr1
	s_and_saveexec_b64 s[34:35], vcc
	s_xor_b64 s[34:35], exec, s[34:35]
	s_cbranch_execz .LBB4_2542
; %bb.2541:                             ;   in Loop: Header=BB4_2404 Depth=3
	v_ffbh_u32_e32 v23, v4
	v_min_u32_e32 v25, 32, v23
	v_and_b32_e32 v5, 0xff, v0
	v_mov_b32_e32 v1, v17
	v_subrev_u32_e32 v23, 29, v25
	v_bfe_u32 v5, v5, 2, 5
	v_lshlrev_b64 v[23:24], v23, v[0:1]
	v_sub_u32_e32 v1, 30, v25
	v_cmp_eq_u32_e32 vcc, 0, v5
	v_and_b32_e32 v23, 3, v23
	v_cndmask_b32_e32 v1, v5, v1, vcc
	v_and_b32_sdwa v0, sext(v0), s86 dst_sel:DWORD dst_unused:UNUSED_PAD src0_sel:WORD_0 src1_sel:DWORD
	v_cndmask_b32_e32 v4, v4, v23, vcc
	v_lshl_add_u32 v0, v1, 23, v0
	v_lshl_or_b32 v0, v4, 21, v0
	v_add_u32_e32 v1, 0x38000000, v0
                                        ; implicit-def: $vgpr4
                                        ; implicit-def: $vgpr0
.LBB4_2542:                             ;   in Loop: Header=BB4_2404 Depth=3
	s_andn2_saveexec_b64 s[34:35], s[34:35]
; %bb.2543:                             ;   in Loop: Header=BB4_2404 Depth=3
	v_cmp_lt_i16_e32 vcc, -1, v0
	v_mov_b32_e32 v0, 0xff800000
	v_mov_b32_e32 v1, 0x7f800000
	v_cndmask_b32_e32 v0, v0, v1, vcc
	v_cmp_eq_u32_e32 vcc, 0, v4
	v_mov_b32_e32 v1, 0x7f800001
	v_cndmask_b32_e32 v1, v1, v0, vcc
; %bb.2544:                             ;   in Loop: Header=BB4_2404 Depth=3
	s_or_b64 exec, exec, s[34:35]
.LBB4_2545:                             ;   in Loop: Header=BB4_2404 Depth=3
	s_or_b64 exec, exec, s[30:31]
.LBB4_2546:                             ;   in Loop: Header=BB4_2404 Depth=3
	s_or_b64 exec, exec, s[26:27]
	v_mul_f32_e32 v4, v19, v1
	v_and_b32_e32 v23, 0x7f800000, v4
	v_mov_b32_e32 v24, v17
	v_cmp_ne_u64_e32 vcc, s[76:77], v[23:24]
	v_and_b32_e32 v0, 0x7fffff, v4
	v_mov_b32_e32 v1, v17
                                        ; implicit-def: $vgpr23
	s_and_saveexec_b64 s[26:27], vcc
	s_xor_b64 s[30:31], exec, s[26:27]
	s_cbranch_execz .LBB4_2564
; %bb.2547:                             ;   in Loop: Header=BB4_2404 Depth=3
	v_and_b32_e32 v23, 0x7fffffff, v4
	v_mov_b32_e32 v24, v17
	v_cmp_gt_u64_e32 vcc, s[78:79], v[23:24]
	v_and_b32_sdwa v24, v4, s96 dst_sel:DWORD dst_unused:UNUSED_PAD src0_sel:BYTE_3 src1_sel:DWORD
                                        ; implicit-def: $vgpr23
	s_and_saveexec_b64 s[26:27], vcc
	s_xor_b64 s[34:35], exec, s[26:27]
	s_cbranch_execz .LBB4_2561
; %bb.2548:                             ;   in Loop: Header=BB4_2404 Depth=3
	v_cmp_ne_u32_e32 vcc, 0, v4
	v_mov_b32_e32 v23, 0
	s_and_saveexec_b64 s[36:37], vcc
	s_cbranch_execz .LBB4_2560
; %bb.2549:                             ;   in Loop: Header=BB4_2404 Depth=3
	v_bfe_u32 v23, v4, 23, 8
	v_cmp_gt_u32_e64 s[26:27], s46, v23
	v_sub_u32_e32 v4, 0x71, v23
	v_cmp_eq_u32_e32 vcc, 0, v23
	v_cndmask_b32_e64 v4, 0, v4, s[26:27]
	v_mov_b32_e32 v25, 0x70
	v_cndmask_b32_e32 v25, v4, v25, vcc
	v_or_b32_e32 v5, 0x800000, v0
	v_add_u32_e32 v4, 21, v25
	v_cndmask_b32_e32 v0, v5, v0, vcc
	v_lshlrev_b64 v[4:5], v4, -1
	v_add_u32_e32 v26, 20, v25
	v_bfi_b32 v4, v4, 0, v0
	v_lshlrev_b64 v[26:27], v26, 1
	v_lshrrev_b64 v[0:1], v25, v[0:1]
	v_bfi_b32 v5, v5, 0, 0
	v_cmp_eq_u64_e64 s[26:27], v[4:5], v[26:27]
	v_mov_b32_e32 v5, v1
	v_mov_b32_e32 v4, v0
	s_and_saveexec_b64 s[38:39], s[26:27]
; %bb.2550:                             ;   in Loop: Header=BB4_2404 Depth=3
	v_bfe_u32 v1, v0, 21, 1
	v_add_co_u32_e64 v1, s[26:27], v0, v1
	v_add_co_u32_e64 v4, s[26:27], -1, v1
; %bb.2551:                             ;   in Loop: Header=BB4_2404 Depth=3
	s_or_b64 exec, exec, s[38:39]
	v_add_u32_e32 v1, 0xffffff81, v23
	v_mov_b32_e32 v5, 0xffffff82
	v_cndmask_b32_e32 v1, v1, v5, vcc
	v_lshrrev_b32_e32 v5, 23, v0
	v_add3_u32 v23, v25, v1, v5
	v_add_u32_e32 v5, 14, v23
	v_and_b32_e32 v1, 0x1fffff, v4
	v_add_u32_e32 v0, v1, v0
	v_mov_b32_e32 v1, v17
	v_cmp_ne_u32_e32 vcc, 0, v5
                                        ; implicit-def: $vgpr4
	s_and_saveexec_b64 s[26:27], vcc
	s_xor_b64 s[26:27], exec, s[26:27]
; %bb.2552:                             ;   in Loop: Header=BB4_2404 Depth=3
	v_cmp_lt_u64_e32 vcc, s[88:89], v[0:1]
	v_add_u32_e32 v4, 15, v23
	v_cndmask_b32_e32 v4, v5, v4, vcc
	v_cndmask_b32_e64 v5, 0, 1, vcc
	v_lshrrev_b64 v[0:1], v5, v[0:1]
; %bb.2553:                             ;   in Loop: Header=BB4_2404 Depth=3
	s_andn2_saveexec_b64 s[26:27], s[26:27]
; %bb.2554:                             ;   in Loop: Header=BB4_2404 Depth=3
	v_bfe_u32 v4, v0, 23, 1
; %bb.2555:                             ;   in Loop: Header=BB4_2404 Depth=3
	s_or_b64 exec, exec, s[26:27]
	v_lshrrev_b64 v[0:1], 21, v[0:1]
	v_cmp_gt_i32_e32 vcc, 32, v4
	v_cndmask_b32_e32 v1, 0, v1, vcc
	v_cndmask_b32_e32 v0, 3, v0, vcc
	v_cmp_ne_u64_e32 vcc, 0, v[0:1]
	v_cmp_ne_u32_e64 s[26:27], 0, v4
	s_or_b64 s[26:27], s[26:27], vcc
                                        ; implicit-def: $vgpr23
	s_and_saveexec_b64 vcc, s[26:27]
	s_xor_b64 s[26:27], exec, vcc
; %bb.2556:                             ;   in Loop: Header=BB4_2404 Depth=3
	v_min_i32_e32 v1, 31, v4
	v_lshl_or_b32 v1, v1, 2, v24
	v_and_or_b32 v23, v0, 3, v1
                                        ; implicit-def: $vgpr24
; %bb.2557:                             ;   in Loop: Header=BB4_2404 Depth=3
	s_andn2_saveexec_b64 s[26:27], s[26:27]
; %bb.2558:                             ;   in Loop: Header=BB4_2404 Depth=3
	v_mov_b32_e32 v23, v24
; %bb.2559:                             ;   in Loop: Header=BB4_2404 Depth=3
	s_or_b64 exec, exec, s[26:27]
.LBB4_2560:                             ;   in Loop: Header=BB4_2404 Depth=3
	s_or_b64 exec, exec, s[36:37]
                                        ; implicit-def: $vgpr24
.LBB4_2561:                             ;   in Loop: Header=BB4_2404 Depth=3
	s_andn2_saveexec_b64 s[26:27], s[34:35]
; %bb.2562:                             ;   in Loop: Header=BB4_2404 Depth=3
	v_or_b32_e32 v23, 0x7b, v24
; %bb.2563:                             ;   in Loop: Header=BB4_2404 Depth=3
	s_or_b64 exec, exec, s[26:27]
                                        ; implicit-def: $vgpr4
                                        ; implicit-def: $vgpr0_vgpr1
.LBB4_2564:                             ;   in Loop: Header=BB4_2404 Depth=3
	s_andn2_saveexec_b64 s[26:27], s[30:31]
	s_cbranch_execz .LBB4_2570
; %bb.2565:                             ;   in Loop: Header=BB4_2404 Depth=3
	v_cmp_ne_u64_e32 vcc, 0, v[0:1]
                                        ; implicit-def: $vgpr23
	s_and_saveexec_b64 s[30:31], vcc
	s_xor_b64 vcc, exec, s[30:31]
; %bb.2566:                             ;   in Loop: Header=BB4_2404 Depth=3
	v_or_b32_sdwa v23, v4, s47 dst_sel:DWORD dst_unused:UNUSED_PAD src0_sel:BYTE_3 src1_sel:DWORD
                                        ; implicit-def: $vgpr4
; %bb.2567:                             ;   in Loop: Header=BB4_2404 Depth=3
	s_andn2_saveexec_b64 s[30:31], vcc
; %bb.2568:                             ;   in Loop: Header=BB4_2404 Depth=3
	v_cmp_lt_i32_e32 vcc, -1, v4
	v_cndmask_b32_e32 v23, -4, v52, vcc
; %bb.2569:                             ;   in Loop: Header=BB4_2404 Depth=3
	s_or_b64 exec, exec, s[30:31]
.LBB4_2570:                             ;   in Loop: Header=BB4_2404 Depth=3
	s_or_b64 exec, exec, s[26:27]
	flat_load_sbyte v0, v[2:3] offset:320 glc slc
	v_mov_b32_e32 v1, 0
	s_waitcnt vmcnt(0) lgkmcnt(0)
	v_cmp_ne_u16_e32 vcc, 0, v0
	s_and_saveexec_b64 s[26:27], vcc
	s_cbranch_execz .LBB4_2578
; %bb.2571:                             ;   in Loop: Header=BB4_2404 Depth=3
	v_cmp_ne_u16_e32 vcc, s97, v0
	v_bfrev_b32_e32 v1, 1
	s_and_saveexec_b64 s[30:31], vcc
	s_cbranch_execz .LBB4_2577
; %bb.2572:                             ;   in Loop: Header=BB4_2404 Depth=3
	v_and_b32_e32 v1, 0x7c, v0
	v_and_b32_e32 v4, 3, v0
	v_cmp_ne_u32_e32 vcc, s85, v1
                                        ; implicit-def: $vgpr1
	s_and_saveexec_b64 s[34:35], vcc
	s_xor_b64 s[34:35], exec, s[34:35]
	s_cbranch_execz .LBB4_2574
; %bb.2573:                             ;   in Loop: Header=BB4_2404 Depth=3
	v_ffbh_u32_e32 v24, v4
	v_min_u32_e32 v26, 32, v24
	v_and_b32_e32 v5, 0xff, v0
	v_mov_b32_e32 v1, v17
	v_subrev_u32_e32 v24, 29, v26
	v_bfe_u32 v5, v5, 2, 5
	v_lshlrev_b64 v[24:25], v24, v[0:1]
	v_sub_u32_e32 v1, 30, v26
	v_cmp_eq_u32_e32 vcc, 0, v5
	v_and_b32_e32 v24, 3, v24
	v_cndmask_b32_e32 v1, v5, v1, vcc
	v_and_b32_sdwa v0, sext(v0), s86 dst_sel:DWORD dst_unused:UNUSED_PAD src0_sel:WORD_0 src1_sel:DWORD
	v_cndmask_b32_e32 v4, v4, v24, vcc
	v_lshl_add_u32 v0, v1, 23, v0
	v_lshl_or_b32 v0, v4, 21, v0
	v_add_u32_e32 v1, 0x38000000, v0
                                        ; implicit-def: $vgpr4
                                        ; implicit-def: $vgpr0
.LBB4_2574:                             ;   in Loop: Header=BB4_2404 Depth=3
	s_andn2_saveexec_b64 s[34:35], s[34:35]
; %bb.2575:                             ;   in Loop: Header=BB4_2404 Depth=3
	v_cmp_lt_i16_e32 vcc, -1, v0
	v_mov_b32_e32 v0, 0xff800000
	v_mov_b32_e32 v1, 0x7f800000
	v_cndmask_b32_e32 v0, v0, v1, vcc
	v_cmp_eq_u32_e32 vcc, 0, v4
	v_mov_b32_e32 v1, 0x7f800001
	v_cndmask_b32_e32 v1, v1, v0, vcc
; %bb.2576:                             ;   in Loop: Header=BB4_2404 Depth=3
	s_or_b64 exec, exec, s[34:35]
.LBB4_2577:                             ;   in Loop: Header=BB4_2404 Depth=3
	s_or_b64 exec, exec, s[30:31]
.LBB4_2578:                             ;   in Loop: Header=BB4_2404 Depth=3
	s_or_b64 exec, exec, s[26:27]
	v_mul_f32_e32 v4, v19, v1
	v_and_b32_e32 v24, 0x7f800000, v4
	v_mov_b32_e32 v25, v17
	v_cmp_ne_u64_e32 vcc, s[76:77], v[24:25]
	v_and_b32_e32 v0, 0x7fffff, v4
	v_mov_b32_e32 v1, v17
                                        ; implicit-def: $vgpr24
	s_and_saveexec_b64 s[26:27], vcc
	s_xor_b64 s[30:31], exec, s[26:27]
	s_cbranch_execz .LBB4_2596
; %bb.2579:                             ;   in Loop: Header=BB4_2404 Depth=3
	v_and_b32_e32 v24, 0x7fffffff, v4
	v_mov_b32_e32 v25, v17
	v_cmp_gt_u64_e32 vcc, s[78:79], v[24:25]
	v_and_b32_sdwa v25, v4, s96 dst_sel:DWORD dst_unused:UNUSED_PAD src0_sel:BYTE_3 src1_sel:DWORD
                                        ; implicit-def: $vgpr24
	s_and_saveexec_b64 s[26:27], vcc
	s_xor_b64 s[34:35], exec, s[26:27]
	s_cbranch_execz .LBB4_2593
; %bb.2580:                             ;   in Loop: Header=BB4_2404 Depth=3
	v_cmp_ne_u32_e32 vcc, 0, v4
	v_mov_b32_e32 v24, 0
	s_and_saveexec_b64 s[36:37], vcc
	s_cbranch_execz .LBB4_2592
; %bb.2581:                             ;   in Loop: Header=BB4_2404 Depth=3
	v_bfe_u32 v24, v4, 23, 8
	v_cmp_gt_u32_e64 s[26:27], s46, v24
	v_sub_u32_e32 v4, 0x71, v24
	v_cmp_eq_u32_e32 vcc, 0, v24
	v_cndmask_b32_e64 v4, 0, v4, s[26:27]
	v_mov_b32_e32 v26, 0x70
	v_cndmask_b32_e32 v26, v4, v26, vcc
	v_or_b32_e32 v5, 0x800000, v0
	v_add_u32_e32 v4, 21, v26
	v_cndmask_b32_e32 v0, v5, v0, vcc
	v_lshlrev_b64 v[4:5], v4, -1
	v_add_u32_e32 v27, 20, v26
	v_bfi_b32 v4, v4, 0, v0
	v_lshlrev_b64 v[30:31], v27, 1
	v_lshrrev_b64 v[0:1], v26, v[0:1]
	v_bfi_b32 v5, v5, 0, 0
	v_cmp_eq_u64_e64 s[26:27], v[4:5], v[30:31]
	v_mov_b32_e32 v5, v1
	v_mov_b32_e32 v4, v0
	s_and_saveexec_b64 s[38:39], s[26:27]
; %bb.2582:                             ;   in Loop: Header=BB4_2404 Depth=3
	v_bfe_u32 v1, v0, 21, 1
	v_add_co_u32_e64 v1, s[26:27], v0, v1
	v_add_co_u32_e64 v4, s[26:27], -1, v1
; %bb.2583:                             ;   in Loop: Header=BB4_2404 Depth=3
	s_or_b64 exec, exec, s[38:39]
	v_add_u32_e32 v1, 0xffffff81, v24
	v_mov_b32_e32 v5, 0xffffff82
	v_cndmask_b32_e32 v1, v1, v5, vcc
	v_lshrrev_b32_e32 v5, 23, v0
	v_add3_u32 v24, v26, v1, v5
	v_add_u32_e32 v5, 14, v24
	v_and_b32_e32 v1, 0x1fffff, v4
	v_add_u32_e32 v0, v1, v0
	v_mov_b32_e32 v1, v17
	v_cmp_ne_u32_e32 vcc, 0, v5
                                        ; implicit-def: $vgpr4
	s_and_saveexec_b64 s[26:27], vcc
	s_xor_b64 s[26:27], exec, s[26:27]
; %bb.2584:                             ;   in Loop: Header=BB4_2404 Depth=3
	v_cmp_lt_u64_e32 vcc, s[88:89], v[0:1]
	v_add_u32_e32 v4, 15, v24
	v_cndmask_b32_e32 v4, v5, v4, vcc
	v_cndmask_b32_e64 v5, 0, 1, vcc
	v_lshrrev_b64 v[0:1], v5, v[0:1]
; %bb.2585:                             ;   in Loop: Header=BB4_2404 Depth=3
	s_andn2_saveexec_b64 s[26:27], s[26:27]
; %bb.2586:                             ;   in Loop: Header=BB4_2404 Depth=3
	v_bfe_u32 v4, v0, 23, 1
; %bb.2587:                             ;   in Loop: Header=BB4_2404 Depth=3
	s_or_b64 exec, exec, s[26:27]
	v_lshrrev_b64 v[0:1], 21, v[0:1]
	v_cmp_gt_i32_e32 vcc, 32, v4
	v_cndmask_b32_e32 v1, 0, v1, vcc
	v_cndmask_b32_e32 v0, 3, v0, vcc
	v_cmp_ne_u64_e32 vcc, 0, v[0:1]
	v_cmp_ne_u32_e64 s[26:27], 0, v4
	s_or_b64 s[26:27], s[26:27], vcc
                                        ; implicit-def: $vgpr24
	s_and_saveexec_b64 vcc, s[26:27]
	s_xor_b64 s[26:27], exec, vcc
; %bb.2588:                             ;   in Loop: Header=BB4_2404 Depth=3
	v_min_i32_e32 v1, 31, v4
	v_lshl_or_b32 v1, v1, 2, v25
	v_and_or_b32 v24, v0, 3, v1
                                        ; implicit-def: $vgpr25
; %bb.2589:                             ;   in Loop: Header=BB4_2404 Depth=3
	s_andn2_saveexec_b64 s[26:27], s[26:27]
; %bb.2590:                             ;   in Loop: Header=BB4_2404 Depth=3
	v_mov_b32_e32 v24, v25
; %bb.2591:                             ;   in Loop: Header=BB4_2404 Depth=3
	s_or_b64 exec, exec, s[26:27]
.LBB4_2592:                             ;   in Loop: Header=BB4_2404 Depth=3
	s_or_b64 exec, exec, s[36:37]
                                        ; implicit-def: $vgpr25
.LBB4_2593:                             ;   in Loop: Header=BB4_2404 Depth=3
	s_andn2_saveexec_b64 s[26:27], s[34:35]
; %bb.2594:                             ;   in Loop: Header=BB4_2404 Depth=3
	v_or_b32_e32 v24, 0x7b, v25
; %bb.2595:                             ;   in Loop: Header=BB4_2404 Depth=3
	s_or_b64 exec, exec, s[26:27]
                                        ; implicit-def: $vgpr4
                                        ; implicit-def: $vgpr0_vgpr1
.LBB4_2596:                             ;   in Loop: Header=BB4_2404 Depth=3
	s_andn2_saveexec_b64 s[26:27], s[30:31]
	s_cbranch_execz .LBB4_2602
; %bb.2597:                             ;   in Loop: Header=BB4_2404 Depth=3
	v_cmp_ne_u64_e32 vcc, 0, v[0:1]
                                        ; implicit-def: $vgpr24
	s_and_saveexec_b64 s[30:31], vcc
	s_xor_b64 vcc, exec, s[30:31]
; %bb.2598:                             ;   in Loop: Header=BB4_2404 Depth=3
	v_or_b32_sdwa v24, v4, s47 dst_sel:DWORD dst_unused:UNUSED_PAD src0_sel:BYTE_3 src1_sel:DWORD
                                        ; implicit-def: $vgpr4
; %bb.2599:                             ;   in Loop: Header=BB4_2404 Depth=3
	s_andn2_saveexec_b64 s[30:31], vcc
; %bb.2600:                             ;   in Loop: Header=BB4_2404 Depth=3
	v_cmp_lt_i32_e32 vcc, -1, v4
	v_cndmask_b32_e32 v24, -4, v52, vcc
; %bb.2601:                             ;   in Loop: Header=BB4_2404 Depth=3
	s_or_b64 exec, exec, s[30:31]
.LBB4_2602:                             ;   in Loop: Header=BB4_2404 Depth=3
	s_or_b64 exec, exec, s[26:27]
	flat_load_sbyte v0, v[2:3] offset:384 glc slc
	v_mov_b32_e32 v1, 0
	s_waitcnt vmcnt(0) lgkmcnt(0)
	v_cmp_ne_u16_e32 vcc, 0, v0
	s_and_saveexec_b64 s[26:27], vcc
	s_cbranch_execz .LBB4_2610
; %bb.2603:                             ;   in Loop: Header=BB4_2404 Depth=3
	v_cmp_ne_u16_e32 vcc, s97, v0
	v_bfrev_b32_e32 v1, 1
	s_and_saveexec_b64 s[30:31], vcc
	s_cbranch_execz .LBB4_2609
; %bb.2604:                             ;   in Loop: Header=BB4_2404 Depth=3
	v_and_b32_e32 v1, 0x7c, v0
	v_and_b32_e32 v4, 3, v0
	v_cmp_ne_u32_e32 vcc, s85, v1
                                        ; implicit-def: $vgpr1
	s_and_saveexec_b64 s[34:35], vcc
	s_xor_b64 s[34:35], exec, s[34:35]
	s_cbranch_execz .LBB4_2606
; %bb.2605:                             ;   in Loop: Header=BB4_2404 Depth=3
	v_ffbh_u32_e32 v25, v4
	v_min_u32_e32 v27, 32, v25
	v_and_b32_e32 v5, 0xff, v0
	v_mov_b32_e32 v1, v17
	v_subrev_u32_e32 v25, 29, v27
	v_bfe_u32 v5, v5, 2, 5
	v_lshlrev_b64 v[25:26], v25, v[0:1]
	v_sub_u32_e32 v1, 30, v27
	v_cmp_eq_u32_e32 vcc, 0, v5
	v_and_b32_e32 v25, 3, v25
	v_cndmask_b32_e32 v1, v5, v1, vcc
	v_and_b32_sdwa v0, sext(v0), s86 dst_sel:DWORD dst_unused:UNUSED_PAD src0_sel:WORD_0 src1_sel:DWORD
	v_cndmask_b32_e32 v4, v4, v25, vcc
	v_lshl_add_u32 v0, v1, 23, v0
	v_lshl_or_b32 v0, v4, 21, v0
	v_add_u32_e32 v1, 0x38000000, v0
                                        ; implicit-def: $vgpr4
                                        ; implicit-def: $vgpr0
.LBB4_2606:                             ;   in Loop: Header=BB4_2404 Depth=3
	s_andn2_saveexec_b64 s[34:35], s[34:35]
; %bb.2607:                             ;   in Loop: Header=BB4_2404 Depth=3
	v_cmp_lt_i16_e32 vcc, -1, v0
	v_mov_b32_e32 v0, 0xff800000
	v_mov_b32_e32 v1, 0x7f800000
	v_cndmask_b32_e32 v0, v0, v1, vcc
	v_cmp_eq_u32_e32 vcc, 0, v4
	v_mov_b32_e32 v1, 0x7f800001
	v_cndmask_b32_e32 v1, v1, v0, vcc
; %bb.2608:                             ;   in Loop: Header=BB4_2404 Depth=3
	s_or_b64 exec, exec, s[34:35]
.LBB4_2609:                             ;   in Loop: Header=BB4_2404 Depth=3
	s_or_b64 exec, exec, s[30:31]
.LBB4_2610:                             ;   in Loop: Header=BB4_2404 Depth=3
	s_or_b64 exec, exec, s[26:27]
	v_mul_f32_e32 v4, v19, v1
	v_and_b32_e32 v25, 0x7f800000, v4
	v_mov_b32_e32 v26, v17
	v_cmp_ne_u64_e32 vcc, s[76:77], v[25:26]
	v_and_b32_e32 v0, 0x7fffff, v4
	v_mov_b32_e32 v1, v17
                                        ; implicit-def: $vgpr25
	s_and_saveexec_b64 s[26:27], vcc
	s_xor_b64 s[30:31], exec, s[26:27]
	s_cbranch_execz .LBB4_2628
; %bb.2611:                             ;   in Loop: Header=BB4_2404 Depth=3
	v_and_b32_e32 v25, 0x7fffffff, v4
	v_mov_b32_e32 v26, v17
	v_cmp_gt_u64_e32 vcc, s[78:79], v[25:26]
	v_and_b32_sdwa v26, v4, s96 dst_sel:DWORD dst_unused:UNUSED_PAD src0_sel:BYTE_3 src1_sel:DWORD
                                        ; implicit-def: $vgpr25
	s_and_saveexec_b64 s[26:27], vcc
	s_xor_b64 s[34:35], exec, s[26:27]
	s_cbranch_execz .LBB4_2625
; %bb.2612:                             ;   in Loop: Header=BB4_2404 Depth=3
	v_cmp_ne_u32_e32 vcc, 0, v4
	v_mov_b32_e32 v25, 0
	s_and_saveexec_b64 s[36:37], vcc
	s_cbranch_execz .LBB4_2624
; %bb.2613:                             ;   in Loop: Header=BB4_2404 Depth=3
	v_bfe_u32 v25, v4, 23, 8
	v_cmp_gt_u32_e64 s[26:27], s46, v25
	v_sub_u32_e32 v4, 0x71, v25
	v_cmp_eq_u32_e32 vcc, 0, v25
	v_cndmask_b32_e64 v4, 0, v4, s[26:27]
	v_mov_b32_e32 v27, 0x70
	v_cndmask_b32_e32 v27, v4, v27, vcc
	v_or_b32_e32 v5, 0x800000, v0
	v_add_u32_e32 v4, 21, v27
	v_cndmask_b32_e32 v0, v5, v0, vcc
	v_lshlrev_b64 v[4:5], v4, -1
	v_add_u32_e32 v28, 20, v27
	v_bfi_b32 v4, v4, 0, v0
	v_lshlrev_b64 v[30:31], v28, 1
	v_lshrrev_b64 v[0:1], v27, v[0:1]
	v_bfi_b32 v5, v5, 0, 0
	v_cmp_eq_u64_e64 s[26:27], v[4:5], v[30:31]
	v_mov_b32_e32 v5, v1
	v_mov_b32_e32 v4, v0
	s_and_saveexec_b64 s[38:39], s[26:27]
; %bb.2614:                             ;   in Loop: Header=BB4_2404 Depth=3
	v_bfe_u32 v1, v0, 21, 1
	v_add_co_u32_e64 v1, s[26:27], v0, v1
	v_add_co_u32_e64 v4, s[26:27], -1, v1
; %bb.2615:                             ;   in Loop: Header=BB4_2404 Depth=3
	s_or_b64 exec, exec, s[38:39]
	v_add_u32_e32 v1, 0xffffff81, v25
	v_mov_b32_e32 v5, 0xffffff82
	v_cndmask_b32_e32 v1, v1, v5, vcc
	v_lshrrev_b32_e32 v5, 23, v0
	v_add3_u32 v25, v27, v1, v5
	v_add_u32_e32 v5, 14, v25
	v_and_b32_e32 v1, 0x1fffff, v4
	v_add_u32_e32 v0, v1, v0
	v_mov_b32_e32 v1, v17
	v_cmp_ne_u32_e32 vcc, 0, v5
                                        ; implicit-def: $vgpr4
	s_and_saveexec_b64 s[26:27], vcc
	s_xor_b64 s[26:27], exec, s[26:27]
; %bb.2616:                             ;   in Loop: Header=BB4_2404 Depth=3
	v_cmp_lt_u64_e32 vcc, s[88:89], v[0:1]
	v_add_u32_e32 v4, 15, v25
	v_cndmask_b32_e32 v4, v5, v4, vcc
	v_cndmask_b32_e64 v5, 0, 1, vcc
	v_lshrrev_b64 v[0:1], v5, v[0:1]
; %bb.2617:                             ;   in Loop: Header=BB4_2404 Depth=3
	s_andn2_saveexec_b64 s[26:27], s[26:27]
; %bb.2618:                             ;   in Loop: Header=BB4_2404 Depth=3
	v_bfe_u32 v4, v0, 23, 1
; %bb.2619:                             ;   in Loop: Header=BB4_2404 Depth=3
	s_or_b64 exec, exec, s[26:27]
	v_lshrrev_b64 v[0:1], 21, v[0:1]
	v_cmp_gt_i32_e32 vcc, 32, v4
	v_cndmask_b32_e32 v1, 0, v1, vcc
	v_cndmask_b32_e32 v0, 3, v0, vcc
	v_cmp_ne_u64_e32 vcc, 0, v[0:1]
	v_cmp_ne_u32_e64 s[26:27], 0, v4
	s_or_b64 s[26:27], s[26:27], vcc
                                        ; implicit-def: $vgpr25
	s_and_saveexec_b64 vcc, s[26:27]
	s_xor_b64 s[26:27], exec, vcc
; %bb.2620:                             ;   in Loop: Header=BB4_2404 Depth=3
	v_min_i32_e32 v1, 31, v4
	v_lshl_or_b32 v1, v1, 2, v26
	v_and_or_b32 v25, v0, 3, v1
                                        ; implicit-def: $vgpr26
; %bb.2621:                             ;   in Loop: Header=BB4_2404 Depth=3
	s_andn2_saveexec_b64 s[26:27], s[26:27]
; %bb.2622:                             ;   in Loop: Header=BB4_2404 Depth=3
	v_mov_b32_e32 v25, v26
; %bb.2623:                             ;   in Loop: Header=BB4_2404 Depth=3
	s_or_b64 exec, exec, s[26:27]
.LBB4_2624:                             ;   in Loop: Header=BB4_2404 Depth=3
	s_or_b64 exec, exec, s[36:37]
                                        ; implicit-def: $vgpr26
.LBB4_2625:                             ;   in Loop: Header=BB4_2404 Depth=3
	s_andn2_saveexec_b64 s[26:27], s[34:35]
; %bb.2626:                             ;   in Loop: Header=BB4_2404 Depth=3
	v_or_b32_e32 v25, 0x7b, v26
; %bb.2627:                             ;   in Loop: Header=BB4_2404 Depth=3
	s_or_b64 exec, exec, s[26:27]
                                        ; implicit-def: $vgpr4
                                        ; implicit-def: $vgpr0_vgpr1
.LBB4_2628:                             ;   in Loop: Header=BB4_2404 Depth=3
	s_andn2_saveexec_b64 s[26:27], s[30:31]
	s_cbranch_execz .LBB4_2634
; %bb.2629:                             ;   in Loop: Header=BB4_2404 Depth=3
	v_cmp_ne_u64_e32 vcc, 0, v[0:1]
                                        ; implicit-def: $vgpr25
	s_and_saveexec_b64 s[30:31], vcc
	s_xor_b64 vcc, exec, s[30:31]
; %bb.2630:                             ;   in Loop: Header=BB4_2404 Depth=3
	v_or_b32_sdwa v25, v4, s47 dst_sel:DWORD dst_unused:UNUSED_PAD src0_sel:BYTE_3 src1_sel:DWORD
                                        ; implicit-def: $vgpr4
; %bb.2631:                             ;   in Loop: Header=BB4_2404 Depth=3
	s_andn2_saveexec_b64 s[30:31], vcc
; %bb.2632:                             ;   in Loop: Header=BB4_2404 Depth=3
	v_cmp_lt_i32_e32 vcc, -1, v4
	v_cndmask_b32_e32 v25, -4, v52, vcc
; %bb.2633:                             ;   in Loop: Header=BB4_2404 Depth=3
	s_or_b64 exec, exec, s[30:31]
.LBB4_2634:                             ;   in Loop: Header=BB4_2404 Depth=3
	s_or_b64 exec, exec, s[26:27]
	flat_load_sbyte v0, v[2:3] offset:448 glc slc
	v_mov_b32_e32 v1, 0
	s_waitcnt vmcnt(0) lgkmcnt(0)
	v_cmp_ne_u16_e32 vcc, 0, v0
	s_and_saveexec_b64 s[26:27], vcc
	s_cbranch_execz .LBB4_2642
; %bb.2635:                             ;   in Loop: Header=BB4_2404 Depth=3
	v_cmp_ne_u16_e32 vcc, s97, v0
	v_bfrev_b32_e32 v1, 1
	s_and_saveexec_b64 s[30:31], vcc
	s_cbranch_execz .LBB4_2641
; %bb.2636:                             ;   in Loop: Header=BB4_2404 Depth=3
	v_and_b32_e32 v1, 0x7c, v0
	v_and_b32_e32 v4, 3, v0
	v_cmp_ne_u32_e32 vcc, s85, v1
                                        ; implicit-def: $vgpr1
	s_and_saveexec_b64 s[34:35], vcc
	s_xor_b64 s[34:35], exec, s[34:35]
	s_cbranch_execz .LBB4_2638
; %bb.2637:                             ;   in Loop: Header=BB4_2404 Depth=3
	v_ffbh_u32_e32 v26, v4
	v_min_u32_e32 v28, 32, v26
	v_and_b32_e32 v5, 0xff, v0
	v_mov_b32_e32 v1, v17
	v_subrev_u32_e32 v26, 29, v28
	v_bfe_u32 v5, v5, 2, 5
	v_lshlrev_b64 v[26:27], v26, v[0:1]
	v_sub_u32_e32 v1, 30, v28
	v_cmp_eq_u32_e32 vcc, 0, v5
	v_and_b32_e32 v26, 3, v26
	v_cndmask_b32_e32 v1, v5, v1, vcc
	v_and_b32_sdwa v0, sext(v0), s86 dst_sel:DWORD dst_unused:UNUSED_PAD src0_sel:WORD_0 src1_sel:DWORD
	v_cndmask_b32_e32 v4, v4, v26, vcc
	v_lshl_add_u32 v0, v1, 23, v0
	v_lshl_or_b32 v0, v4, 21, v0
	v_add_u32_e32 v1, 0x38000000, v0
                                        ; implicit-def: $vgpr4
                                        ; implicit-def: $vgpr0
.LBB4_2638:                             ;   in Loop: Header=BB4_2404 Depth=3
	s_andn2_saveexec_b64 s[34:35], s[34:35]
; %bb.2639:                             ;   in Loop: Header=BB4_2404 Depth=3
	v_cmp_lt_i16_e32 vcc, -1, v0
	v_mov_b32_e32 v0, 0xff800000
	v_mov_b32_e32 v1, 0x7f800000
	v_cndmask_b32_e32 v0, v0, v1, vcc
	v_cmp_eq_u32_e32 vcc, 0, v4
	v_mov_b32_e32 v1, 0x7f800001
	v_cndmask_b32_e32 v1, v1, v0, vcc
; %bb.2640:                             ;   in Loop: Header=BB4_2404 Depth=3
	s_or_b64 exec, exec, s[34:35]
.LBB4_2641:                             ;   in Loop: Header=BB4_2404 Depth=3
	s_or_b64 exec, exec, s[30:31]
.LBB4_2642:                             ;   in Loop: Header=BB4_2404 Depth=3
	s_or_b64 exec, exec, s[26:27]
	v_mul_f32_e32 v4, v19, v1
	v_and_b32_e32 v26, 0x7f800000, v4
	v_mov_b32_e32 v27, v17
	v_cmp_ne_u64_e32 vcc, s[76:77], v[26:27]
	v_and_b32_e32 v0, 0x7fffff, v4
	v_mov_b32_e32 v1, v17
                                        ; implicit-def: $vgpr26
	s_and_saveexec_b64 s[26:27], vcc
	s_xor_b64 s[30:31], exec, s[26:27]
	s_cbranch_execz .LBB4_2660
; %bb.2643:                             ;   in Loop: Header=BB4_2404 Depth=3
	v_and_b32_e32 v26, 0x7fffffff, v4
	v_mov_b32_e32 v27, v17
	v_cmp_gt_u64_e32 vcc, s[78:79], v[26:27]
	v_and_b32_sdwa v27, v4, s96 dst_sel:DWORD dst_unused:UNUSED_PAD src0_sel:BYTE_3 src1_sel:DWORD
                                        ; implicit-def: $vgpr26
	s_and_saveexec_b64 s[26:27], vcc
	s_xor_b64 s[34:35], exec, s[26:27]
	s_cbranch_execz .LBB4_2657
; %bb.2644:                             ;   in Loop: Header=BB4_2404 Depth=3
	v_cmp_ne_u32_e32 vcc, 0, v4
	v_mov_b32_e32 v26, 0
	s_and_saveexec_b64 s[36:37], vcc
	s_cbranch_execz .LBB4_2656
; %bb.2645:                             ;   in Loop: Header=BB4_2404 Depth=3
	v_bfe_u32 v26, v4, 23, 8
	v_cmp_gt_u32_e64 s[26:27], s46, v26
	v_sub_u32_e32 v4, 0x71, v26
	v_cmp_eq_u32_e32 vcc, 0, v26
	v_cndmask_b32_e64 v4, 0, v4, s[26:27]
	v_mov_b32_e32 v28, 0x70
	v_cndmask_b32_e32 v30, v4, v28, vcc
	v_or_b32_e32 v5, 0x800000, v0
	v_add_u32_e32 v4, 21, v30
	v_cndmask_b32_e32 v0, v5, v0, vcc
	v_lshlrev_b64 v[4:5], v4, -1
	v_add_u32_e32 v28, 20, v30
	v_bfi_b32 v4, v4, 0, v0
	v_lshlrev_b64 v[31:32], v28, 1
	v_lshrrev_b64 v[0:1], v30, v[0:1]
	v_bfi_b32 v5, v5, 0, 0
	v_cmp_eq_u64_e64 s[26:27], v[4:5], v[31:32]
	v_mov_b32_e32 v5, v1
	v_mov_b32_e32 v4, v0
	s_and_saveexec_b64 s[38:39], s[26:27]
; %bb.2646:                             ;   in Loop: Header=BB4_2404 Depth=3
	v_bfe_u32 v1, v0, 21, 1
	v_add_co_u32_e64 v1, s[26:27], v0, v1
	v_add_co_u32_e64 v4, s[26:27], -1, v1
; %bb.2647:                             ;   in Loop: Header=BB4_2404 Depth=3
	s_or_b64 exec, exec, s[38:39]
	v_add_u32_e32 v1, 0xffffff81, v26
	v_mov_b32_e32 v5, 0xffffff82
	v_cndmask_b32_e32 v1, v1, v5, vcc
	v_lshrrev_b32_e32 v5, 23, v0
	v_add3_u32 v26, v30, v1, v5
	v_add_u32_e32 v5, 14, v26
	v_and_b32_e32 v1, 0x1fffff, v4
	v_add_u32_e32 v0, v1, v0
	v_mov_b32_e32 v1, v17
	v_cmp_ne_u32_e32 vcc, 0, v5
                                        ; implicit-def: $vgpr4
	s_and_saveexec_b64 s[26:27], vcc
	s_xor_b64 s[26:27], exec, s[26:27]
; %bb.2648:                             ;   in Loop: Header=BB4_2404 Depth=3
	v_cmp_lt_u64_e32 vcc, s[88:89], v[0:1]
	v_add_u32_e32 v4, 15, v26
	v_cndmask_b32_e32 v4, v5, v4, vcc
	v_cndmask_b32_e64 v5, 0, 1, vcc
	v_lshrrev_b64 v[0:1], v5, v[0:1]
; %bb.2649:                             ;   in Loop: Header=BB4_2404 Depth=3
	s_andn2_saveexec_b64 s[26:27], s[26:27]
; %bb.2650:                             ;   in Loop: Header=BB4_2404 Depth=3
	v_bfe_u32 v4, v0, 23, 1
; %bb.2651:                             ;   in Loop: Header=BB4_2404 Depth=3
	s_or_b64 exec, exec, s[26:27]
	v_lshrrev_b64 v[0:1], 21, v[0:1]
	v_cmp_gt_i32_e32 vcc, 32, v4
	v_cndmask_b32_e32 v1, 0, v1, vcc
	v_cndmask_b32_e32 v0, 3, v0, vcc
	v_cmp_ne_u64_e32 vcc, 0, v[0:1]
	v_cmp_ne_u32_e64 s[26:27], 0, v4
	s_or_b64 s[26:27], s[26:27], vcc
                                        ; implicit-def: $vgpr26
	s_and_saveexec_b64 vcc, s[26:27]
	s_xor_b64 s[26:27], exec, vcc
; %bb.2652:                             ;   in Loop: Header=BB4_2404 Depth=3
	v_min_i32_e32 v1, 31, v4
	v_lshl_or_b32 v1, v1, 2, v27
	v_and_or_b32 v26, v0, 3, v1
                                        ; implicit-def: $vgpr27
; %bb.2653:                             ;   in Loop: Header=BB4_2404 Depth=3
	s_andn2_saveexec_b64 s[26:27], s[26:27]
; %bb.2654:                             ;   in Loop: Header=BB4_2404 Depth=3
	v_mov_b32_e32 v26, v27
; %bb.2655:                             ;   in Loop: Header=BB4_2404 Depth=3
	s_or_b64 exec, exec, s[26:27]
.LBB4_2656:                             ;   in Loop: Header=BB4_2404 Depth=3
	s_or_b64 exec, exec, s[36:37]
                                        ; implicit-def: $vgpr27
.LBB4_2657:                             ;   in Loop: Header=BB4_2404 Depth=3
	s_andn2_saveexec_b64 s[26:27], s[34:35]
; %bb.2658:                             ;   in Loop: Header=BB4_2404 Depth=3
	v_or_b32_e32 v26, 0x7b, v27
; %bb.2659:                             ;   in Loop: Header=BB4_2404 Depth=3
	s_or_b64 exec, exec, s[26:27]
                                        ; implicit-def: $vgpr4
                                        ; implicit-def: $vgpr0_vgpr1
.LBB4_2660:                             ;   in Loop: Header=BB4_2404 Depth=3
	s_andn2_saveexec_b64 s[26:27], s[30:31]
	s_cbranch_execz .LBB4_2666
; %bb.2661:                             ;   in Loop: Header=BB4_2404 Depth=3
	v_cmp_ne_u64_e32 vcc, 0, v[0:1]
                                        ; implicit-def: $vgpr26
	s_and_saveexec_b64 s[30:31], vcc
	s_xor_b64 vcc, exec, s[30:31]
; %bb.2662:                             ;   in Loop: Header=BB4_2404 Depth=3
	v_or_b32_sdwa v26, v4, s47 dst_sel:DWORD dst_unused:UNUSED_PAD src0_sel:BYTE_3 src1_sel:DWORD
                                        ; implicit-def: $vgpr4
; %bb.2663:                             ;   in Loop: Header=BB4_2404 Depth=3
	s_andn2_saveexec_b64 s[30:31], vcc
; %bb.2664:                             ;   in Loop: Header=BB4_2404 Depth=3
	v_cmp_lt_i32_e32 vcc, -1, v4
	v_cndmask_b32_e32 v26, -4, v52, vcc
; %bb.2665:                             ;   in Loop: Header=BB4_2404 Depth=3
	s_or_b64 exec, exec, s[30:31]
.LBB4_2666:                             ;   in Loop: Header=BB4_2404 Depth=3
	s_or_b64 exec, exec, s[26:27]
	flat_load_sbyte v0, v[2:3] offset:512 glc slc
	v_mov_b32_e32 v1, 0
	s_waitcnt vmcnt(0) lgkmcnt(0)
	v_cmp_ne_u16_e32 vcc, 0, v0
	s_and_saveexec_b64 s[26:27], vcc
	s_cbranch_execz .LBB4_2674
; %bb.2667:                             ;   in Loop: Header=BB4_2404 Depth=3
	v_cmp_ne_u16_e32 vcc, s97, v0
	v_bfrev_b32_e32 v1, 1
	s_and_saveexec_b64 s[30:31], vcc
	s_cbranch_execz .LBB4_2673
; %bb.2668:                             ;   in Loop: Header=BB4_2404 Depth=3
	v_and_b32_e32 v1, 0x7c, v0
	v_and_b32_e32 v4, 3, v0
	v_cmp_ne_u32_e32 vcc, s85, v1
                                        ; implicit-def: $vgpr1
	s_and_saveexec_b64 s[34:35], vcc
	s_xor_b64 s[34:35], exec, s[34:35]
	s_cbranch_execz .LBB4_2670
; %bb.2669:                             ;   in Loop: Header=BB4_2404 Depth=3
	v_ffbh_u32_e32 v27, v4
	v_min_u32_e32 v27, 32, v27
	v_and_b32_e32 v5, 0xff, v0
	v_mov_b32_e32 v1, v17
	v_subrev_u32_e32 v28, 29, v27
	v_bfe_u32 v5, v5, 2, 5
	v_lshlrev_b64 v[30:31], v28, v[0:1]
	v_sub_u32_e32 v1, 30, v27
	v_cmp_eq_u32_e32 vcc, 0, v5
	v_and_b32_e32 v27, 3, v30
	v_cndmask_b32_e32 v1, v5, v1, vcc
	v_and_b32_sdwa v0, sext(v0), s86 dst_sel:DWORD dst_unused:UNUSED_PAD src0_sel:WORD_0 src1_sel:DWORD
	v_cndmask_b32_e32 v4, v4, v27, vcc
	v_lshl_add_u32 v0, v1, 23, v0
	v_lshl_or_b32 v0, v4, 21, v0
	v_add_u32_e32 v1, 0x38000000, v0
                                        ; implicit-def: $vgpr4
                                        ; implicit-def: $vgpr0
.LBB4_2670:                             ;   in Loop: Header=BB4_2404 Depth=3
	s_andn2_saveexec_b64 s[34:35], s[34:35]
; %bb.2671:                             ;   in Loop: Header=BB4_2404 Depth=3
	v_cmp_lt_i16_e32 vcc, -1, v0
	v_mov_b32_e32 v0, 0xff800000
	v_mov_b32_e32 v1, 0x7f800000
	v_cndmask_b32_e32 v0, v0, v1, vcc
	v_cmp_eq_u32_e32 vcc, 0, v4
	v_mov_b32_e32 v1, 0x7f800001
	v_cndmask_b32_e32 v1, v1, v0, vcc
; %bb.2672:                             ;   in Loop: Header=BB4_2404 Depth=3
	s_or_b64 exec, exec, s[34:35]
.LBB4_2673:                             ;   in Loop: Header=BB4_2404 Depth=3
	s_or_b64 exec, exec, s[30:31]
.LBB4_2674:                             ;   in Loop: Header=BB4_2404 Depth=3
	s_or_b64 exec, exec, s[26:27]
	v_mul_f32_e32 v4, v19, v1
	v_and_b32_e32 v30, 0x7f800000, v4
	v_mov_b32_e32 v31, v17
	v_cmp_ne_u64_e32 vcc, s[76:77], v[30:31]
	v_and_b32_e32 v0, 0x7fffff, v4
	v_mov_b32_e32 v1, v17
                                        ; implicit-def: $vgpr27
	s_and_saveexec_b64 s[26:27], vcc
	s_xor_b64 s[30:31], exec, s[26:27]
	s_cbranch_execz .LBB4_2692
; %bb.2675:                             ;   in Loop: Header=BB4_2404 Depth=3
	v_and_b32_e32 v30, 0x7fffffff, v4
	v_mov_b32_e32 v31, v17
	v_cmp_gt_u64_e32 vcc, s[78:79], v[30:31]
	v_and_b32_sdwa v30, v4, s96 dst_sel:DWORD dst_unused:UNUSED_PAD src0_sel:BYTE_3 src1_sel:DWORD
                                        ; implicit-def: $vgpr27
	s_and_saveexec_b64 s[26:27], vcc
	s_xor_b64 s[34:35], exec, s[26:27]
	s_cbranch_execz .LBB4_2689
; %bb.2676:                             ;   in Loop: Header=BB4_2404 Depth=3
	v_cmp_ne_u32_e32 vcc, 0, v4
	v_mov_b32_e32 v27, 0
	s_and_saveexec_b64 s[36:37], vcc
	s_cbranch_execz .LBB4_2688
; %bb.2677:                             ;   in Loop: Header=BB4_2404 Depth=3
	v_bfe_u32 v27, v4, 23, 8
	v_cmp_gt_u32_e64 s[26:27], s46, v27
	v_sub_u32_e32 v4, 0x71, v27
	v_cmp_eq_u32_e32 vcc, 0, v27
	v_cndmask_b32_e64 v4, 0, v4, s[26:27]
	v_mov_b32_e32 v28, 0x70
	v_cndmask_b32_e32 v31, v4, v28, vcc
	v_or_b32_e32 v5, 0x800000, v0
	v_add_u32_e32 v4, 21, v31
	v_cndmask_b32_e32 v0, v5, v0, vcc
	v_lshlrev_b64 v[4:5], v4, -1
	v_add_u32_e32 v28, 20, v31
	v_bfi_b32 v4, v4, 0, v0
	v_lshlrev_b64 v[32:33], v28, 1
	v_lshrrev_b64 v[0:1], v31, v[0:1]
	v_bfi_b32 v5, v5, 0, 0
	v_cmp_eq_u64_e64 s[26:27], v[4:5], v[32:33]
	v_mov_b32_e32 v5, v1
	v_mov_b32_e32 v4, v0
	s_and_saveexec_b64 s[38:39], s[26:27]
; %bb.2678:                             ;   in Loop: Header=BB4_2404 Depth=3
	v_bfe_u32 v1, v0, 21, 1
	v_add_co_u32_e64 v1, s[26:27], v0, v1
	v_add_co_u32_e64 v4, s[26:27], -1, v1
; %bb.2679:                             ;   in Loop: Header=BB4_2404 Depth=3
	s_or_b64 exec, exec, s[38:39]
	v_add_u32_e32 v1, 0xffffff81, v27
	v_mov_b32_e32 v5, 0xffffff82
	v_cndmask_b32_e32 v1, v1, v5, vcc
	v_lshrrev_b32_e32 v5, 23, v0
	v_add3_u32 v27, v31, v1, v5
	v_add_u32_e32 v5, 14, v27
	v_and_b32_e32 v1, 0x1fffff, v4
	v_add_u32_e32 v0, v1, v0
	v_mov_b32_e32 v1, v17
	v_cmp_ne_u32_e32 vcc, 0, v5
                                        ; implicit-def: $vgpr4
	s_and_saveexec_b64 s[26:27], vcc
	s_xor_b64 s[26:27], exec, s[26:27]
; %bb.2680:                             ;   in Loop: Header=BB4_2404 Depth=3
	v_cmp_lt_u64_e32 vcc, s[88:89], v[0:1]
	v_add_u32_e32 v4, 15, v27
	v_cndmask_b32_e32 v4, v5, v4, vcc
	v_cndmask_b32_e64 v5, 0, 1, vcc
	v_lshrrev_b64 v[0:1], v5, v[0:1]
; %bb.2681:                             ;   in Loop: Header=BB4_2404 Depth=3
	s_andn2_saveexec_b64 s[26:27], s[26:27]
; %bb.2682:                             ;   in Loop: Header=BB4_2404 Depth=3
	v_bfe_u32 v4, v0, 23, 1
; %bb.2683:                             ;   in Loop: Header=BB4_2404 Depth=3
	s_or_b64 exec, exec, s[26:27]
	v_lshrrev_b64 v[0:1], 21, v[0:1]
	v_cmp_gt_i32_e32 vcc, 32, v4
	v_cndmask_b32_e32 v1, 0, v1, vcc
	v_cndmask_b32_e32 v0, 3, v0, vcc
	v_cmp_ne_u64_e32 vcc, 0, v[0:1]
	v_cmp_ne_u32_e64 s[26:27], 0, v4
	s_or_b64 s[26:27], s[26:27], vcc
                                        ; implicit-def: $vgpr27
	s_and_saveexec_b64 vcc, s[26:27]
	s_xor_b64 s[26:27], exec, vcc
; %bb.2684:                             ;   in Loop: Header=BB4_2404 Depth=3
	v_min_i32_e32 v1, 31, v4
	v_lshl_or_b32 v1, v1, 2, v30
	v_and_or_b32 v27, v0, 3, v1
                                        ; implicit-def: $vgpr30
; %bb.2685:                             ;   in Loop: Header=BB4_2404 Depth=3
	s_andn2_saveexec_b64 s[26:27], s[26:27]
; %bb.2686:                             ;   in Loop: Header=BB4_2404 Depth=3
	v_mov_b32_e32 v27, v30
; %bb.2687:                             ;   in Loop: Header=BB4_2404 Depth=3
	s_or_b64 exec, exec, s[26:27]
.LBB4_2688:                             ;   in Loop: Header=BB4_2404 Depth=3
	s_or_b64 exec, exec, s[36:37]
                                        ; implicit-def: $vgpr30
.LBB4_2689:                             ;   in Loop: Header=BB4_2404 Depth=3
	s_andn2_saveexec_b64 s[26:27], s[34:35]
; %bb.2690:                             ;   in Loop: Header=BB4_2404 Depth=3
	v_or_b32_e32 v27, 0x7b, v30
; %bb.2691:                             ;   in Loop: Header=BB4_2404 Depth=3
	s_or_b64 exec, exec, s[26:27]
                                        ; implicit-def: $vgpr4
                                        ; implicit-def: $vgpr0_vgpr1
.LBB4_2692:                             ;   in Loop: Header=BB4_2404 Depth=3
	s_andn2_saveexec_b64 s[26:27], s[30:31]
	s_cbranch_execz .LBB4_2698
; %bb.2693:                             ;   in Loop: Header=BB4_2404 Depth=3
	v_cmp_ne_u64_e32 vcc, 0, v[0:1]
                                        ; implicit-def: $vgpr27
	s_and_saveexec_b64 s[30:31], vcc
	s_xor_b64 vcc, exec, s[30:31]
; %bb.2694:                             ;   in Loop: Header=BB4_2404 Depth=3
	v_or_b32_sdwa v27, v4, s47 dst_sel:DWORD dst_unused:UNUSED_PAD src0_sel:BYTE_3 src1_sel:DWORD
                                        ; implicit-def: $vgpr4
; %bb.2695:                             ;   in Loop: Header=BB4_2404 Depth=3
	s_andn2_saveexec_b64 s[30:31], vcc
; %bb.2696:                             ;   in Loop: Header=BB4_2404 Depth=3
	v_cmp_lt_i32_e32 vcc, -1, v4
	v_cndmask_b32_e32 v27, -4, v52, vcc
; %bb.2697:                             ;   in Loop: Header=BB4_2404 Depth=3
	s_or_b64 exec, exec, s[30:31]
.LBB4_2698:                             ;   in Loop: Header=BB4_2404 Depth=3
	s_or_b64 exec, exec, s[26:27]
	flat_load_sbyte v0, v[2:3] offset:576 glc slc
	v_mov_b32_e32 v1, 0
	s_waitcnt vmcnt(0) lgkmcnt(0)
	v_cmp_ne_u16_e32 vcc, 0, v0
	s_and_saveexec_b64 s[26:27], vcc
	s_cbranch_execz .LBB4_2706
; %bb.2699:                             ;   in Loop: Header=BB4_2404 Depth=3
	v_cmp_ne_u16_e32 vcc, s97, v0
	v_bfrev_b32_e32 v1, 1
	s_and_saveexec_b64 s[30:31], vcc
	s_cbranch_execz .LBB4_2705
; %bb.2700:                             ;   in Loop: Header=BB4_2404 Depth=3
	v_and_b32_e32 v1, 0x7c, v0
	v_and_b32_e32 v4, 3, v0
	v_cmp_ne_u32_e32 vcc, s85, v1
                                        ; implicit-def: $vgpr1
	s_and_saveexec_b64 s[34:35], vcc
	s_xor_b64 s[34:35], exec, s[34:35]
	s_cbranch_execz .LBB4_2702
; %bb.2701:                             ;   in Loop: Header=BB4_2404 Depth=3
	v_ffbh_u32_e32 v28, v4
	v_min_u32_e32 v28, 32, v28
	v_and_b32_e32 v5, 0xff, v0
	v_mov_b32_e32 v1, v17
	v_subrev_u32_e32 v29, 29, v28
	v_bfe_u32 v5, v5, 2, 5
	v_lshlrev_b64 v[30:31], v29, v[0:1]
	v_sub_u32_e32 v1, 30, v28
	v_cmp_eq_u32_e32 vcc, 0, v5
	v_and_b32_e32 v28, 3, v30
	v_cndmask_b32_e32 v1, v5, v1, vcc
	v_and_b32_sdwa v0, sext(v0), s86 dst_sel:DWORD dst_unused:UNUSED_PAD src0_sel:WORD_0 src1_sel:DWORD
	v_cndmask_b32_e32 v4, v4, v28, vcc
	v_lshl_add_u32 v0, v1, 23, v0
	v_lshl_or_b32 v0, v4, 21, v0
	v_add_u32_e32 v1, 0x38000000, v0
                                        ; implicit-def: $vgpr4
                                        ; implicit-def: $vgpr0
.LBB4_2702:                             ;   in Loop: Header=BB4_2404 Depth=3
	s_andn2_saveexec_b64 s[34:35], s[34:35]
; %bb.2703:                             ;   in Loop: Header=BB4_2404 Depth=3
	v_cmp_lt_i16_e32 vcc, -1, v0
	v_mov_b32_e32 v0, 0xff800000
	v_mov_b32_e32 v1, 0x7f800000
	v_cndmask_b32_e32 v0, v0, v1, vcc
	v_cmp_eq_u32_e32 vcc, 0, v4
	v_mov_b32_e32 v1, 0x7f800001
	v_cndmask_b32_e32 v1, v1, v0, vcc
; %bb.2704:                             ;   in Loop: Header=BB4_2404 Depth=3
	s_or_b64 exec, exec, s[34:35]
.LBB4_2705:                             ;   in Loop: Header=BB4_2404 Depth=3
	s_or_b64 exec, exec, s[30:31]
.LBB4_2706:                             ;   in Loop: Header=BB4_2404 Depth=3
	s_or_b64 exec, exec, s[26:27]
	v_mul_f32_e32 v4, v19, v1
	v_and_b32_e32 v30, 0x7f800000, v4
	v_mov_b32_e32 v31, v17
	v_cmp_ne_u64_e32 vcc, s[76:77], v[30:31]
	v_and_b32_e32 v0, 0x7fffff, v4
	v_mov_b32_e32 v1, v17
                                        ; implicit-def: $vgpr30
	s_and_saveexec_b64 s[26:27], vcc
	s_xor_b64 s[30:31], exec, s[26:27]
	s_cbranch_execz .LBB4_2724
; %bb.2707:                             ;   in Loop: Header=BB4_2404 Depth=3
	v_and_b32_e32 v30, 0x7fffffff, v4
	v_mov_b32_e32 v31, v17
	v_cmp_gt_u64_e32 vcc, s[78:79], v[30:31]
	v_and_b32_sdwa v31, v4, s96 dst_sel:DWORD dst_unused:UNUSED_PAD src0_sel:BYTE_3 src1_sel:DWORD
                                        ; implicit-def: $vgpr30
	s_and_saveexec_b64 s[26:27], vcc
	s_xor_b64 s[34:35], exec, s[26:27]
	s_cbranch_execz .LBB4_2721
; %bb.2708:                             ;   in Loop: Header=BB4_2404 Depth=3
	v_cmp_ne_u32_e32 vcc, 0, v4
	v_mov_b32_e32 v30, 0
	s_and_saveexec_b64 s[36:37], vcc
	s_cbranch_execz .LBB4_2720
; %bb.2709:                             ;   in Loop: Header=BB4_2404 Depth=3
	v_bfe_u32 v30, v4, 23, 8
	v_cmp_gt_u32_e64 s[26:27], s46, v30
	v_sub_u32_e32 v4, 0x71, v30
	v_cmp_eq_u32_e32 vcc, 0, v30
	v_cndmask_b32_e64 v4, 0, v4, s[26:27]
	v_mov_b32_e32 v28, 0x70
	v_cndmask_b32_e32 v32, v4, v28, vcc
	v_or_b32_e32 v5, 0x800000, v0
	v_add_u32_e32 v4, 21, v32
	v_cndmask_b32_e32 v0, v5, v0, vcc
	v_lshlrev_b64 v[4:5], v4, -1
	v_add_u32_e32 v28, 20, v32
	v_bfi_b32 v4, v4, 0, v0
	v_lshlrev_b64 v[33:34], v28, 1
	v_lshrrev_b64 v[0:1], v32, v[0:1]
	v_bfi_b32 v5, v5, 0, 0
	v_cmp_eq_u64_e64 s[26:27], v[4:5], v[33:34]
	v_mov_b32_e32 v5, v1
	v_mov_b32_e32 v4, v0
	s_and_saveexec_b64 s[38:39], s[26:27]
; %bb.2710:                             ;   in Loop: Header=BB4_2404 Depth=3
	v_bfe_u32 v1, v0, 21, 1
	v_add_co_u32_e64 v1, s[26:27], v0, v1
	v_add_co_u32_e64 v4, s[26:27], -1, v1
; %bb.2711:                             ;   in Loop: Header=BB4_2404 Depth=3
	s_or_b64 exec, exec, s[38:39]
	v_add_u32_e32 v1, 0xffffff81, v30
	v_mov_b32_e32 v5, 0xffffff82
	v_cndmask_b32_e32 v1, v1, v5, vcc
	v_lshrrev_b32_e32 v5, 23, v0
	v_add3_u32 v30, v32, v1, v5
	v_add_u32_e32 v5, 14, v30
	v_and_b32_e32 v1, 0x1fffff, v4
	v_add_u32_e32 v0, v1, v0
	v_mov_b32_e32 v1, v17
	v_cmp_ne_u32_e32 vcc, 0, v5
                                        ; implicit-def: $vgpr4
	s_and_saveexec_b64 s[26:27], vcc
	s_xor_b64 s[26:27], exec, s[26:27]
; %bb.2712:                             ;   in Loop: Header=BB4_2404 Depth=3
	v_cmp_lt_u64_e32 vcc, s[88:89], v[0:1]
	v_add_u32_e32 v4, 15, v30
	v_cndmask_b32_e32 v4, v5, v4, vcc
	v_cndmask_b32_e64 v5, 0, 1, vcc
	v_lshrrev_b64 v[0:1], v5, v[0:1]
; %bb.2713:                             ;   in Loop: Header=BB4_2404 Depth=3
	s_andn2_saveexec_b64 s[26:27], s[26:27]
; %bb.2714:                             ;   in Loop: Header=BB4_2404 Depth=3
	v_bfe_u32 v4, v0, 23, 1
; %bb.2715:                             ;   in Loop: Header=BB4_2404 Depth=3
	s_or_b64 exec, exec, s[26:27]
	v_lshrrev_b64 v[0:1], 21, v[0:1]
	v_cmp_gt_i32_e32 vcc, 32, v4
	v_cndmask_b32_e32 v1, 0, v1, vcc
	v_cndmask_b32_e32 v0, 3, v0, vcc
	v_cmp_ne_u64_e32 vcc, 0, v[0:1]
	v_cmp_ne_u32_e64 s[26:27], 0, v4
	s_or_b64 s[26:27], s[26:27], vcc
                                        ; implicit-def: $vgpr30
	s_and_saveexec_b64 vcc, s[26:27]
	s_xor_b64 s[26:27], exec, vcc
; %bb.2716:                             ;   in Loop: Header=BB4_2404 Depth=3
	v_min_i32_e32 v1, 31, v4
	v_lshl_or_b32 v1, v1, 2, v31
	v_and_or_b32 v30, v0, 3, v1
                                        ; implicit-def: $vgpr31
; %bb.2717:                             ;   in Loop: Header=BB4_2404 Depth=3
	s_andn2_saveexec_b64 s[26:27], s[26:27]
; %bb.2718:                             ;   in Loop: Header=BB4_2404 Depth=3
	v_mov_b32_e32 v30, v31
; %bb.2719:                             ;   in Loop: Header=BB4_2404 Depth=3
	s_or_b64 exec, exec, s[26:27]
.LBB4_2720:                             ;   in Loop: Header=BB4_2404 Depth=3
	s_or_b64 exec, exec, s[36:37]
                                        ; implicit-def: $vgpr31
.LBB4_2721:                             ;   in Loop: Header=BB4_2404 Depth=3
	s_andn2_saveexec_b64 s[26:27], s[34:35]
; %bb.2722:                             ;   in Loop: Header=BB4_2404 Depth=3
	v_or_b32_e32 v30, 0x7b, v31
; %bb.2723:                             ;   in Loop: Header=BB4_2404 Depth=3
	s_or_b64 exec, exec, s[26:27]
                                        ; implicit-def: $vgpr4
                                        ; implicit-def: $vgpr0_vgpr1
.LBB4_2724:                             ;   in Loop: Header=BB4_2404 Depth=3
	s_andn2_saveexec_b64 s[26:27], s[30:31]
	s_cbranch_execz .LBB4_2730
; %bb.2725:                             ;   in Loop: Header=BB4_2404 Depth=3
	v_cmp_ne_u64_e32 vcc, 0, v[0:1]
                                        ; implicit-def: $vgpr30
	s_and_saveexec_b64 s[30:31], vcc
	s_xor_b64 vcc, exec, s[30:31]
; %bb.2726:                             ;   in Loop: Header=BB4_2404 Depth=3
	v_or_b32_sdwa v30, v4, s47 dst_sel:DWORD dst_unused:UNUSED_PAD src0_sel:BYTE_3 src1_sel:DWORD
                                        ; implicit-def: $vgpr4
; %bb.2727:                             ;   in Loop: Header=BB4_2404 Depth=3
	s_andn2_saveexec_b64 s[30:31], vcc
; %bb.2728:                             ;   in Loop: Header=BB4_2404 Depth=3
	v_cmp_lt_i32_e32 vcc, -1, v4
	v_cndmask_b32_e32 v30, -4, v52, vcc
; %bb.2729:                             ;   in Loop: Header=BB4_2404 Depth=3
	s_or_b64 exec, exec, s[30:31]
.LBB4_2730:                             ;   in Loop: Header=BB4_2404 Depth=3
	s_or_b64 exec, exec, s[26:27]
	flat_load_sbyte v0, v[2:3] offset:640 glc slc
	v_mov_b32_e32 v1, 0
	s_waitcnt vmcnt(0) lgkmcnt(0)
	v_cmp_ne_u16_e32 vcc, 0, v0
	s_and_saveexec_b64 s[26:27], vcc
	s_cbranch_execz .LBB4_2738
; %bb.2731:                             ;   in Loop: Header=BB4_2404 Depth=3
	v_cmp_ne_u16_e32 vcc, s97, v0
	v_bfrev_b32_e32 v1, 1
	s_and_saveexec_b64 s[30:31], vcc
	s_cbranch_execz .LBB4_2737
; %bb.2732:                             ;   in Loop: Header=BB4_2404 Depth=3
	v_and_b32_e32 v1, 0x7c, v0
	v_and_b32_e32 v4, 3, v0
	v_cmp_ne_u32_e32 vcc, s85, v1
                                        ; implicit-def: $vgpr1
	s_and_saveexec_b64 s[34:35], vcc
	s_xor_b64 s[34:35], exec, s[34:35]
	s_cbranch_execz .LBB4_2734
; %bb.2733:                             ;   in Loop: Header=BB4_2404 Depth=3
	v_ffbh_u32_e32 v28, v4
	v_min_u32_e32 v28, 32, v28
	v_and_b32_e32 v5, 0xff, v0
	v_mov_b32_e32 v1, v17
	v_subrev_u32_e32 v29, 29, v28
	v_bfe_u32 v5, v5, 2, 5
	v_lshlrev_b64 v[31:32], v29, v[0:1]
	v_sub_u32_e32 v1, 30, v28
	v_cmp_eq_u32_e32 vcc, 0, v5
	v_and_b32_e32 v28, 3, v31
	v_cndmask_b32_e32 v1, v5, v1, vcc
	v_and_b32_sdwa v0, sext(v0), s86 dst_sel:DWORD dst_unused:UNUSED_PAD src0_sel:WORD_0 src1_sel:DWORD
	v_cndmask_b32_e32 v4, v4, v28, vcc
	v_lshl_add_u32 v0, v1, 23, v0
	v_lshl_or_b32 v0, v4, 21, v0
	v_add_u32_e32 v1, 0x38000000, v0
                                        ; implicit-def: $vgpr4
                                        ; implicit-def: $vgpr0
.LBB4_2734:                             ;   in Loop: Header=BB4_2404 Depth=3
	s_andn2_saveexec_b64 s[34:35], s[34:35]
; %bb.2735:                             ;   in Loop: Header=BB4_2404 Depth=3
	v_cmp_lt_i16_e32 vcc, -1, v0
	v_mov_b32_e32 v0, 0xff800000
	v_mov_b32_e32 v1, 0x7f800000
	v_cndmask_b32_e32 v0, v0, v1, vcc
	v_cmp_eq_u32_e32 vcc, 0, v4
	v_mov_b32_e32 v1, 0x7f800001
	v_cndmask_b32_e32 v1, v1, v0, vcc
; %bb.2736:                             ;   in Loop: Header=BB4_2404 Depth=3
	s_or_b64 exec, exec, s[34:35]
.LBB4_2737:                             ;   in Loop: Header=BB4_2404 Depth=3
	s_or_b64 exec, exec, s[30:31]
.LBB4_2738:                             ;   in Loop: Header=BB4_2404 Depth=3
	s_or_b64 exec, exec, s[26:27]
	v_mul_f32_e32 v4, v19, v1
	v_and_b32_e32 v31, 0x7f800000, v4
	v_mov_b32_e32 v32, v17
	v_cmp_ne_u64_e32 vcc, s[76:77], v[31:32]
	v_and_b32_e32 v0, 0x7fffff, v4
	v_mov_b32_e32 v1, v17
                                        ; implicit-def: $vgpr31
	s_and_saveexec_b64 s[26:27], vcc
	s_xor_b64 s[30:31], exec, s[26:27]
	s_cbranch_execz .LBB4_2756
; %bb.2739:                             ;   in Loop: Header=BB4_2404 Depth=3
	v_and_b32_e32 v31, 0x7fffffff, v4
	v_mov_b32_e32 v32, v17
	v_cmp_gt_u64_e32 vcc, s[78:79], v[31:32]
	v_and_b32_sdwa v32, v4, s96 dst_sel:DWORD dst_unused:UNUSED_PAD src0_sel:BYTE_3 src1_sel:DWORD
                                        ; implicit-def: $vgpr31
	s_and_saveexec_b64 s[26:27], vcc
	s_xor_b64 s[34:35], exec, s[26:27]
	s_cbranch_execz .LBB4_2753
; %bb.2740:                             ;   in Loop: Header=BB4_2404 Depth=3
	v_cmp_ne_u32_e32 vcc, 0, v4
	v_mov_b32_e32 v31, 0
	s_and_saveexec_b64 s[36:37], vcc
	s_cbranch_execz .LBB4_2752
; %bb.2741:                             ;   in Loop: Header=BB4_2404 Depth=3
	v_bfe_u32 v31, v4, 23, 8
	v_cmp_gt_u32_e64 s[26:27], s46, v31
	v_sub_u32_e32 v4, 0x71, v31
	v_cmp_eq_u32_e32 vcc, 0, v31
	v_cndmask_b32_e64 v4, 0, v4, s[26:27]
	v_mov_b32_e32 v28, 0x70
	v_cndmask_b32_e32 v33, v4, v28, vcc
	v_or_b32_e32 v5, 0x800000, v0
	v_add_u32_e32 v4, 21, v33
	v_cndmask_b32_e32 v0, v5, v0, vcc
	v_lshlrev_b64 v[4:5], v4, -1
	v_add_u32_e32 v28, 20, v33
	v_bfi_b32 v4, v4, 0, v0
	v_lshlrev_b64 v[34:35], v28, 1
	v_lshrrev_b64 v[0:1], v33, v[0:1]
	v_bfi_b32 v5, v5, 0, 0
	v_cmp_eq_u64_e64 s[26:27], v[4:5], v[34:35]
	v_mov_b32_e32 v5, v1
	v_mov_b32_e32 v4, v0
	s_and_saveexec_b64 s[38:39], s[26:27]
; %bb.2742:                             ;   in Loop: Header=BB4_2404 Depth=3
	v_bfe_u32 v1, v0, 21, 1
	v_add_co_u32_e64 v1, s[26:27], v0, v1
	v_add_co_u32_e64 v4, s[26:27], -1, v1
; %bb.2743:                             ;   in Loop: Header=BB4_2404 Depth=3
	s_or_b64 exec, exec, s[38:39]
	v_add_u32_e32 v1, 0xffffff81, v31
	v_mov_b32_e32 v5, 0xffffff82
	v_cndmask_b32_e32 v1, v1, v5, vcc
	v_lshrrev_b32_e32 v5, 23, v0
	v_add3_u32 v31, v33, v1, v5
	v_add_u32_e32 v5, 14, v31
	v_and_b32_e32 v1, 0x1fffff, v4
	v_add_u32_e32 v0, v1, v0
	v_mov_b32_e32 v1, v17
	v_cmp_ne_u32_e32 vcc, 0, v5
                                        ; implicit-def: $vgpr4
	s_and_saveexec_b64 s[26:27], vcc
	s_xor_b64 s[26:27], exec, s[26:27]
; %bb.2744:                             ;   in Loop: Header=BB4_2404 Depth=3
	v_cmp_lt_u64_e32 vcc, s[88:89], v[0:1]
	v_add_u32_e32 v4, 15, v31
	v_cndmask_b32_e32 v4, v5, v4, vcc
	v_cndmask_b32_e64 v5, 0, 1, vcc
	v_lshrrev_b64 v[0:1], v5, v[0:1]
; %bb.2745:                             ;   in Loop: Header=BB4_2404 Depth=3
	s_andn2_saveexec_b64 s[26:27], s[26:27]
; %bb.2746:                             ;   in Loop: Header=BB4_2404 Depth=3
	v_bfe_u32 v4, v0, 23, 1
; %bb.2747:                             ;   in Loop: Header=BB4_2404 Depth=3
	s_or_b64 exec, exec, s[26:27]
	v_lshrrev_b64 v[0:1], 21, v[0:1]
	v_cmp_gt_i32_e32 vcc, 32, v4
	v_cndmask_b32_e32 v1, 0, v1, vcc
	v_cndmask_b32_e32 v0, 3, v0, vcc
	v_cmp_ne_u64_e32 vcc, 0, v[0:1]
	v_cmp_ne_u32_e64 s[26:27], 0, v4
	s_or_b64 s[26:27], s[26:27], vcc
                                        ; implicit-def: $vgpr31
	s_and_saveexec_b64 vcc, s[26:27]
	s_xor_b64 s[26:27], exec, vcc
; %bb.2748:                             ;   in Loop: Header=BB4_2404 Depth=3
	v_min_i32_e32 v1, 31, v4
	v_lshl_or_b32 v1, v1, 2, v32
	v_and_or_b32 v31, v0, 3, v1
                                        ; implicit-def: $vgpr32
; %bb.2749:                             ;   in Loop: Header=BB4_2404 Depth=3
	s_andn2_saveexec_b64 s[26:27], s[26:27]
; %bb.2750:                             ;   in Loop: Header=BB4_2404 Depth=3
	v_mov_b32_e32 v31, v32
; %bb.2751:                             ;   in Loop: Header=BB4_2404 Depth=3
	s_or_b64 exec, exec, s[26:27]
.LBB4_2752:                             ;   in Loop: Header=BB4_2404 Depth=3
	s_or_b64 exec, exec, s[36:37]
                                        ; implicit-def: $vgpr32
.LBB4_2753:                             ;   in Loop: Header=BB4_2404 Depth=3
	s_andn2_saveexec_b64 s[26:27], s[34:35]
; %bb.2754:                             ;   in Loop: Header=BB4_2404 Depth=3
	v_or_b32_e32 v31, 0x7b, v32
; %bb.2755:                             ;   in Loop: Header=BB4_2404 Depth=3
	s_or_b64 exec, exec, s[26:27]
                                        ; implicit-def: $vgpr4
                                        ; implicit-def: $vgpr0_vgpr1
.LBB4_2756:                             ;   in Loop: Header=BB4_2404 Depth=3
	s_andn2_saveexec_b64 s[26:27], s[30:31]
	s_cbranch_execz .LBB4_2762
; %bb.2757:                             ;   in Loop: Header=BB4_2404 Depth=3
	v_cmp_ne_u64_e32 vcc, 0, v[0:1]
                                        ; implicit-def: $vgpr31
	s_and_saveexec_b64 s[30:31], vcc
	s_xor_b64 vcc, exec, s[30:31]
; %bb.2758:                             ;   in Loop: Header=BB4_2404 Depth=3
	v_or_b32_sdwa v31, v4, s47 dst_sel:DWORD dst_unused:UNUSED_PAD src0_sel:BYTE_3 src1_sel:DWORD
                                        ; implicit-def: $vgpr4
; %bb.2759:                             ;   in Loop: Header=BB4_2404 Depth=3
	s_andn2_saveexec_b64 s[30:31], vcc
; %bb.2760:                             ;   in Loop: Header=BB4_2404 Depth=3
	v_cmp_lt_i32_e32 vcc, -1, v4
	v_cndmask_b32_e32 v31, -4, v52, vcc
; %bb.2761:                             ;   in Loop: Header=BB4_2404 Depth=3
	s_or_b64 exec, exec, s[30:31]
.LBB4_2762:                             ;   in Loop: Header=BB4_2404 Depth=3
	s_or_b64 exec, exec, s[26:27]
	flat_load_sbyte v0, v[2:3] offset:704 glc slc
	v_mov_b32_e32 v1, 0
	s_waitcnt vmcnt(0) lgkmcnt(0)
	v_cmp_ne_u16_e32 vcc, 0, v0
	s_and_saveexec_b64 s[26:27], vcc
	s_cbranch_execz .LBB4_2770
; %bb.2763:                             ;   in Loop: Header=BB4_2404 Depth=3
	v_cmp_ne_u16_e32 vcc, s97, v0
	v_bfrev_b32_e32 v1, 1
	s_and_saveexec_b64 s[30:31], vcc
	s_cbranch_execz .LBB4_2769
; %bb.2764:                             ;   in Loop: Header=BB4_2404 Depth=3
	v_and_b32_e32 v1, 0x7c, v0
	v_and_b32_e32 v4, 3, v0
	v_cmp_ne_u32_e32 vcc, s85, v1
                                        ; implicit-def: $vgpr1
	s_and_saveexec_b64 s[34:35], vcc
	s_xor_b64 s[34:35], exec, s[34:35]
	s_cbranch_execz .LBB4_2766
; %bb.2765:                             ;   in Loop: Header=BB4_2404 Depth=3
	v_ffbh_u32_e32 v28, v4
	v_min_u32_e32 v28, 32, v28
	v_and_b32_e32 v5, 0xff, v0
	v_mov_b32_e32 v1, v17
	v_subrev_u32_e32 v29, 29, v28
	v_bfe_u32 v5, v5, 2, 5
	v_lshlrev_b64 v[32:33], v29, v[0:1]
	v_sub_u32_e32 v1, 30, v28
	v_cmp_eq_u32_e32 vcc, 0, v5
	v_and_b32_e32 v28, 3, v32
	v_cndmask_b32_e32 v1, v5, v1, vcc
	v_and_b32_sdwa v0, sext(v0), s86 dst_sel:DWORD dst_unused:UNUSED_PAD src0_sel:WORD_0 src1_sel:DWORD
	v_cndmask_b32_e32 v4, v4, v28, vcc
	v_lshl_add_u32 v0, v1, 23, v0
	v_lshl_or_b32 v0, v4, 21, v0
	v_add_u32_e32 v1, 0x38000000, v0
                                        ; implicit-def: $vgpr4
                                        ; implicit-def: $vgpr0
.LBB4_2766:                             ;   in Loop: Header=BB4_2404 Depth=3
	s_andn2_saveexec_b64 s[34:35], s[34:35]
; %bb.2767:                             ;   in Loop: Header=BB4_2404 Depth=3
	v_cmp_lt_i16_e32 vcc, -1, v0
	v_mov_b32_e32 v0, 0xff800000
	v_mov_b32_e32 v1, 0x7f800000
	v_cndmask_b32_e32 v0, v0, v1, vcc
	v_cmp_eq_u32_e32 vcc, 0, v4
	v_mov_b32_e32 v1, 0x7f800001
	v_cndmask_b32_e32 v1, v1, v0, vcc
; %bb.2768:                             ;   in Loop: Header=BB4_2404 Depth=3
	s_or_b64 exec, exec, s[34:35]
.LBB4_2769:                             ;   in Loop: Header=BB4_2404 Depth=3
	s_or_b64 exec, exec, s[30:31]
.LBB4_2770:                             ;   in Loop: Header=BB4_2404 Depth=3
	s_or_b64 exec, exec, s[26:27]
	v_mul_f32_e32 v4, v19, v1
	v_and_b32_e32 v32, 0x7f800000, v4
	v_mov_b32_e32 v33, v17
	v_cmp_ne_u64_e32 vcc, s[76:77], v[32:33]
	v_and_b32_e32 v0, 0x7fffff, v4
	v_mov_b32_e32 v1, v17
                                        ; implicit-def: $vgpr32
	s_and_saveexec_b64 s[26:27], vcc
	s_xor_b64 s[30:31], exec, s[26:27]
	s_cbranch_execz .LBB4_2788
; %bb.2771:                             ;   in Loop: Header=BB4_2404 Depth=3
	v_and_b32_e32 v32, 0x7fffffff, v4
	v_mov_b32_e32 v33, v17
	v_cmp_gt_u64_e32 vcc, s[78:79], v[32:33]
	v_and_b32_sdwa v33, v4, s96 dst_sel:DWORD dst_unused:UNUSED_PAD src0_sel:BYTE_3 src1_sel:DWORD
                                        ; implicit-def: $vgpr32
	s_and_saveexec_b64 s[26:27], vcc
	s_xor_b64 s[34:35], exec, s[26:27]
	s_cbranch_execz .LBB4_2785
; %bb.2772:                             ;   in Loop: Header=BB4_2404 Depth=3
	v_cmp_ne_u32_e32 vcc, 0, v4
	v_mov_b32_e32 v32, 0
	s_and_saveexec_b64 s[36:37], vcc
	s_cbranch_execz .LBB4_2784
; %bb.2773:                             ;   in Loop: Header=BB4_2404 Depth=3
	v_bfe_u32 v32, v4, 23, 8
	v_cmp_gt_u32_e64 s[26:27], s46, v32
	v_sub_u32_e32 v4, 0x71, v32
	v_cmp_eq_u32_e32 vcc, 0, v32
	v_cndmask_b32_e64 v4, 0, v4, s[26:27]
	v_mov_b32_e32 v28, 0x70
	v_cndmask_b32_e32 v34, v4, v28, vcc
	v_or_b32_e32 v5, 0x800000, v0
	v_add_u32_e32 v4, 21, v34
	v_cndmask_b32_e32 v0, v5, v0, vcc
	v_lshlrev_b64 v[4:5], v4, -1
	v_add_u32_e32 v28, 20, v34
	v_bfi_b32 v4, v4, 0, v0
	v_lshlrev_b64 v[35:36], v28, 1
	v_lshrrev_b64 v[0:1], v34, v[0:1]
	v_bfi_b32 v5, v5, 0, 0
	v_cmp_eq_u64_e64 s[26:27], v[4:5], v[35:36]
	v_mov_b32_e32 v5, v1
	v_mov_b32_e32 v4, v0
	s_and_saveexec_b64 s[38:39], s[26:27]
; %bb.2774:                             ;   in Loop: Header=BB4_2404 Depth=3
	v_bfe_u32 v1, v0, 21, 1
	v_add_co_u32_e64 v1, s[26:27], v0, v1
	v_add_co_u32_e64 v4, s[26:27], -1, v1
; %bb.2775:                             ;   in Loop: Header=BB4_2404 Depth=3
	s_or_b64 exec, exec, s[38:39]
	v_add_u32_e32 v1, 0xffffff81, v32
	v_mov_b32_e32 v5, 0xffffff82
	v_cndmask_b32_e32 v1, v1, v5, vcc
	v_lshrrev_b32_e32 v5, 23, v0
	v_add3_u32 v32, v34, v1, v5
	v_add_u32_e32 v5, 14, v32
	v_and_b32_e32 v1, 0x1fffff, v4
	v_add_u32_e32 v0, v1, v0
	v_mov_b32_e32 v1, v17
	v_cmp_ne_u32_e32 vcc, 0, v5
                                        ; implicit-def: $vgpr4
	s_and_saveexec_b64 s[26:27], vcc
	s_xor_b64 s[26:27], exec, s[26:27]
; %bb.2776:                             ;   in Loop: Header=BB4_2404 Depth=3
	v_cmp_lt_u64_e32 vcc, s[88:89], v[0:1]
	v_add_u32_e32 v4, 15, v32
	v_cndmask_b32_e32 v4, v5, v4, vcc
	v_cndmask_b32_e64 v5, 0, 1, vcc
	v_lshrrev_b64 v[0:1], v5, v[0:1]
; %bb.2777:                             ;   in Loop: Header=BB4_2404 Depth=3
	s_andn2_saveexec_b64 s[26:27], s[26:27]
; %bb.2778:                             ;   in Loop: Header=BB4_2404 Depth=3
	v_bfe_u32 v4, v0, 23, 1
; %bb.2779:                             ;   in Loop: Header=BB4_2404 Depth=3
	s_or_b64 exec, exec, s[26:27]
	v_lshrrev_b64 v[0:1], 21, v[0:1]
	v_cmp_gt_i32_e32 vcc, 32, v4
	v_cndmask_b32_e32 v1, 0, v1, vcc
	v_cndmask_b32_e32 v0, 3, v0, vcc
	v_cmp_ne_u64_e32 vcc, 0, v[0:1]
	v_cmp_ne_u32_e64 s[26:27], 0, v4
	s_or_b64 s[26:27], s[26:27], vcc
                                        ; implicit-def: $vgpr32
	s_and_saveexec_b64 vcc, s[26:27]
	s_xor_b64 s[26:27], exec, vcc
; %bb.2780:                             ;   in Loop: Header=BB4_2404 Depth=3
	v_min_i32_e32 v1, 31, v4
	v_lshl_or_b32 v1, v1, 2, v33
	v_and_or_b32 v32, v0, 3, v1
                                        ; implicit-def: $vgpr33
; %bb.2781:                             ;   in Loop: Header=BB4_2404 Depth=3
	s_andn2_saveexec_b64 s[26:27], s[26:27]
; %bb.2782:                             ;   in Loop: Header=BB4_2404 Depth=3
	v_mov_b32_e32 v32, v33
; %bb.2783:                             ;   in Loop: Header=BB4_2404 Depth=3
	s_or_b64 exec, exec, s[26:27]
.LBB4_2784:                             ;   in Loop: Header=BB4_2404 Depth=3
	s_or_b64 exec, exec, s[36:37]
                                        ; implicit-def: $vgpr33
.LBB4_2785:                             ;   in Loop: Header=BB4_2404 Depth=3
	s_andn2_saveexec_b64 s[26:27], s[34:35]
; %bb.2786:                             ;   in Loop: Header=BB4_2404 Depth=3
	v_or_b32_e32 v32, 0x7b, v33
; %bb.2787:                             ;   in Loop: Header=BB4_2404 Depth=3
	s_or_b64 exec, exec, s[26:27]
                                        ; implicit-def: $vgpr4
                                        ; implicit-def: $vgpr0_vgpr1
.LBB4_2788:                             ;   in Loop: Header=BB4_2404 Depth=3
	s_andn2_saveexec_b64 s[26:27], s[30:31]
	s_cbranch_execz .LBB4_2794
; %bb.2789:                             ;   in Loop: Header=BB4_2404 Depth=3
	v_cmp_ne_u64_e32 vcc, 0, v[0:1]
                                        ; implicit-def: $vgpr32
	s_and_saveexec_b64 s[30:31], vcc
	s_xor_b64 vcc, exec, s[30:31]
; %bb.2790:                             ;   in Loop: Header=BB4_2404 Depth=3
	v_or_b32_sdwa v32, v4, s47 dst_sel:DWORD dst_unused:UNUSED_PAD src0_sel:BYTE_3 src1_sel:DWORD
                                        ; implicit-def: $vgpr4
; %bb.2791:                             ;   in Loop: Header=BB4_2404 Depth=3
	s_andn2_saveexec_b64 s[30:31], vcc
; %bb.2792:                             ;   in Loop: Header=BB4_2404 Depth=3
	v_cmp_lt_i32_e32 vcc, -1, v4
	v_cndmask_b32_e32 v32, -4, v52, vcc
; %bb.2793:                             ;   in Loop: Header=BB4_2404 Depth=3
	s_or_b64 exec, exec, s[30:31]
.LBB4_2794:                             ;   in Loop: Header=BB4_2404 Depth=3
	s_or_b64 exec, exec, s[26:27]
	flat_load_sbyte v0, v[2:3] offset:768 glc slc
	v_mov_b32_e32 v1, 0
	s_waitcnt vmcnt(0) lgkmcnt(0)
	v_cmp_ne_u16_e32 vcc, 0, v0
	s_and_saveexec_b64 s[26:27], vcc
	s_cbranch_execz .LBB4_2802
; %bb.2795:                             ;   in Loop: Header=BB4_2404 Depth=3
	v_cmp_ne_u16_e32 vcc, s97, v0
	v_bfrev_b32_e32 v1, 1
	s_and_saveexec_b64 s[30:31], vcc
	s_cbranch_execz .LBB4_2801
; %bb.2796:                             ;   in Loop: Header=BB4_2404 Depth=3
	v_and_b32_e32 v1, 0x7c, v0
	v_and_b32_e32 v4, 3, v0
	v_cmp_ne_u32_e32 vcc, s85, v1
                                        ; implicit-def: $vgpr1
	s_and_saveexec_b64 s[34:35], vcc
	s_xor_b64 s[34:35], exec, s[34:35]
	s_cbranch_execz .LBB4_2798
; %bb.2797:                             ;   in Loop: Header=BB4_2404 Depth=3
	v_ffbh_u32_e32 v28, v4
	v_min_u32_e32 v28, 32, v28
	v_and_b32_e32 v5, 0xff, v0
	v_mov_b32_e32 v1, v17
	v_subrev_u32_e32 v29, 29, v28
	v_bfe_u32 v5, v5, 2, 5
	v_lshlrev_b64 v[33:34], v29, v[0:1]
	v_sub_u32_e32 v1, 30, v28
	v_cmp_eq_u32_e32 vcc, 0, v5
	v_and_b32_e32 v28, 3, v33
	v_cndmask_b32_e32 v1, v5, v1, vcc
	v_and_b32_sdwa v0, sext(v0), s86 dst_sel:DWORD dst_unused:UNUSED_PAD src0_sel:WORD_0 src1_sel:DWORD
	v_cndmask_b32_e32 v4, v4, v28, vcc
	v_lshl_add_u32 v0, v1, 23, v0
	v_lshl_or_b32 v0, v4, 21, v0
	v_add_u32_e32 v1, 0x38000000, v0
                                        ; implicit-def: $vgpr4
                                        ; implicit-def: $vgpr0
.LBB4_2798:                             ;   in Loop: Header=BB4_2404 Depth=3
	s_andn2_saveexec_b64 s[34:35], s[34:35]
; %bb.2799:                             ;   in Loop: Header=BB4_2404 Depth=3
	v_cmp_lt_i16_e32 vcc, -1, v0
	v_mov_b32_e32 v0, 0xff800000
	v_mov_b32_e32 v1, 0x7f800000
	v_cndmask_b32_e32 v0, v0, v1, vcc
	v_cmp_eq_u32_e32 vcc, 0, v4
	v_mov_b32_e32 v1, 0x7f800001
	v_cndmask_b32_e32 v1, v1, v0, vcc
; %bb.2800:                             ;   in Loop: Header=BB4_2404 Depth=3
	s_or_b64 exec, exec, s[34:35]
.LBB4_2801:                             ;   in Loop: Header=BB4_2404 Depth=3
	s_or_b64 exec, exec, s[30:31]
.LBB4_2802:                             ;   in Loop: Header=BB4_2404 Depth=3
	s_or_b64 exec, exec, s[26:27]
	v_mul_f32_e32 v4, v19, v1
	v_and_b32_e32 v33, 0x7f800000, v4
	v_mov_b32_e32 v34, v17
	v_cmp_ne_u64_e32 vcc, s[76:77], v[33:34]
	v_and_b32_e32 v0, 0x7fffff, v4
	v_mov_b32_e32 v1, v17
                                        ; implicit-def: $vgpr33
	s_and_saveexec_b64 s[26:27], vcc
	s_xor_b64 s[30:31], exec, s[26:27]
	s_cbranch_execz .LBB4_2820
; %bb.2803:                             ;   in Loop: Header=BB4_2404 Depth=3
	v_and_b32_e32 v33, 0x7fffffff, v4
	v_mov_b32_e32 v34, v17
	v_cmp_gt_u64_e32 vcc, s[78:79], v[33:34]
	v_and_b32_sdwa v34, v4, s96 dst_sel:DWORD dst_unused:UNUSED_PAD src0_sel:BYTE_3 src1_sel:DWORD
                                        ; implicit-def: $vgpr33
	s_and_saveexec_b64 s[26:27], vcc
	s_xor_b64 s[34:35], exec, s[26:27]
	s_cbranch_execz .LBB4_2817
; %bb.2804:                             ;   in Loop: Header=BB4_2404 Depth=3
	v_cmp_ne_u32_e32 vcc, 0, v4
	v_mov_b32_e32 v33, 0
	s_and_saveexec_b64 s[36:37], vcc
	s_cbranch_execz .LBB4_2816
; %bb.2805:                             ;   in Loop: Header=BB4_2404 Depth=3
	v_bfe_u32 v33, v4, 23, 8
	v_cmp_gt_u32_e64 s[26:27], s46, v33
	v_sub_u32_e32 v4, 0x71, v33
	v_cmp_eq_u32_e32 vcc, 0, v33
	v_cndmask_b32_e64 v4, 0, v4, s[26:27]
	v_mov_b32_e32 v28, 0x70
	v_cndmask_b32_e32 v35, v4, v28, vcc
	v_or_b32_e32 v5, 0x800000, v0
	v_add_u32_e32 v4, 21, v35
	v_cndmask_b32_e32 v0, v5, v0, vcc
	v_lshlrev_b64 v[4:5], v4, -1
	v_add_u32_e32 v28, 20, v35
	v_bfi_b32 v4, v4, 0, v0
	v_lshlrev_b64 v[36:37], v28, 1
	v_lshrrev_b64 v[0:1], v35, v[0:1]
	v_bfi_b32 v5, v5, 0, 0
	v_cmp_eq_u64_e64 s[26:27], v[4:5], v[36:37]
	v_mov_b32_e32 v5, v1
	v_mov_b32_e32 v4, v0
	s_and_saveexec_b64 s[38:39], s[26:27]
; %bb.2806:                             ;   in Loop: Header=BB4_2404 Depth=3
	v_bfe_u32 v1, v0, 21, 1
	v_add_co_u32_e64 v1, s[26:27], v0, v1
	v_add_co_u32_e64 v4, s[26:27], -1, v1
; %bb.2807:                             ;   in Loop: Header=BB4_2404 Depth=3
	s_or_b64 exec, exec, s[38:39]
	v_add_u32_e32 v1, 0xffffff81, v33
	v_mov_b32_e32 v5, 0xffffff82
	v_cndmask_b32_e32 v1, v1, v5, vcc
	v_lshrrev_b32_e32 v5, 23, v0
	v_add3_u32 v33, v35, v1, v5
	v_add_u32_e32 v5, 14, v33
	v_and_b32_e32 v1, 0x1fffff, v4
	v_add_u32_e32 v0, v1, v0
	v_mov_b32_e32 v1, v17
	v_cmp_ne_u32_e32 vcc, 0, v5
                                        ; implicit-def: $vgpr4
	s_and_saveexec_b64 s[26:27], vcc
	s_xor_b64 s[26:27], exec, s[26:27]
; %bb.2808:                             ;   in Loop: Header=BB4_2404 Depth=3
	v_cmp_lt_u64_e32 vcc, s[88:89], v[0:1]
	v_add_u32_e32 v4, 15, v33
	v_cndmask_b32_e32 v4, v5, v4, vcc
	v_cndmask_b32_e64 v5, 0, 1, vcc
	v_lshrrev_b64 v[0:1], v5, v[0:1]
; %bb.2809:                             ;   in Loop: Header=BB4_2404 Depth=3
	s_andn2_saveexec_b64 s[26:27], s[26:27]
; %bb.2810:                             ;   in Loop: Header=BB4_2404 Depth=3
	v_bfe_u32 v4, v0, 23, 1
; %bb.2811:                             ;   in Loop: Header=BB4_2404 Depth=3
	s_or_b64 exec, exec, s[26:27]
	v_lshrrev_b64 v[0:1], 21, v[0:1]
	v_cmp_gt_i32_e32 vcc, 32, v4
	v_cndmask_b32_e32 v1, 0, v1, vcc
	v_cndmask_b32_e32 v0, 3, v0, vcc
	v_cmp_ne_u64_e32 vcc, 0, v[0:1]
	v_cmp_ne_u32_e64 s[26:27], 0, v4
	s_or_b64 s[26:27], s[26:27], vcc
                                        ; implicit-def: $vgpr33
	s_and_saveexec_b64 vcc, s[26:27]
	s_xor_b64 s[26:27], exec, vcc
; %bb.2812:                             ;   in Loop: Header=BB4_2404 Depth=3
	v_min_i32_e32 v1, 31, v4
	v_lshl_or_b32 v1, v1, 2, v34
	v_and_or_b32 v33, v0, 3, v1
                                        ; implicit-def: $vgpr34
; %bb.2813:                             ;   in Loop: Header=BB4_2404 Depth=3
	s_andn2_saveexec_b64 s[26:27], s[26:27]
; %bb.2814:                             ;   in Loop: Header=BB4_2404 Depth=3
	v_mov_b32_e32 v33, v34
; %bb.2815:                             ;   in Loop: Header=BB4_2404 Depth=3
	s_or_b64 exec, exec, s[26:27]
.LBB4_2816:                             ;   in Loop: Header=BB4_2404 Depth=3
	s_or_b64 exec, exec, s[36:37]
                                        ; implicit-def: $vgpr34
.LBB4_2817:                             ;   in Loop: Header=BB4_2404 Depth=3
	s_andn2_saveexec_b64 s[26:27], s[34:35]
; %bb.2818:                             ;   in Loop: Header=BB4_2404 Depth=3
	v_or_b32_e32 v33, 0x7b, v34
; %bb.2819:                             ;   in Loop: Header=BB4_2404 Depth=3
	s_or_b64 exec, exec, s[26:27]
                                        ; implicit-def: $vgpr4
                                        ; implicit-def: $vgpr0_vgpr1
.LBB4_2820:                             ;   in Loop: Header=BB4_2404 Depth=3
	s_andn2_saveexec_b64 s[26:27], s[30:31]
	s_cbranch_execz .LBB4_2826
; %bb.2821:                             ;   in Loop: Header=BB4_2404 Depth=3
	v_cmp_ne_u64_e32 vcc, 0, v[0:1]
                                        ; implicit-def: $vgpr33
	s_and_saveexec_b64 s[30:31], vcc
	s_xor_b64 vcc, exec, s[30:31]
; %bb.2822:                             ;   in Loop: Header=BB4_2404 Depth=3
	v_or_b32_sdwa v33, v4, s47 dst_sel:DWORD dst_unused:UNUSED_PAD src0_sel:BYTE_3 src1_sel:DWORD
                                        ; implicit-def: $vgpr4
; %bb.2823:                             ;   in Loop: Header=BB4_2404 Depth=3
	s_andn2_saveexec_b64 s[30:31], vcc
; %bb.2824:                             ;   in Loop: Header=BB4_2404 Depth=3
	v_cmp_lt_i32_e32 vcc, -1, v4
	v_cndmask_b32_e32 v33, -4, v52, vcc
; %bb.2825:                             ;   in Loop: Header=BB4_2404 Depth=3
	s_or_b64 exec, exec, s[30:31]
.LBB4_2826:                             ;   in Loop: Header=BB4_2404 Depth=3
	s_or_b64 exec, exec, s[26:27]
	flat_load_sbyte v0, v[2:3] offset:832 glc slc
	v_mov_b32_e32 v1, 0
	s_waitcnt vmcnt(0) lgkmcnt(0)
	v_cmp_ne_u16_e32 vcc, 0, v0
	s_and_saveexec_b64 s[26:27], vcc
	s_cbranch_execz .LBB4_2834
; %bb.2827:                             ;   in Loop: Header=BB4_2404 Depth=3
	v_cmp_ne_u16_e32 vcc, s97, v0
	v_bfrev_b32_e32 v1, 1
	s_and_saveexec_b64 s[30:31], vcc
	s_cbranch_execz .LBB4_2833
; %bb.2828:                             ;   in Loop: Header=BB4_2404 Depth=3
	v_and_b32_e32 v1, 0x7c, v0
	v_and_b32_e32 v4, 3, v0
	v_cmp_ne_u32_e32 vcc, s85, v1
                                        ; implicit-def: $vgpr1
	s_and_saveexec_b64 s[34:35], vcc
	s_xor_b64 s[34:35], exec, s[34:35]
	s_cbranch_execz .LBB4_2830
; %bb.2829:                             ;   in Loop: Header=BB4_2404 Depth=3
	v_ffbh_u32_e32 v28, v4
	v_min_u32_e32 v28, 32, v28
	v_and_b32_e32 v5, 0xff, v0
	v_mov_b32_e32 v1, v17
	v_subrev_u32_e32 v29, 29, v28
	v_bfe_u32 v5, v5, 2, 5
	v_lshlrev_b64 v[34:35], v29, v[0:1]
	v_sub_u32_e32 v1, 30, v28
	v_cmp_eq_u32_e32 vcc, 0, v5
	v_and_b32_e32 v28, 3, v34
	v_cndmask_b32_e32 v1, v5, v1, vcc
	v_and_b32_sdwa v0, sext(v0), s86 dst_sel:DWORD dst_unused:UNUSED_PAD src0_sel:WORD_0 src1_sel:DWORD
	v_cndmask_b32_e32 v4, v4, v28, vcc
	v_lshl_add_u32 v0, v1, 23, v0
	v_lshl_or_b32 v0, v4, 21, v0
	v_add_u32_e32 v1, 0x38000000, v0
                                        ; implicit-def: $vgpr4
                                        ; implicit-def: $vgpr0
.LBB4_2830:                             ;   in Loop: Header=BB4_2404 Depth=3
	s_andn2_saveexec_b64 s[34:35], s[34:35]
; %bb.2831:                             ;   in Loop: Header=BB4_2404 Depth=3
	v_cmp_lt_i16_e32 vcc, -1, v0
	v_mov_b32_e32 v0, 0xff800000
	v_mov_b32_e32 v1, 0x7f800000
	v_cndmask_b32_e32 v0, v0, v1, vcc
	v_cmp_eq_u32_e32 vcc, 0, v4
	v_mov_b32_e32 v1, 0x7f800001
	v_cndmask_b32_e32 v1, v1, v0, vcc
; %bb.2832:                             ;   in Loop: Header=BB4_2404 Depth=3
	s_or_b64 exec, exec, s[34:35]
.LBB4_2833:                             ;   in Loop: Header=BB4_2404 Depth=3
	s_or_b64 exec, exec, s[30:31]
.LBB4_2834:                             ;   in Loop: Header=BB4_2404 Depth=3
	s_or_b64 exec, exec, s[26:27]
	v_mul_f32_e32 v4, v19, v1
	v_and_b32_e32 v34, 0x7f800000, v4
	v_mov_b32_e32 v35, v17
	v_cmp_ne_u64_e32 vcc, s[76:77], v[34:35]
	v_and_b32_e32 v0, 0x7fffff, v4
	v_mov_b32_e32 v1, v17
                                        ; implicit-def: $vgpr34
	s_and_saveexec_b64 s[26:27], vcc
	s_xor_b64 s[30:31], exec, s[26:27]
	s_cbranch_execz .LBB4_2852
; %bb.2835:                             ;   in Loop: Header=BB4_2404 Depth=3
	v_and_b32_e32 v34, 0x7fffffff, v4
	v_mov_b32_e32 v35, v17
	v_cmp_gt_u64_e32 vcc, s[78:79], v[34:35]
	v_and_b32_sdwa v35, v4, s96 dst_sel:DWORD dst_unused:UNUSED_PAD src0_sel:BYTE_3 src1_sel:DWORD
                                        ; implicit-def: $vgpr34
	s_and_saveexec_b64 s[26:27], vcc
	s_xor_b64 s[34:35], exec, s[26:27]
	s_cbranch_execz .LBB4_2849
; %bb.2836:                             ;   in Loop: Header=BB4_2404 Depth=3
	v_cmp_ne_u32_e32 vcc, 0, v4
	v_mov_b32_e32 v34, 0
	s_and_saveexec_b64 s[36:37], vcc
	s_cbranch_execz .LBB4_2848
; %bb.2837:                             ;   in Loop: Header=BB4_2404 Depth=3
	v_bfe_u32 v34, v4, 23, 8
	v_cmp_gt_u32_e64 s[26:27], s46, v34
	v_sub_u32_e32 v4, 0x71, v34
	v_cmp_eq_u32_e32 vcc, 0, v34
	v_cndmask_b32_e64 v4, 0, v4, s[26:27]
	v_mov_b32_e32 v28, 0x70
	v_cndmask_b32_e32 v36, v4, v28, vcc
	v_or_b32_e32 v5, 0x800000, v0
	v_add_u32_e32 v4, 21, v36
	v_cndmask_b32_e32 v0, v5, v0, vcc
	v_lshlrev_b64 v[4:5], v4, -1
	v_add_u32_e32 v28, 20, v36
	v_bfi_b32 v4, v4, 0, v0
	v_lshlrev_b64 v[37:38], v28, 1
	v_lshrrev_b64 v[0:1], v36, v[0:1]
	v_bfi_b32 v5, v5, 0, 0
	v_cmp_eq_u64_e64 s[26:27], v[4:5], v[37:38]
	v_mov_b32_e32 v5, v1
	v_mov_b32_e32 v4, v0
	s_and_saveexec_b64 s[38:39], s[26:27]
; %bb.2838:                             ;   in Loop: Header=BB4_2404 Depth=3
	v_bfe_u32 v1, v0, 21, 1
	v_add_co_u32_e64 v1, s[26:27], v0, v1
	v_add_co_u32_e64 v4, s[26:27], -1, v1
; %bb.2839:                             ;   in Loop: Header=BB4_2404 Depth=3
	s_or_b64 exec, exec, s[38:39]
	v_add_u32_e32 v1, 0xffffff81, v34
	v_mov_b32_e32 v5, 0xffffff82
	v_cndmask_b32_e32 v1, v1, v5, vcc
	v_lshrrev_b32_e32 v5, 23, v0
	v_add3_u32 v34, v36, v1, v5
	v_add_u32_e32 v5, 14, v34
	v_and_b32_e32 v1, 0x1fffff, v4
	v_add_u32_e32 v0, v1, v0
	v_mov_b32_e32 v1, v17
	v_cmp_ne_u32_e32 vcc, 0, v5
                                        ; implicit-def: $vgpr4
	s_and_saveexec_b64 s[26:27], vcc
	s_xor_b64 s[26:27], exec, s[26:27]
; %bb.2840:                             ;   in Loop: Header=BB4_2404 Depth=3
	v_cmp_lt_u64_e32 vcc, s[88:89], v[0:1]
	v_add_u32_e32 v4, 15, v34
	v_cndmask_b32_e32 v4, v5, v4, vcc
	v_cndmask_b32_e64 v5, 0, 1, vcc
	v_lshrrev_b64 v[0:1], v5, v[0:1]
; %bb.2841:                             ;   in Loop: Header=BB4_2404 Depth=3
	s_andn2_saveexec_b64 s[26:27], s[26:27]
; %bb.2842:                             ;   in Loop: Header=BB4_2404 Depth=3
	v_bfe_u32 v4, v0, 23, 1
; %bb.2843:                             ;   in Loop: Header=BB4_2404 Depth=3
	s_or_b64 exec, exec, s[26:27]
	v_lshrrev_b64 v[0:1], 21, v[0:1]
	v_cmp_gt_i32_e32 vcc, 32, v4
	v_cndmask_b32_e32 v1, 0, v1, vcc
	v_cndmask_b32_e32 v0, 3, v0, vcc
	v_cmp_ne_u64_e32 vcc, 0, v[0:1]
	v_cmp_ne_u32_e64 s[26:27], 0, v4
	s_or_b64 s[26:27], s[26:27], vcc
                                        ; implicit-def: $vgpr34
	s_and_saveexec_b64 vcc, s[26:27]
	s_xor_b64 s[26:27], exec, vcc
; %bb.2844:                             ;   in Loop: Header=BB4_2404 Depth=3
	v_min_i32_e32 v1, 31, v4
	v_lshl_or_b32 v1, v1, 2, v35
	v_and_or_b32 v34, v0, 3, v1
                                        ; implicit-def: $vgpr35
; %bb.2845:                             ;   in Loop: Header=BB4_2404 Depth=3
	s_andn2_saveexec_b64 s[26:27], s[26:27]
; %bb.2846:                             ;   in Loop: Header=BB4_2404 Depth=3
	v_mov_b32_e32 v34, v35
; %bb.2847:                             ;   in Loop: Header=BB4_2404 Depth=3
	s_or_b64 exec, exec, s[26:27]
.LBB4_2848:                             ;   in Loop: Header=BB4_2404 Depth=3
	s_or_b64 exec, exec, s[36:37]
                                        ; implicit-def: $vgpr35
.LBB4_2849:                             ;   in Loop: Header=BB4_2404 Depth=3
	s_andn2_saveexec_b64 s[26:27], s[34:35]
; %bb.2850:                             ;   in Loop: Header=BB4_2404 Depth=3
	v_or_b32_e32 v34, 0x7b, v35
; %bb.2851:                             ;   in Loop: Header=BB4_2404 Depth=3
	s_or_b64 exec, exec, s[26:27]
                                        ; implicit-def: $vgpr4
                                        ; implicit-def: $vgpr0_vgpr1
.LBB4_2852:                             ;   in Loop: Header=BB4_2404 Depth=3
	s_andn2_saveexec_b64 s[26:27], s[30:31]
	s_cbranch_execz .LBB4_2858
; %bb.2853:                             ;   in Loop: Header=BB4_2404 Depth=3
	v_cmp_ne_u64_e32 vcc, 0, v[0:1]
                                        ; implicit-def: $vgpr34
	s_and_saveexec_b64 s[30:31], vcc
	s_xor_b64 vcc, exec, s[30:31]
; %bb.2854:                             ;   in Loop: Header=BB4_2404 Depth=3
	v_or_b32_sdwa v34, v4, s47 dst_sel:DWORD dst_unused:UNUSED_PAD src0_sel:BYTE_3 src1_sel:DWORD
                                        ; implicit-def: $vgpr4
; %bb.2855:                             ;   in Loop: Header=BB4_2404 Depth=3
	s_andn2_saveexec_b64 s[30:31], vcc
; %bb.2856:                             ;   in Loop: Header=BB4_2404 Depth=3
	v_cmp_lt_i32_e32 vcc, -1, v4
	v_cndmask_b32_e32 v34, -4, v52, vcc
; %bb.2857:                             ;   in Loop: Header=BB4_2404 Depth=3
	s_or_b64 exec, exec, s[30:31]
.LBB4_2858:                             ;   in Loop: Header=BB4_2404 Depth=3
	s_or_b64 exec, exec, s[26:27]
	flat_load_sbyte v0, v[2:3] offset:896 glc slc
	v_mov_b32_e32 v1, 0
	s_waitcnt vmcnt(0) lgkmcnt(0)
	v_cmp_ne_u16_e32 vcc, 0, v0
	s_and_saveexec_b64 s[26:27], vcc
	s_cbranch_execz .LBB4_2866
; %bb.2859:                             ;   in Loop: Header=BB4_2404 Depth=3
	v_cmp_ne_u16_e32 vcc, s97, v0
	v_bfrev_b32_e32 v1, 1
	s_and_saveexec_b64 s[30:31], vcc
	s_cbranch_execz .LBB4_2865
; %bb.2860:                             ;   in Loop: Header=BB4_2404 Depth=3
	v_and_b32_e32 v1, 0x7c, v0
	v_and_b32_e32 v4, 3, v0
	v_cmp_ne_u32_e32 vcc, s85, v1
                                        ; implicit-def: $vgpr1
	s_and_saveexec_b64 s[34:35], vcc
	s_xor_b64 s[34:35], exec, s[34:35]
	s_cbranch_execz .LBB4_2862
; %bb.2861:                             ;   in Loop: Header=BB4_2404 Depth=3
	v_ffbh_u32_e32 v28, v4
	v_min_u32_e32 v28, 32, v28
	v_and_b32_e32 v5, 0xff, v0
	v_mov_b32_e32 v1, v17
	v_subrev_u32_e32 v29, 29, v28
	v_bfe_u32 v5, v5, 2, 5
	v_lshlrev_b64 v[35:36], v29, v[0:1]
	v_sub_u32_e32 v1, 30, v28
	v_cmp_eq_u32_e32 vcc, 0, v5
	v_and_b32_e32 v28, 3, v35
	v_cndmask_b32_e32 v1, v5, v1, vcc
	v_and_b32_sdwa v0, sext(v0), s86 dst_sel:DWORD dst_unused:UNUSED_PAD src0_sel:WORD_0 src1_sel:DWORD
	v_cndmask_b32_e32 v4, v4, v28, vcc
	v_lshl_add_u32 v0, v1, 23, v0
	v_lshl_or_b32 v0, v4, 21, v0
	v_add_u32_e32 v1, 0x38000000, v0
                                        ; implicit-def: $vgpr4
                                        ; implicit-def: $vgpr0
.LBB4_2862:                             ;   in Loop: Header=BB4_2404 Depth=3
	s_andn2_saveexec_b64 s[34:35], s[34:35]
; %bb.2863:                             ;   in Loop: Header=BB4_2404 Depth=3
	v_cmp_lt_i16_e32 vcc, -1, v0
	v_mov_b32_e32 v0, 0xff800000
	v_mov_b32_e32 v1, 0x7f800000
	v_cndmask_b32_e32 v0, v0, v1, vcc
	v_cmp_eq_u32_e32 vcc, 0, v4
	v_mov_b32_e32 v1, 0x7f800001
	v_cndmask_b32_e32 v1, v1, v0, vcc
; %bb.2864:                             ;   in Loop: Header=BB4_2404 Depth=3
	s_or_b64 exec, exec, s[34:35]
.LBB4_2865:                             ;   in Loop: Header=BB4_2404 Depth=3
	s_or_b64 exec, exec, s[30:31]
.LBB4_2866:                             ;   in Loop: Header=BB4_2404 Depth=3
	s_or_b64 exec, exec, s[26:27]
	v_mul_f32_e32 v5, v19, v1
	v_and_b32_e32 v35, 0x7f800000, v5
	v_mov_b32_e32 v36, v17
	v_cmp_ne_u64_e32 vcc, s[76:77], v[35:36]
	v_and_b32_e32 v0, 0x7fffff, v5
	v_mov_b32_e32 v1, v17
                                        ; implicit-def: $vgpr4
	s_and_saveexec_b64 s[26:27], vcc
	s_xor_b64 s[30:31], exec, s[26:27]
	s_cbranch_execz .LBB4_2884
; %bb.2867:                             ;   in Loop: Header=BB4_2404 Depth=3
	v_and_b32_e32 v35, 0x7fffffff, v5
	v_mov_b32_e32 v36, v17
	v_cmp_gt_u64_e32 vcc, s[78:79], v[35:36]
	v_and_b32_sdwa v35, v5, s96 dst_sel:DWORD dst_unused:UNUSED_PAD src0_sel:BYTE_3 src1_sel:DWORD
                                        ; implicit-def: $vgpr4
	s_and_saveexec_b64 s[26:27], vcc
	s_xor_b64 s[34:35], exec, s[26:27]
	s_cbranch_execz .LBB4_2881
; %bb.2868:                             ;   in Loop: Header=BB4_2404 Depth=3
	v_cmp_ne_u32_e32 vcc, 0, v5
	v_mov_b32_e32 v4, 0
	s_and_saveexec_b64 s[36:37], vcc
	s_cbranch_execz .LBB4_2880
; %bb.2869:                             ;   in Loop: Header=BB4_2404 Depth=3
	v_bfe_u32 v36, v5, 23, 8
	v_cmp_gt_u32_e64 s[26:27], s46, v36
	v_sub_u32_e32 v4, 0x71, v36
	v_cmp_eq_u32_e32 vcc, 0, v36
	v_cndmask_b32_e64 v4, 0, v4, s[26:27]
	v_mov_b32_e32 v28, 0x70
	v_cndmask_b32_e32 v37, v4, v28, vcc
	v_or_b32_e32 v5, 0x800000, v0
	v_add_u32_e32 v4, 21, v37
	v_cndmask_b32_e32 v0, v5, v0, vcc
	v_lshlrev_b64 v[4:5], v4, -1
	v_add_u32_e32 v28, 20, v37
	v_bfi_b32 v4, v4, 0, v0
	v_lshlrev_b64 v[38:39], v28, 1
	v_lshrrev_b64 v[0:1], v37, v[0:1]
	v_bfi_b32 v5, v5, 0, 0
	v_cmp_eq_u64_e64 s[26:27], v[4:5], v[38:39]
	v_mov_b32_e32 v5, v1
	v_mov_b32_e32 v4, v0
	s_and_saveexec_b64 s[38:39], s[26:27]
; %bb.2870:                             ;   in Loop: Header=BB4_2404 Depth=3
	v_bfe_u32 v1, v0, 21, 1
	v_add_co_u32_e64 v1, s[26:27], v0, v1
	v_add_co_u32_e64 v4, s[26:27], -1, v1
; %bb.2871:                             ;   in Loop: Header=BB4_2404 Depth=3
	s_or_b64 exec, exec, s[38:39]
	v_add_u32_e32 v1, 0xffffff81, v36
	v_mov_b32_e32 v5, 0xffffff82
	v_cndmask_b32_e32 v1, v1, v5, vcc
	v_lshrrev_b32_e32 v5, 23, v0
	v_add3_u32 v37, v37, v1, v5
	v_add_u32_e32 v36, 14, v37
	v_and_b32_e32 v1, 0x1fffff, v4
	v_add_u32_e32 v0, v1, v0
	v_mov_b32_e32 v1, v17
	v_cmp_ne_u32_e32 vcc, 0, v36
                                        ; implicit-def: $vgpr5
	s_and_saveexec_b64 s[26:27], vcc
	s_xor_b64 s[26:27], exec, s[26:27]
; %bb.2872:                             ;   in Loop: Header=BB4_2404 Depth=3
	v_cmp_lt_u64_e32 vcc, s[88:89], v[0:1]
	v_add_u32_e32 v4, 15, v37
	v_cndmask_b32_e32 v5, v36, v4, vcc
	v_cndmask_b32_e64 v4, 0, 1, vcc
	v_lshrrev_b64 v[0:1], v4, v[0:1]
; %bb.2873:                             ;   in Loop: Header=BB4_2404 Depth=3
	s_andn2_saveexec_b64 s[26:27], s[26:27]
; %bb.2874:                             ;   in Loop: Header=BB4_2404 Depth=3
	v_bfe_u32 v5, v0, 23, 1
; %bb.2875:                             ;   in Loop: Header=BB4_2404 Depth=3
	s_or_b64 exec, exec, s[26:27]
	v_lshrrev_b64 v[0:1], 21, v[0:1]
	v_cmp_gt_i32_e32 vcc, 32, v5
	v_cndmask_b32_e32 v1, 0, v1, vcc
	v_cndmask_b32_e32 v0, 3, v0, vcc
	v_cmp_ne_u64_e32 vcc, 0, v[0:1]
	v_cmp_ne_u32_e64 s[26:27], 0, v5
	s_or_b64 s[26:27], s[26:27], vcc
                                        ; implicit-def: $vgpr4
	s_and_saveexec_b64 vcc, s[26:27]
	s_xor_b64 s[26:27], exec, vcc
; %bb.2876:                             ;   in Loop: Header=BB4_2404 Depth=3
	v_min_i32_e32 v1, 31, v5
	v_lshl_or_b32 v1, v1, 2, v35
	v_and_or_b32 v4, v0, 3, v1
                                        ; implicit-def: $vgpr35
; %bb.2877:                             ;   in Loop: Header=BB4_2404 Depth=3
	s_andn2_saveexec_b64 s[26:27], s[26:27]
; %bb.2878:                             ;   in Loop: Header=BB4_2404 Depth=3
	v_mov_b32_e32 v4, v35
; %bb.2879:                             ;   in Loop: Header=BB4_2404 Depth=3
	s_or_b64 exec, exec, s[26:27]
.LBB4_2880:                             ;   in Loop: Header=BB4_2404 Depth=3
	s_or_b64 exec, exec, s[36:37]
                                        ; implicit-def: $vgpr35
.LBB4_2881:                             ;   in Loop: Header=BB4_2404 Depth=3
	s_andn2_saveexec_b64 s[26:27], s[34:35]
; %bb.2882:                             ;   in Loop: Header=BB4_2404 Depth=3
	v_or_b32_e32 v4, 0x7b, v35
; %bb.2883:                             ;   in Loop: Header=BB4_2404 Depth=3
	s_or_b64 exec, exec, s[26:27]
                                        ; implicit-def: $vgpr5
                                        ; implicit-def: $vgpr0_vgpr1
.LBB4_2884:                             ;   in Loop: Header=BB4_2404 Depth=3
	s_andn2_saveexec_b64 s[26:27], s[30:31]
	s_cbranch_execz .LBB4_2890
; %bb.2885:                             ;   in Loop: Header=BB4_2404 Depth=3
	v_cmp_ne_u64_e32 vcc, 0, v[0:1]
                                        ; implicit-def: $vgpr4
	s_and_saveexec_b64 s[30:31], vcc
	s_xor_b64 vcc, exec, s[30:31]
; %bb.2886:                             ;   in Loop: Header=BB4_2404 Depth=3
	v_or_b32_sdwa v4, v5, s47 dst_sel:DWORD dst_unused:UNUSED_PAD src0_sel:BYTE_3 src1_sel:DWORD
                                        ; implicit-def: $vgpr5
; %bb.2887:                             ;   in Loop: Header=BB4_2404 Depth=3
	s_andn2_saveexec_b64 s[30:31], vcc
; %bb.2888:                             ;   in Loop: Header=BB4_2404 Depth=3
	v_cmp_lt_i32_e32 vcc, -1, v5
	v_cndmask_b32_e32 v4, -4, v52, vcc
; %bb.2889:                             ;   in Loop: Header=BB4_2404 Depth=3
	s_or_b64 exec, exec, s[30:31]
.LBB4_2890:                             ;   in Loop: Header=BB4_2404 Depth=3
	s_or_b64 exec, exec, s[26:27]
	flat_load_sbyte v0, v[2:3] offset:960 glc slc
	v_mov_b32_e32 v1, 0
	s_waitcnt vmcnt(0) lgkmcnt(0)
	v_cmp_ne_u16_e32 vcc, 0, v0
	s_and_saveexec_b64 s[26:27], vcc
	s_cbranch_execz .LBB4_2898
; %bb.2891:                             ;   in Loop: Header=BB4_2404 Depth=3
	v_cmp_ne_u16_e32 vcc, s97, v0
	v_bfrev_b32_e32 v1, 1
	s_and_saveexec_b64 s[30:31], vcc
	s_cbranch_execz .LBB4_2897
; %bb.2892:                             ;   in Loop: Header=BB4_2404 Depth=3
	v_and_b32_e32 v1, 0x7c, v0
	v_and_b32_e32 v2, 3, v0
	v_cmp_ne_u32_e32 vcc, s85, v1
                                        ; implicit-def: $vgpr1
	s_and_saveexec_b64 s[34:35], vcc
	s_xor_b64 s[34:35], exec, s[34:35]
	s_cbranch_execz .LBB4_2894
; %bb.2893:                             ;   in Loop: Header=BB4_2404 Depth=3
	v_ffbh_u32_e32 v5, v2
	v_min_u32_e32 v5, 32, v5
	v_and_b32_e32 v3, 0xff, v0
	v_mov_b32_e32 v1, v17
	v_subrev_u32_e32 v28, 29, v5
	v_bfe_u32 v3, v3, 2, 5
	v_lshlrev_b64 v[35:36], v28, v[0:1]
	v_sub_u32_e32 v1, 30, v5
	v_cmp_eq_u32_e32 vcc, 0, v3
	v_and_b32_e32 v5, 3, v35
	v_cndmask_b32_e32 v1, v3, v1, vcc
	v_and_b32_sdwa v0, sext(v0), s86 dst_sel:DWORD dst_unused:UNUSED_PAD src0_sel:WORD_0 src1_sel:DWORD
	v_cndmask_b32_e32 v2, v2, v5, vcc
	v_lshl_add_u32 v0, v1, 23, v0
	v_lshl_or_b32 v0, v2, 21, v0
	v_add_u32_e32 v1, 0x38000000, v0
                                        ; implicit-def: $vgpr2
                                        ; implicit-def: $vgpr0
.LBB4_2894:                             ;   in Loop: Header=BB4_2404 Depth=3
	s_andn2_saveexec_b64 s[34:35], s[34:35]
; %bb.2895:                             ;   in Loop: Header=BB4_2404 Depth=3
	v_cmp_lt_i16_e32 vcc, -1, v0
	v_mov_b32_e32 v0, 0xff800000
	v_mov_b32_e32 v1, 0x7f800000
	v_cndmask_b32_e32 v0, v0, v1, vcc
	v_cmp_eq_u32_e32 vcc, 0, v2
	v_mov_b32_e32 v1, 0x7f800001
	v_cndmask_b32_e32 v1, v1, v0, vcc
; %bb.2896:                             ;   in Loop: Header=BB4_2404 Depth=3
	s_or_b64 exec, exec, s[34:35]
.LBB4_2897:                             ;   in Loop: Header=BB4_2404 Depth=3
	s_or_b64 exec, exec, s[30:31]
.LBB4_2898:                             ;   in Loop: Header=BB4_2404 Depth=3
	s_or_b64 exec, exec, s[26:27]
	v_mul_f32_e32 v5, v19, v1
	v_and_b32_e32 v1, 0x7f800000, v5
	v_mov_b32_e32 v2, v17
	v_cmp_ne_u64_e32 vcc, s[76:77], v[1:2]
	v_and_b32_e32 v0, 0x7fffff, v5
	v_mov_b32_e32 v1, v17
                                        ; implicit-def: $vgpr2
	s_and_saveexec_b64 s[26:27], vcc
	s_xor_b64 s[30:31], exec, s[26:27]
	s_cbranch_execz .LBB4_2916
; %bb.2899:                             ;   in Loop: Header=BB4_2404 Depth=3
	v_and_b32_e32 v2, 0x7fffffff, v5
	v_mov_b32_e32 v3, v17
	v_cmp_gt_u64_e32 vcc, s[78:79], v[2:3]
	v_and_b32_sdwa v3, v5, s96 dst_sel:DWORD dst_unused:UNUSED_PAD src0_sel:BYTE_3 src1_sel:DWORD
                                        ; implicit-def: $vgpr2
	s_and_saveexec_b64 s[26:27], vcc
	s_xor_b64 s[34:35], exec, s[26:27]
	s_cbranch_execz .LBB4_2913
; %bb.2900:                             ;   in Loop: Header=BB4_2404 Depth=3
	v_cmp_ne_u32_e32 vcc, 0, v5
	v_mov_b32_e32 v2, 0
	s_and_saveexec_b64 s[36:37], vcc
	s_cbranch_execz .LBB4_2912
; %bb.2901:                             ;   in Loop: Header=BB4_2404 Depth=3
	v_bfe_u32 v5, v5, 23, 8
	v_cmp_gt_u32_e64 s[26:27], s46, v5
	v_sub_u32_e32 v2, 0x71, v5
	v_cmp_eq_u32_e32 vcc, 0, v5
	v_cndmask_b32_e64 v2, 0, v2, s[26:27]
	v_mov_b32_e32 v19, 0x70
	v_cndmask_b32_e32 v19, v2, v19, vcc
	v_add_u32_e32 v2, 21, v19
	v_or_b32_e32 v28, 0x800000, v0
	v_lshlrev_b64 v[35:36], v2, -1
	v_cndmask_b32_e32 v0, v28, v0, vcc
	v_add_u32_e32 v2, 20, v19
	v_bfi_b32 v35, v35, 0, v0
	v_lshlrev_b64 v[37:38], v2, 1
	v_lshrrev_b64 v[0:1], v19, v[0:1]
	v_bfi_b32 v36, v36, 0, 0
	v_cmp_eq_u64_e64 s[26:27], v[35:36], v[37:38]
	v_mov_b32_e32 v2, v1
	v_mov_b32_e32 v1, v0
	s_and_saveexec_b64 s[38:39], s[26:27]
; %bb.2902:                             ;   in Loop: Header=BB4_2404 Depth=3
	v_bfe_u32 v1, v0, 21, 1
	v_add_co_u32_e64 v1, s[26:27], v0, v1
	v_add_co_u32_e64 v1, s[26:27], -1, v1
; %bb.2903:                             ;   in Loop: Header=BB4_2404 Depth=3
	s_or_b64 exec, exec, s[38:39]
	v_add_u32_e32 v2, 0xffffff81, v5
	v_mov_b32_e32 v5, 0xffffff82
	v_cndmask_b32_e32 v2, v2, v5, vcc
	v_lshrrev_b32_e32 v5, 23, v0
	v_add3_u32 v19, v19, v2, v5
	v_add_u32_e32 v2, 14, v19
	v_and_b32_e32 v1, 0x1fffff, v1
	v_add_u32_e32 v0, v1, v0
	v_mov_b32_e32 v1, v17
	v_cmp_ne_u32_e32 vcc, 0, v2
                                        ; implicit-def: $vgpr5
	s_and_saveexec_b64 s[26:27], vcc
	s_xor_b64 s[26:27], exec, s[26:27]
; %bb.2904:                             ;   in Loop: Header=BB4_2404 Depth=3
	v_cmp_lt_u64_e32 vcc, s[88:89], v[0:1]
	v_add_u32_e32 v5, 15, v19
	v_cndmask_b32_e32 v5, v2, v5, vcc
	v_cndmask_b32_e64 v2, 0, 1, vcc
	v_lshrrev_b64 v[0:1], v2, v[0:1]
; %bb.2905:                             ;   in Loop: Header=BB4_2404 Depth=3
	s_andn2_saveexec_b64 s[26:27], s[26:27]
; %bb.2906:                             ;   in Loop: Header=BB4_2404 Depth=3
	v_bfe_u32 v5, v0, 23, 1
; %bb.2907:                             ;   in Loop: Header=BB4_2404 Depth=3
	s_or_b64 exec, exec, s[26:27]
	v_lshrrev_b64 v[0:1], 21, v[0:1]
	v_cmp_gt_i32_e32 vcc, 32, v5
	v_cndmask_b32_e32 v1, 0, v1, vcc
	v_cndmask_b32_e32 v0, 3, v0, vcc
	v_cmp_ne_u64_e32 vcc, 0, v[0:1]
	v_cmp_ne_u32_e64 s[26:27], 0, v5
	s_or_b64 s[26:27], s[26:27], vcc
                                        ; implicit-def: $vgpr2
	s_and_saveexec_b64 vcc, s[26:27]
	s_xor_b64 s[26:27], exec, vcc
; %bb.2908:                             ;   in Loop: Header=BB4_2404 Depth=3
	v_min_i32_e32 v1, 31, v5
	v_lshl_or_b32 v1, v1, 2, v3
	v_and_or_b32 v2, v0, 3, v1
                                        ; implicit-def: $vgpr3
; %bb.2909:                             ;   in Loop: Header=BB4_2404 Depth=3
	s_andn2_saveexec_b64 s[26:27], s[26:27]
; %bb.2910:                             ;   in Loop: Header=BB4_2404 Depth=3
	v_mov_b32_e32 v2, v3
; %bb.2911:                             ;   in Loop: Header=BB4_2404 Depth=3
	s_or_b64 exec, exec, s[26:27]
.LBB4_2912:                             ;   in Loop: Header=BB4_2404 Depth=3
	s_or_b64 exec, exec, s[36:37]
                                        ; implicit-def: $vgpr3
.LBB4_2913:                             ;   in Loop: Header=BB4_2404 Depth=3
	s_andn2_saveexec_b64 s[26:27], s[34:35]
; %bb.2914:                             ;   in Loop: Header=BB4_2404 Depth=3
	v_or_b32_e32 v2, 0x7b, v3
; %bb.2915:                             ;   in Loop: Header=BB4_2404 Depth=3
	s_or_b64 exec, exec, s[26:27]
                                        ; implicit-def: $vgpr5
                                        ; implicit-def: $vgpr0_vgpr1
.LBB4_2916:                             ;   in Loop: Header=BB4_2404 Depth=3
	s_andn2_saveexec_b64 s[26:27], s[30:31]
	s_cbranch_execz .LBB4_2403
; %bb.2917:                             ;   in Loop: Header=BB4_2404 Depth=3
	v_cmp_ne_u64_e32 vcc, 0, v[0:1]
                                        ; implicit-def: $vgpr2
	s_and_saveexec_b64 s[30:31], vcc
	s_xor_b64 vcc, exec, s[30:31]
; %bb.2918:                             ;   in Loop: Header=BB4_2404 Depth=3
	v_or_b32_sdwa v2, v5, s47 dst_sel:DWORD dst_unused:UNUSED_PAD src0_sel:BYTE_3 src1_sel:DWORD
                                        ; implicit-def: $vgpr5
; %bb.2919:                             ;   in Loop: Header=BB4_2404 Depth=3
	s_andn2_saveexec_b64 s[30:31], vcc
	s_cbranch_execz .LBB4_2402
; %bb.2920:                             ;   in Loop: Header=BB4_2404 Depth=3
	v_cmp_lt_i32_e32 vcc, -1, v5
	v_cndmask_b32_e32 v2, -4, v52, vcc
	s_branch .LBB4_2402
.LBB4_2921:                             ;   in Loop: Header=BB4_57 Depth=2
	s_or_b64 exec, exec, s[94:95]
.LBB4_2922:                             ;   in Loop: Header=BB4_57 Depth=2
	s_or_b64 exec, exec, s[40:41]
	v_lshlrev_b32_e32 v0, 10, v13
	v_cmp_ne_u32_e32 vcc, v9, v0
	s_and_b64 exec, exec, vcc
	s_cbranch_execz .LBB4_2964
; %bb.2923:                             ;   in Loop: Header=BB4_57 Depth=2
	v_lshlrev_b32_e32 v1, 6, v11
	v_sub_u32_e32 v1, v10, v1
	v_lshlrev_b32_e32 v2, 6, v12
	v_sub_u32_e32 v1, v1, v2
	v_add_u32_e32 v0, v0, v1
	v_sub_u32_e32 v7, v9, v0
	v_cmp_lt_i32_e32 vcc, 0, v7
	s_and_b64 exec, exec, vcc
	s_cbranch_execz .LBB4_2964
; %bb.2924:                             ;   in Loop: Header=BB4_57 Depth=2
	v_add_u32_e32 v8, v0, v8
	s_trap 2
	ds_read_b64 v[0:1], v0
	v_ashrrev_i32_e32 v9, 31, v8
	s_mov_b64 s[40:41], 0
	s_branch .LBB4_2927
.LBB4_2925:                             ;   in Loop: Header=BB4_2927 Depth=3
	s_or_b64 exec, exec, s[94:95]
.LBB4_2926:                             ;   in Loop: Header=BB4_2927 Depth=3
	s_or_b64 exec, exec, s[26:27]
	flat_store_byte v[2:3], v6 glc slc
	buffer_load_dword v2, off, s[0:3], s33 offset:108 ; 4-byte Folded Reload
	s_waitcnt vmcnt(0)
	v_sub_u32_e32 v7, v7, v2
	v_cmp_gt_i32_e32 vcc, 1, v7
	s_or_b64 s[40:41], vcc, s[40:41]
	v_add_co_u32_e32 v8, vcc, v8, v2
	v_addc_co_u32_e32 v9, vcc, 0, v9, vcc
	s_andn2_b64 exec, exec, s[40:41]
	s_cbranch_execz .LBB4_2964
.LBB4_2927:                             ;   Parent Loop BB4_47 Depth=1
                                        ;     Parent Loop BB4_57 Depth=2
                                        ; =>    This Inner Loop Header: Depth=3
	s_trap 2
	s_waitcnt lgkmcnt(0)
	ds_read_b64 v[2:3], v0
	v_mov_b32_e32 v5, 0
	v_mov_b32_e32 v6, 0
	s_waitcnt lgkmcnt(0)
	v_cmp_eq_u32_sdwa s[94:95], v2, v17 src0_sel:BYTE_0 src1_sel:DWORD
	v_readfirstlane_b32 s26, v2
	v_readfirstlane_b32 s27, v3
	s_and_b64 vcc, exec, s[94:95]
	s_cbranch_vccnz .LBB4_2933
; %bb.2928:                             ;   in Loop: Header=BB4_2927 Depth=3
	s_bfe_i32 vcc_lo, s26, 0x80000
	s_and_b32 s94, 0xffff, vcc_lo
	s_cmpk_eq_u32 s94, 0xff80
	v_bfrev_b32_e32 v6, 1
	s_cbranch_scc1 .LBB4_2933
; %bb.2929:                             ;   in Loop: Header=BB4_2927 Depth=3
	s_and_b32 s30, s26, 3
	s_and_b32 vcc_hi, s26, 0x7c
	s_mov_b64 s[94:95], -1
	s_cmpk_lg_i32 vcc_hi, 0x7c
	s_sext_i32_i16 s31, vcc_lo
                                        ; implicit-def: $sgpr34
	s_cbranch_scc0 .LBB4_2931
; %bb.2930:                             ;   in Loop: Header=BB4_2927 Depth=3
	s_flbit_i32_b32 s95, s30
	s_min_u32 s95, s95, 32
	s_sub_i32 vcc_lo, s95, 29
	s_bfe_u32 s94, s26, 0x50002
	s_lshl_b64 s[26:27], s[26:27], vcc_lo
	s_sub_i32 s27, 30, s95
	s_and_b32 s26, s26, 3
	s_cmp_eq_u32 s94, 0
	s_cselect_b32 s27, s27, s94
	s_cselect_b32 s26, s26, s30
	s_and_b32 s94, s31, 0x80000000
	s_lshl_b32 s27, s27, 23
	s_add_i32 s27, s27, s94
	s_lshl_b32 s26, s26, 21
	s_or_b32 s26, s27, s26
	s_add_i32 s34, s26, 0x38000000
	s_mov_b64 s[94:95], 0
.LBB4_2931:                             ;   in Loop: Header=BB4_2927 Depth=3
	s_andn2_b64 vcc, exec, s[94:95]
	v_mov_b32_e32 v6, s34
	s_cbranch_vccnz .LBB4_2933
; %bb.2932:                             ;   in Loop: Header=BB4_2927 Depth=3
	s_cmp_eq_u32 s30, 0
	s_cselect_b64 vcc, -1, 0
	s_cmp_gt_i32 s31, -1
	s_cselect_b64 s[26:27], -1, 0
	v_mov_b32_e32 v2, 0xff800000
	v_mov_b32_e32 v3, 0x7f800000
	v_cndmask_b32_e64 v2, v2, v3, s[26:27]
	v_mov_b32_e32 v3, 0x7f800001
	v_cndmask_b32_e32 v6, v3, v2, vcc
.LBB4_2933:                             ;   in Loop: Header=BB4_2927 Depth=3
	v_add_co_u32_e32 v2, vcc, v0, v8
	v_addc_co_u32_e32 v3, vcc, v1, v9, vcc
	flat_load_sbyte v4, v[2:3] glc slc
	s_waitcnt vmcnt(0) lgkmcnt(0)
	v_cmp_ne_u16_e32 vcc, 0, v4
	s_and_saveexec_b64 s[26:27], vcc
	s_cbranch_execz .LBB4_2941
; %bb.2934:                             ;   in Loop: Header=BB4_2927 Depth=3
	v_cmp_ne_u16_e32 vcc, s97, v4
	v_bfrev_b32_e32 v5, 1
	s_and_saveexec_b64 s[94:95], vcc
	s_cbranch_execz .LBB4_2940
; %bb.2935:                             ;   in Loop: Header=BB4_2927 Depth=3
	v_and_b32_e32 v5, 0x7c, v4
	v_and_b32_e32 v10, 3, v4
	v_cmp_ne_u32_e32 vcc, s85, v5
                                        ; implicit-def: $vgpr5
	s_and_saveexec_b64 s[30:31], vcc
	s_xor_b64 s[30:31], exec, s[30:31]
	s_cbranch_execz .LBB4_2937
; %bb.2936:                             ;   in Loop: Header=BB4_2927 Depth=3
	v_and_b32_e32 v11, 0xff, v4
	v_bfe_u32 v13, v11, 2, 5
	v_ffbh_u32_e32 v11, v10
	v_min_u32_e32 v14, 32, v11
	v_mov_b32_e32 v5, v17
	v_subrev_u32_e32 v11, 29, v14
	v_lshlrev_b64 v[11:12], v11, v[4:5]
	v_sub_u32_e32 v5, 30, v14
	v_cmp_eq_u32_e32 vcc, 0, v13
	v_and_b32_e32 v11, 3, v11
	v_cndmask_b32_e32 v5, v13, v5, vcc
	v_and_b32_sdwa v4, sext(v4), s86 dst_sel:DWORD dst_unused:UNUSED_PAD src0_sel:WORD_0 src1_sel:DWORD
	v_cndmask_b32_e32 v10, v10, v11, vcc
	v_lshl_add_u32 v4, v5, 23, v4
	v_lshl_or_b32 v4, v10, 21, v4
	v_add_u32_e32 v5, 0x38000000, v4
                                        ; implicit-def: $vgpr10
                                        ; implicit-def: $vgpr4
.LBB4_2937:                             ;   in Loop: Header=BB4_2927 Depth=3
	s_andn2_saveexec_b64 s[30:31], s[30:31]
; %bb.2938:                             ;   in Loop: Header=BB4_2927 Depth=3
	v_cmp_lt_i16_e32 vcc, -1, v4
	v_mov_b32_e32 v4, 0xff800000
	v_mov_b32_e32 v5, 0x7f800000
	v_cndmask_b32_e32 v4, v4, v5, vcc
	v_cmp_eq_u32_e32 vcc, 0, v10
	v_mov_b32_e32 v5, 0x7f800001
	v_cndmask_b32_e32 v5, v5, v4, vcc
; %bb.2939:                             ;   in Loop: Header=BB4_2927 Depth=3
	s_or_b64 exec, exec, s[30:31]
.LBB4_2940:                             ;   in Loop: Header=BB4_2927 Depth=3
	s_or_b64 exec, exec, s[94:95]
.LBB4_2941:                             ;   in Loop: Header=BB4_2927 Depth=3
	s_or_b64 exec, exec, s[26:27]
	v_mul_f32_e32 v11, v6, v5
	v_and_b32_e32 v5, 0x7f800000, v11
	v_mov_b32_e32 v6, v17
	v_cmp_ne_u64_e32 vcc, s[76:77], v[5:6]
	v_and_b32_e32 v4, 0x7fffff, v11
	v_mov_b32_e32 v5, v17
                                        ; implicit-def: $vgpr6
	s_and_saveexec_b64 s[26:27], vcc
	s_xor_b64 s[94:95], exec, s[26:27]
	s_cbranch_execz .LBB4_2959
; %bb.2942:                             ;   in Loop: Header=BB4_2927 Depth=3
	v_and_b32_e32 v12, 0x7fffffff, v11
	v_mov_b32_e32 v13, v17
	v_cmp_gt_u64_e32 vcc, s[78:79], v[12:13]
	v_and_b32_sdwa v10, v11, s96 dst_sel:DWORD dst_unused:UNUSED_PAD src0_sel:BYTE_3 src1_sel:DWORD
                                        ; implicit-def: $vgpr6
	s_and_saveexec_b64 s[26:27], vcc
	s_xor_b64 s[30:31], exec, s[26:27]
	s_cbranch_execz .LBB4_2956
; %bb.2943:                             ;   in Loop: Header=BB4_2927 Depth=3
	v_cmp_ne_u32_e32 vcc, 0, v11
	v_mov_b32_e32 v6, 0
	s_and_saveexec_b64 s[34:35], vcc
	s_cbranch_execz .LBB4_2955
; %bb.2944:                             ;   in Loop: Header=BB4_2927 Depth=3
	v_bfe_u32 v11, v11, 23, 8
	v_cmp_gt_u32_e64 s[26:27], s46, v11
	v_sub_u32_e32 v6, 0x71, v11
	v_cmp_eq_u32_e32 vcc, 0, v11
	v_cndmask_b32_e64 v6, 0, v6, s[26:27]
	v_mov_b32_e32 v12, 0x70
	v_cndmask_b32_e32 v12, v6, v12, vcc
	v_or_b32_e32 v13, 0x800000, v4
	v_add_u32_e32 v6, 21, v12
	v_cndmask_b32_e32 v4, v13, v4, vcc
	v_lshlrev_b64 v[13:14], v6, -1
	v_add_u32_e32 v6, 20, v12
	v_bfi_b32 v13, v13, 0, v4
	v_lshlrev_b64 v[15:16], v6, 1
	v_lshrrev_b64 v[4:5], v12, v[4:5]
	v_bfi_b32 v14, v14, 0, 0
	v_cmp_eq_u64_e64 s[26:27], v[13:14], v[15:16]
	v_mov_b32_e32 v6, v5
	v_mov_b32_e32 v5, v4
	s_and_saveexec_b64 s[36:37], s[26:27]
; %bb.2945:                             ;   in Loop: Header=BB4_2927 Depth=3
	v_bfe_u32 v5, v4, 21, 1
	v_add_co_u32_e64 v5, s[26:27], v4, v5
	v_add_co_u32_e64 v5, s[26:27], -1, v5
; %bb.2946:                             ;   in Loop: Header=BB4_2927 Depth=3
	s_or_b64 exec, exec, s[36:37]
	v_add_u32_e32 v6, 0xffffff81, v11
	v_mov_b32_e32 v11, 0xffffff82
	v_cndmask_b32_e32 v6, v6, v11, vcc
	v_lshrrev_b32_e32 v11, 23, v4
	v_add3_u32 v12, v12, v6, v11
	v_add_u32_e32 v6, 14, v12
	v_and_b32_e32 v5, 0x1fffff, v5
	v_add_u32_e32 v4, v5, v4
	v_mov_b32_e32 v5, v17
	v_cmp_ne_u32_e32 vcc, 0, v6
                                        ; implicit-def: $vgpr11
	s_and_saveexec_b64 s[26:27], vcc
	s_xor_b64 s[26:27], exec, s[26:27]
; %bb.2947:                             ;   in Loop: Header=BB4_2927 Depth=3
	v_cmp_lt_u64_e32 vcc, s[88:89], v[4:5]
	v_add_u32_e32 v11, 15, v12
	v_cndmask_b32_e32 v11, v6, v11, vcc
	v_cndmask_b32_e64 v6, 0, 1, vcc
	v_lshrrev_b64 v[4:5], v6, v[4:5]
; %bb.2948:                             ;   in Loop: Header=BB4_2927 Depth=3
	s_andn2_saveexec_b64 s[26:27], s[26:27]
; %bb.2949:                             ;   in Loop: Header=BB4_2927 Depth=3
	v_bfe_u32 v11, v4, 23, 1
; %bb.2950:                             ;   in Loop: Header=BB4_2927 Depth=3
	s_or_b64 exec, exec, s[26:27]
	v_lshrrev_b64 v[4:5], 21, v[4:5]
	v_cmp_gt_i32_e32 vcc, 32, v11
	v_cndmask_b32_e32 v5, 0, v5, vcc
	v_cndmask_b32_e32 v4, 3, v4, vcc
	v_cmp_ne_u64_e32 vcc, 0, v[4:5]
	v_cmp_ne_u32_e64 s[26:27], 0, v11
	s_or_b64 s[26:27], s[26:27], vcc
                                        ; implicit-def: $vgpr6
	s_and_saveexec_b64 vcc, s[26:27]
	s_xor_b64 s[26:27], exec, vcc
; %bb.2951:                             ;   in Loop: Header=BB4_2927 Depth=3
	v_min_i32_e32 v5, 31, v11
	v_lshl_or_b32 v5, v5, 2, v10
	v_and_or_b32 v6, v4, 3, v5
                                        ; implicit-def: $vgpr10
; %bb.2952:                             ;   in Loop: Header=BB4_2927 Depth=3
	s_andn2_saveexec_b64 s[26:27], s[26:27]
; %bb.2953:                             ;   in Loop: Header=BB4_2927 Depth=3
	v_mov_b32_e32 v6, v10
; %bb.2954:                             ;   in Loop: Header=BB4_2927 Depth=3
	s_or_b64 exec, exec, s[26:27]
.LBB4_2955:                             ;   in Loop: Header=BB4_2927 Depth=3
	s_or_b64 exec, exec, s[34:35]
                                        ; implicit-def: $vgpr10
.LBB4_2956:                             ;   in Loop: Header=BB4_2927 Depth=3
	s_andn2_saveexec_b64 s[26:27], s[30:31]
; %bb.2957:                             ;   in Loop: Header=BB4_2927 Depth=3
	v_or_b32_e32 v6, 0x7b, v10
; %bb.2958:                             ;   in Loop: Header=BB4_2927 Depth=3
	s_or_b64 exec, exec, s[26:27]
                                        ; implicit-def: $vgpr11
                                        ; implicit-def: $vgpr4_vgpr5
.LBB4_2959:                             ;   in Loop: Header=BB4_2927 Depth=3
	s_andn2_saveexec_b64 s[26:27], s[94:95]
	s_cbranch_execz .LBB4_2926
; %bb.2960:                             ;   in Loop: Header=BB4_2927 Depth=3
	v_cmp_ne_u64_e32 vcc, 0, v[4:5]
                                        ; implicit-def: $vgpr6
	s_and_saveexec_b64 s[94:95], vcc
	s_xor_b64 s[94:95], exec, s[94:95]
; %bb.2961:                             ;   in Loop: Header=BB4_2927 Depth=3
	v_or_b32_sdwa v6, v11, s47 dst_sel:DWORD dst_unused:UNUSED_PAD src0_sel:BYTE_3 src1_sel:DWORD
                                        ; implicit-def: $vgpr11
; %bb.2962:                             ;   in Loop: Header=BB4_2927 Depth=3
	s_andn2_saveexec_b64 s[94:95], s[94:95]
	s_cbranch_execz .LBB4_2925
; %bb.2963:                             ;   in Loop: Header=BB4_2927 Depth=3
	v_cmp_lt_i32_e32 vcc, -1, v11
	v_cndmask_b32_e32 v6, -4, v52, vcc
	s_branch .LBB4_2925
.LBB4_2964:                             ;   in Loop: Header=BB4_57 Depth=2
	s_or_b64 exec, exec, s[28:29]
	v_cmp_lt_i32_e64 s[26:27], 0, v51
	s_and_saveexec_b64 s[28:29], s[12:13]
	s_cbranch_execz .LBB4_128
.LBB4_2965:                             ;   in Loop: Header=BB4_57 Depth=2
	s_and_saveexec_b64 s[40:41], s[58:59]
	s_xor_b64 s[40:41], exec, s[40:41]
	s_cbranch_execz .LBB4_2980
; %bb.2966:                             ;   in Loop: Header=BB4_57 Depth=2
	s_and_saveexec_b64 s[94:95], s[6:7]
	s_cbranch_execz .LBB4_2979
; %bb.2967:                             ;   in Loop: Header=BB4_57 Depth=2
	s_mov_b64 s[34:35], exec
	v_mbcnt_lo_u32_b32 v0, s34, 0
	v_mbcnt_hi_u32_b32 v0, s35, v0
	v_cmp_eq_u32_e32 vcc, 0, v0
	s_waitcnt vmcnt(0) lgkmcnt(0)
	buffer_wbinvl1_vol
	s_and_saveexec_b64 s[30:31], vcc
	s_cbranch_execz .LBB4_2969
; %bb.2968:                             ;   in Loop: Header=BB4_57 Depth=2
	s_bcnt1_i32_b64 vcc_lo, s[34:35]
	v_mov_b32_e32 v0, vcc_lo
	v_mov_b32_e32 v1, v17
	ds_add_u64 v0, v[0:1]
	s_trap 2
.LBB4_2969:                             ;   in Loop: Header=BB4_57 Depth=2
	s_or_b64 exec, exec, s[30:31]
	s_trap 2
	ds_read_b64 v[0:1], v0
	s_waitcnt lgkmcnt(0)
	buffer_load_dword v2, off, s[0:3], s33 offset:76 ; 4-byte Folded Reload
	buffer_load_dword v3, off, s[0:3], s33 offset:80 ; 4-byte Folded Reload
	;; [unrolled: 1-line block ×3, first 2 shown]
	s_waitcnt vmcnt(0)
	v_add_co_u32_e32 v2, vcc, v2, v4
	v_addc_co_u32_e32 v3, vcc, 0, v3, vcc
	buffer_store_dword v2, off, s[0:3], s33 offset:76 ; 4-byte Folded Spill
	s_nop 0
	buffer_store_dword v3, off, s[0:3], s33 offset:80 ; 4-byte Folded Spill
	v_cmp_lt_u64_e32 vcc, v[0:1], v[2:3]
	s_and_saveexec_b64 s[30:31], vcc
	s_cbranch_execz .LBB4_2978
; %bb.2970:                             ;   in Loop: Header=BB4_57 Depth=2
	s_mov_b32 s52, 0
	s_mov_b64 s[34:35], 0
                                        ; implicit-def: $sgpr36_sgpr37
                                        ; implicit-def: $sgpr38_sgpr39
	s_branch .LBB4_2972
.LBB4_2971:                             ;   in Loop: Header=BB4_2972 Depth=3
	s_or_b64 exec, exec, s[50:51]
	s_and_b64 vcc, exec, vcc
	s_or_b64 s[34:35], vcc, s[34:35]
	s_andn2_b64 vcc, s[36:37], exec
	s_and_b64 s[36:37], s[38:39], exec
	s_or_b64 s[36:37], vcc, s[36:37]
	s_andn2_b64 exec, exec, s[34:35]
	s_cbranch_execz .LBB4_2976
.LBB4_2972:                             ;   Parent Loop BB4_47 Depth=1
                                        ;     Parent Loop BB4_57 Depth=2
                                        ; =>    This Inner Loop Header: Depth=3
	s_add_i32 s52, s52, 1
	s_cmpk_lg_i32 s52, 0x2710
	s_cselect_b64 s[48:49], -1, 0
	s_and_b64 vcc, exec, s[48:49]
	s_cbranch_vccz .LBB4_2974
; %bb.2973:                             ;   in Loop: Header=BB4_2972 Depth=3
	s_mov_b64 vcc, -1
	s_or_b64 s[38:39], s[38:39], exec
	s_and_saveexec_b64 s[50:51], s[48:49]
	s_cbranch_execz .LBB4_2971
	s_branch .LBB4_2975
.LBB4_2974:                             ;   in Loop: Header=BB4_2972 Depth=3
	s_trap 2
	ds_read_b64 v[0:1], v0
	s_andn2_b64 s[48:49], s[48:49], exec
	s_mov_b32 s52, 0
	s_waitcnt vmcnt(0) lgkmcnt(0)
	flat_load_dword v0, v[0:1] glc
	s_waitcnt vmcnt(0) lgkmcnt(0)
	buffer_wbinvl1_vol
	v_cmp_eq_u32_e32 vcc, 0, v0
	s_and_b64 vcc, vcc, exec
	s_or_b64 s[48:49], s[48:49], vcc
	s_mov_b64 vcc, -1
	s_or_b64 s[38:39], s[38:39], exec
	s_and_saveexec_b64 s[50:51], s[48:49]
	s_cbranch_execz .LBB4_2971
.LBB4_2975:                             ;   in Loop: Header=BB4_2972 Depth=3
	s_sleep 1
	s_trap 2
	ds_read_b64 v[0:1], v0
	s_waitcnt lgkmcnt(0)
	buffer_load_dword v2, off, s[0:3], s33 offset:76 ; 4-byte Folded Reload
	buffer_load_dword v3, off, s[0:3], s33 offset:80 ; 4-byte Folded Reload
	s_andn2_b64 s[38:39], s[38:39], exec
	s_waitcnt vmcnt(0)
	v_cmp_ge_u64_e32 vcc, v[0:1], v[2:3]
	s_orn2_b64 vcc, vcc, exec
	s_branch .LBB4_2971
.LBB4_2976:                             ;   in Loop: Header=BB4_57 Depth=2
	s_or_b64 exec, exec, s[34:35]
	s_and_saveexec_b64 vcc, s[36:37]
	s_xor_b64 vcc, exec, vcc
	s_cbranch_execz .LBB4_2978
; %bb.2977:                             ;   in Loop: Header=BB4_57 Depth=2
	v_mov_b32_e32 v0, 1
	ds_write_b32 v0, v0
	s_trap 2
.LBB4_2978:                             ;   in Loop: Header=BB4_57 Depth=2
	s_or_b64 exec, exec, s[30:31]
	;;#ASMSTART
	s_wakeup
	;;#ASMEND
.LBB4_2979:                             ;   in Loop: Header=BB4_57 Depth=2
	s_or_b64 exec, exec, s[94:95]
.LBB4_2980:                             ;   in Loop: Header=BB4_57 Depth=2
	s_andn2_saveexec_b64 s[40:41], s[40:41]
	s_cbranch_execz .LBB4_2982
; %bb.2981:                             ;   in Loop: Header=BB4_57 Depth=2
	s_waitcnt vmcnt(0) lgkmcnt(0)
	buffer_wbinvl1_vol
	s_barrier
.LBB4_2982:                             ;   in Loop: Header=BB4_57 Depth=2
	s_or_b64 exec, exec, s[40:41]
	s_or_b64 exec, exec, s[28:29]
                                        ; implicit-def: $vgpr0
	s_and_saveexec_b64 s[28:29], s[18:19]
	s_xor_b64 s[28:29], exec, s[28:29]
	s_cbranch_execnz .LBB4_129
.LBB4_2983:                             ;   in Loop: Header=BB4_57 Depth=2
	s_andn2_saveexec_b64 s[26:27], s[28:29]
	s_cbranch_execz .LBB4_132
.LBB4_2984:                             ;   in Loop: Header=BB4_57 Depth=2
	s_and_saveexec_b64 s[28:29], s[58:59]
	s_xor_b64 s[28:29], exec, s[28:29]
	s_cbranch_execz .LBB4_2999
; %bb.2985:                             ;   in Loop: Header=BB4_57 Depth=2
	s_and_saveexec_b64 s[40:41], s[6:7]
	s_cbranch_execz .LBB4_2998
; %bb.2986:                             ;   in Loop: Header=BB4_57 Depth=2
	s_mov_b64 s[30:31], exec
	v_mbcnt_lo_u32_b32 v0, s30, 0
	v_mbcnt_hi_u32_b32 v0, s31, v0
	v_cmp_eq_u32_e32 vcc, 0, v0
	;;#ASMSTART
	s_waitcnt lgkmcnt(0) vmcnt(0)
	;;#ASMEND
	s_and_saveexec_b64 s[94:95], vcc
	s_cbranch_execz .LBB4_2988
; %bb.2987:                             ;   in Loop: Header=BB4_57 Depth=2
	s_bcnt1_i32_b64 vcc_lo, s[30:31]
	v_mov_b32_e32 v0, vcc_lo
	v_mov_b32_e32 v1, v17
	s_waitcnt lgkmcnt(0)
	ds_add_u64 v0, v[0:1]
	s_trap 2
.LBB4_2988:                             ;   in Loop: Header=BB4_57 Depth=2
	s_or_b64 exec, exec, s[94:95]
	s_trap 2
	ds_read_b64 v[0:1], v0
	s_waitcnt lgkmcnt(0)
	buffer_load_dword v2, off, s[0:3], s33 offset:76 ; 4-byte Folded Reload
	buffer_load_dword v3, off, s[0:3], s33 offset:80 ; 4-byte Folded Reload
	;; [unrolled: 1-line block ×3, first 2 shown]
	s_waitcnt vmcnt(0)
	v_add_co_u32_e32 v2, vcc, v2, v4
	v_addc_co_u32_e32 v3, vcc, 0, v3, vcc
	buffer_store_dword v2, off, s[0:3], s33 offset:76 ; 4-byte Folded Spill
	s_nop 0
	buffer_store_dword v3, off, s[0:3], s33 offset:80 ; 4-byte Folded Spill
	v_cmp_lt_u64_e32 vcc, v[0:1], v[2:3]
	s_and_saveexec_b64 s[94:95], vcc
	s_cbranch_execz .LBB4_2997
; %bb.2989:                             ;   in Loop: Header=BB4_57 Depth=2
	s_mov_b32 s50, 0
	s_mov_b64 s[30:31], 0
                                        ; implicit-def: $sgpr34_sgpr35
                                        ; implicit-def: $sgpr36_sgpr37
	s_branch .LBB4_2991
.LBB4_2990:                             ;   in Loop: Header=BB4_2991 Depth=3
	s_or_b64 exec, exec, s[48:49]
	s_and_b64 vcc, exec, vcc
	s_or_b64 s[30:31], vcc, s[30:31]
	s_andn2_b64 vcc, s[34:35], exec
	s_and_b64 s[34:35], s[36:37], exec
	s_or_b64 s[34:35], vcc, s[34:35]
	s_andn2_b64 exec, exec, s[30:31]
	s_cbranch_execz .LBB4_2995
.LBB4_2991:                             ;   Parent Loop BB4_47 Depth=1
                                        ;     Parent Loop BB4_57 Depth=2
                                        ; =>    This Inner Loop Header: Depth=3
	s_add_i32 s50, s50, 1
	s_cmpk_lg_i32 s50, 0x2710
	s_cselect_b64 s[38:39], -1, 0
	s_and_b64 vcc, exec, s[38:39]
	s_cbranch_vccz .LBB4_2993
; %bb.2992:                             ;   in Loop: Header=BB4_2991 Depth=3
	s_mov_b64 vcc, -1
	s_or_b64 s[36:37], s[36:37], exec
	s_and_saveexec_b64 s[48:49], s[38:39]
	s_cbranch_execz .LBB4_2990
	s_branch .LBB4_2994
.LBB4_2993:                             ;   in Loop: Header=BB4_2991 Depth=3
	s_trap 2
	ds_read_b64 v[0:1], v0
	s_andn2_b64 s[38:39], s[38:39], exec
	s_mov_b32 s50, 0
	s_waitcnt vmcnt(0) lgkmcnt(0)
	flat_load_dword v0, v[0:1] glc
	s_waitcnt vmcnt(0) lgkmcnt(0)
	buffer_wbinvl1_vol
	v_cmp_eq_u32_e32 vcc, 0, v0
	s_and_b64 vcc, vcc, exec
	s_or_b64 s[38:39], s[38:39], vcc
	s_mov_b64 vcc, -1
	s_or_b64 s[36:37], s[36:37], exec
	s_and_saveexec_b64 s[48:49], s[38:39]
	s_cbranch_execz .LBB4_2990
.LBB4_2994:                             ;   in Loop: Header=BB4_2991 Depth=3
	s_sleep 1
	s_trap 2
	ds_read_b64 v[0:1], v0
	s_waitcnt lgkmcnt(0)
	buffer_load_dword v2, off, s[0:3], s33 offset:76 ; 4-byte Folded Reload
	buffer_load_dword v3, off, s[0:3], s33 offset:80 ; 4-byte Folded Reload
	s_andn2_b64 s[36:37], s[36:37], exec
	s_waitcnt vmcnt(0)
	v_cmp_ge_u64_e32 vcc, v[0:1], v[2:3]
	s_orn2_b64 vcc, vcc, exec
	s_branch .LBB4_2990
.LBB4_2995:                             ;   in Loop: Header=BB4_57 Depth=2
	s_or_b64 exec, exec, s[30:31]
	s_and_saveexec_b64 vcc, s[34:35]
	s_xor_b64 vcc, exec, vcc
	s_cbranch_execz .LBB4_2997
; %bb.2996:                             ;   in Loop: Header=BB4_57 Depth=2
	v_mov_b32_e32 v0, 1
	ds_write_b32 v0, v0
	s_trap 2
.LBB4_2997:                             ;   in Loop: Header=BB4_57 Depth=2
	s_or_b64 exec, exec, s[94:95]
	;;#ASMSTART
	s_wakeup
	;;#ASMEND
.LBB4_2998:                             ;   in Loop: Header=BB4_57 Depth=2
	s_or_b64 exec, exec, s[40:41]
.LBB4_2999:                             ;   in Loop: Header=BB4_57 Depth=2
	s_andn2_saveexec_b64 s[28:29], s[28:29]
	s_cbranch_execz .LBB4_3001
; %bb.3000:                             ;   in Loop: Header=BB4_57 Depth=2
	;;#ASMSTART
	s_waitcnt lgkmcnt(0) vmcnt(0)
	;;#ASMEND
	s_waitcnt vmcnt(0) lgkmcnt(0)
	s_barrier
.LBB4_3001:                             ;   in Loop: Header=BB4_57 Depth=2
	s_or_b64 exec, exec, s[28:29]
	buffer_load_dword v0, off, s[0:3], s33 offset:72 ; 4-byte Folded Reload
	s_waitcnt vmcnt(0)
	v_and_b32_e32 v0, 16, v0
	s_or_b64 exec, exec, s[26:27]
	v_cmp_ne_u32_e32 vcc, 0, v0
	s_and_saveexec_b64 s[26:27], vcc
	s_cbranch_execz .LBB4_56
.LBB4_3002:                             ;   in Loop: Header=BB4_57 Depth=2
	s_and_saveexec_b64 s[28:29], s[22:23]
	s_cbranch_execz .LBB4_55
; %bb.3003:                             ;   in Loop: Header=BB4_57 Depth=2
	buffer_load_dword v0, off, s[0:3], s33 offset:140 ; 4-byte Folded Reload
	buffer_load_dword v1, off, s[0:3], s33 offset:144 ; 4-byte Folded Reload
	v_mov_b32_e32 v2, 1
	s_waitcnt vmcnt(0)
	flat_store_dword v[0:1], v2
	s_branch .LBB4_55
.LBB4_3004:                             ;   in Loop: Header=BB4_47 Depth=1
	s_or_b64 exec, exec, s[90:91]
.LBB4_3005:                             ;   in Loop: Header=BB4_47 Depth=1
	s_or_b64 exec, exec, s[42:43]
	v_cmp_gt_i32_e32 vcc, 2, v0
	s_and_saveexec_b64 s[28:29], vcc
	s_cbranch_execz .LBB4_3077
; %bb.3006:                             ;   in Loop: Header=BB4_47 Depth=1
	v_cmp_eq_u32_e64 s[42:43], 0, v0
	s_mov_b64 s[40:41], 0
	s_branch .LBB4_3009
.LBB4_3007:                             ;   in Loop: Header=BB4_3009 Depth=2
	s_or_b64 exec, exec, s[42:43]
	buffer_load_dword v2, off, s[0:3], s33 offset:84 ; 4-byte Folded Reload
	buffer_load_dword v3, off, s[0:3], s33 offset:88 ; 4-byte Folded Reload
	;; [unrolled: 1-line block ×4, first 2 shown]
	s_waitcnt vmcnt(0)
	v_add_co_u32_e32 v2, vcc, 2, v2
	v_addc_co_u32_e32 v3, vcc, 0, v3, vcc
	buffer_store_dword v2, off, s[0:3], s33 offset:84 ; 4-byte Folded Spill
	s_nop 0
	buffer_store_dword v3, off, s[0:3], s33 offset:88 ; 4-byte Folded Spill
	flat_store_dwordx2 v[0:1], v[2:3]
.LBB4_3008:                             ;   in Loop: Header=BB4_3009 Depth=2
	s_or_b64 exec, exec, s[26:27]
	v_add_u32_e32 v18, v53, v18
	s_mov_b64 s[42:43], 0
	s_andn2_b64 exec, exec, s[40:41]
	s_cbranch_execz .LBB4_3076
.LBB4_3009:                             ;   Parent Loop BB4_47 Depth=1
                                        ; =>  This Loop Header: Depth=2
                                        ;       Child Loop BB4_3015 Depth 3
                                        ;       Child Loop BB4_3039 Depth 3
                                        ;       Child Loop BB4_3063 Depth 3
	v_sub_u32_e32 v0, v50, v18
	v_min_i32_e32 v53, v53, v0
	buffer_load_dword v0, off, s[0:3], s33 offset:72 ; 4-byte Folded Reload
	s_waitcnt vmcnt(0)
	v_and_b32_e32 v0, 8, v0
	v_cmp_ne_u32_e32 vcc, 0, v0
	s_and_saveexec_b64 s[90:91], vcc
	s_cbranch_execz .LBB4_3031
; %bb.3010:                             ;   in Loop: Header=BB4_3009 Depth=2
	buffer_load_dword v0, off, s[0:3], s33 offset:56 ; 4-byte Folded Reload
	buffer_load_dword v1, off, s[0:3], s33 offset:60 ; 4-byte Folded Reload
	s_waitcnt vmcnt(0)
	v_add_co_u32_e32 v2, vcc, 8, v0
	v_addc_co_u32_e32 v3, vcc, 0, v1, vcc
	buffer_load_dword v0, off, s[0:3], s33 offset:84 ; 4-byte Folded Reload
	buffer_load_dword v1, off, s[0:3], s33 offset:88 ; 4-byte Folded Reload
	s_waitcnt vmcnt(0)
	v_add_co_u32_e32 v0, vcc, 2, v0
	v_addc_co_u32_e32 v1, vcc, 0, v1, vcc
	v_cmp_lt_u64_e32 vcc, v[2:3], v[0:1]
	s_and_saveexec_b64 s[92:93], vcc
	s_cbranch_execz .LBB4_3022
; %bb.3011:                             ;   in Loop: Header=BB4_3009 Depth=2
	buffer_load_dword v2, off, s[0:3], s33 offset:72 ; 4-byte Folded Reload
	s_mov_b32 s8, 0
	s_mov_b64 s[94:95], 0
                                        ; implicit-def: $sgpr30_sgpr31
                                        ; implicit-def: $sgpr34_sgpr35
                                        ; implicit-def: $sgpr36_sgpr37
	s_waitcnt vmcnt(0)
	v_and_b32_e32 v2, 64, v2
	v_cmp_eq_u32_e32 vcc, 0, v2
	s_branch .LBB4_3015
.LBB4_3012:                             ;   in Loop: Header=BB4_3015 Depth=3
	buffer_load_dword v3, off, s[0:3], s33 offset:56 ; 4-byte Folded Reload
	buffer_load_dword v4, off, s[0:3], s33 offset:60 ; 4-byte Folded Reload
	s_or_b64 s[50:51], s[50:51], exec
	s_waitcnt vmcnt(1)
	v_add_co_u32_e64 v3, s[26:27], 8, v3
	s_waitcnt vmcnt(0)
	v_addc_co_u32_e64 v4, s[26:27], 0, v4, s[26:27]
	v_cmp_ge_u64_e64 s[26:27], v[3:4], v[0:1]
	s_orn2_b64 s[48:49], s[26:27], exec
.LBB4_3013:                             ;   in Loop: Header=BB4_3015 Depth=3
	s_or_b64 exec, exec, s[54:55]
	s_andn2_b64 s[26:27], s[36:37], exec
	s_and_b64 s[36:37], s[50:51], exec
	s_or_b64 s[36:37], s[26:27], s[36:37]
	s_andn2_b64 s[26:27], s[34:35], exec
	s_and_b64 s[34:35], s[48:49], exec
	s_or_b64 s[34:35], s[26:27], s[34:35]
.LBB4_3014:                             ;   in Loop: Header=BB4_3015 Depth=3
	s_or_b64 exec, exec, s[38:39]
	s_and_b64 s[26:27], exec, s[34:35]
	s_or_b64 s[94:95], s[26:27], s[94:95]
	s_andn2_b64 s[26:27], s[30:31], exec
	s_and_b64 s[30:31], s[36:37], exec
	s_or_b64 s[30:31], s[26:27], s[30:31]
	s_andn2_b64 exec, exec, s[94:95]
	s_cbranch_execz .LBB4_3019
.LBB4_3015:                             ;   Parent Loop BB4_47 Depth=1
                                        ;     Parent Loop BB4_3009 Depth=2
                                        ; =>    This Inner Loop Header: Depth=3
	s_sleep 1
	buffer_load_dword v2, off, s[0:3], s33 offset:64 ; 4-byte Folded Reload
	buffer_load_dword v3, off, s[0:3], s33 offset:68 ; 4-byte Folded Reload
	s_or_b64 s[36:37], s[36:37], exec
	s_or_b64 s[34:35], s[34:35], exec
	s_waitcnt vmcnt(0)
	flat_load_dwordx2 v[2:3], v[2:3] glc
	s_waitcnt vmcnt(0) lgkmcnt(0)
	buffer_store_dword v2, off, s[0:3], s33 offset:56 ; 4-byte Folded Spill
	s_nop 0
	buffer_store_dword v3, off, s[0:3], s33 offset:60 ; 4-byte Folded Spill
                                        ; implicit-def: $vgpr2
	s_and_saveexec_b64 s[38:39], vcc
	s_cbranch_execz .LBB4_3014
; %bb.3016:                             ;   in Loop: Header=BB4_3015 Depth=3
	s_cmpk_lt_i32 s8, 0x270f
	s_cselect_b64 s[52:53], -1, 0
	s_cmpk_gt_i32 s8, 0x270e
	s_mov_b64 s[48:49], -1
	s_cbranch_scc0 .LBB4_3018
; %bb.3017:                             ;   in Loop: Header=BB4_3015 Depth=3
	s_trap 2
	ds_read_b64 v[2:3], v0
	s_andn2_b64 s[52:53], s[52:53], exec
	s_mov_b32 s8, 0
	s_mov_b64 s[50:51], 0
	s_waitcnt vmcnt(0) lgkmcnt(0)
	flat_load_dword v2, v[2:3] glc
	s_waitcnt vmcnt(0) lgkmcnt(0)
	buffer_wbinvl1_vol
	v_cmp_eq_u32_e64 s[26:27], 0, v2
	s_and_b64 s[26:27], s[26:27], exec
	s_or_b64 s[52:53], s[52:53], s[26:27]
	s_and_saveexec_b64 s[54:55], s[52:53]
	s_cbranch_execz .LBB4_3013
	s_branch .LBB4_3012
.LBB4_3018:                             ;   in Loop: Header=BB4_3015 Depth=3
	s_add_i32 s8, s8, 1
	s_mov_b64 s[50:51], -1
                                        ; implicit-def: $vgpr2
	s_and_saveexec_b64 s[54:55], s[52:53]
	s_cbranch_execz .LBB4_3013
	s_branch .LBB4_3012
.LBB4_3019:                             ;   in Loop: Header=BB4_3009 Depth=2
	s_or_b64 exec, exec, s[94:95]
	s_xor_b64 s[26:27], s[30:31], -1
	s_and_saveexec_b64 s[94:95], s[26:27]
	s_xor_b64 s[26:27], exec, s[94:95]
	s_cbranch_execz .LBB4_3021
; %bb.3020:                             ;   in Loop: Header=BB4_3009 Depth=2
	ds_write_b32 v0, v2
	s_trap 2
	buffer_load_dword v2, off, s[0:3], s33 offset:72 ; 4-byte Folded Reload
	s_waitcnt vmcnt(0)
	v_or_b32_e32 v2, 64, v2
	buffer_store_dword v2, off, s[0:3], s33 offset:72 ; 4-byte Folded Spill
.LBB4_3021:                             ;   in Loop: Header=BB4_3009 Depth=2
	s_or_b64 exec, exec, s[26:27]
.LBB4_3022:                             ;   in Loop: Header=BB4_3009 Depth=2
	s_or_b64 exec, exec, s[92:93]
	;;#ASMSTART
	s_wakeup
	;;#ASMEND
	buffer_load_dword v2, off, s[0:3], s33 offset:72 ; 4-byte Folded Reload
	s_mov_b64 s[26:27], -1
	s_waitcnt vmcnt(0)
	v_and_b32_e32 v2, 0x100, v2
	v_cmp_ne_u32_e32 vcc, 0, v2
	buffer_load_dword v2, off, s[0:3], s33 offset:84 ; 4-byte Folded Reload
	buffer_load_dword v3, off, s[0:3], s33 offset:88 ; 4-byte Folded Reload
	s_waitcnt vmcnt(0)
	v_and_b32_e32 v6, 7, v2
                                        ; implicit-def: $vgpr2_vgpr3
	s_and_saveexec_b64 s[92:93], vcc
	s_cbranch_execz .LBB4_3026
; %bb.3023:                             ;   in Loop: Header=BB4_3009 Depth=2
	buffer_load_dword v2, off, s[0:3], s33 offset:124 ; 4-byte Folded Reload
	buffer_load_dword v3, off, s[0:3], s33 offset:128 ; 4-byte Folded Reload
	;; [unrolled: 1-line block ×4, first 2 shown]
	v_ashrrev_i32_e32 v54, 31, v53
	s_waitcnt vmcnt(0)
	v_mad_u64_u32 v[4:5], s[26:27], v6, 24, v[2:3]
	flat_load_dword v2, v[4:5]
	s_nop 0
	flat_store_dwordx2 v[4:5], v[53:54] offset:8
	s_waitcnt vmcnt(0) lgkmcnt(0)
	v_cmp_ne_u32_e32 vcc, 1, v2
	v_cmp_eq_u32_e64 s[26:27], 1, v2
                                        ; implicit-def: $vgpr2_vgpr3
	s_and_saveexec_b64 s[94:95], s[26:27]
	s_cbranch_execz .LBB4_3025
; %bb.3024:                             ;   in Loop: Header=BB4_3009 Depth=2
	flat_load_dword v2, v[4:5] offset:4 glc
	s_waitcnt vmcnt(0) lgkmcnt(0)
	v_ashrrev_i32_e32 v3, 31, v2
.LBB4_3025:                             ;   in Loop: Header=BB4_3009 Depth=2
	s_or_b64 exec, exec, s[94:95]
	s_orn2_b64 s[26:27], vcc, exec
.LBB4_3026:                             ;   in Loop: Header=BB4_3009 Depth=2
	s_or_b64 exec, exec, s[92:93]
	s_and_saveexec_b64 s[92:93], s[26:27]
	s_cbranch_execz .LBB4_3028
; %bb.3027:                             ;   in Loop: Header=BB4_3009 Depth=2
	buffer_load_dword v2, off, s[0:3], s33 offset:152 ; 4-byte Folded Reload
	s_waitcnt vmcnt(0)
	v_mad_i64_i32 v[2:3], s[26:27], v6, v2, 0
.LBB4_3028:                             ;   in Loop: Header=BB4_3009 Depth=2
	s_or_b64 exec, exec, s[92:93]
	buffer_load_dword v4, off, s[0:3], s33 offset:116 ; 4-byte Folded Reload
	buffer_load_dword v5, off, s[0:3], s33 offset:120 ; 4-byte Folded Reload
	s_waitcnt vmcnt(0)
	v_add_co_u32_e32 v2, vcc, v4, v2
	v_addc_co_u32_e32 v3, vcc, v5, v3, vcc
	ds_write_b64 v0, v[2:3] offset:784
	buffer_load_dword v2, off, s[0:3], s33 offset:72 ; 4-byte Folded Reload
	s_waitcnt vmcnt(0)
	v_and_b32_e32 v2, 0x2000, v2
	v_cmp_ne_u32_e32 vcc, 0, v2
	s_and_saveexec_b64 s[26:27], vcc
	s_cbranch_execz .LBB4_3030
; %bb.3029:                             ;   in Loop: Header=BB4_3009 Depth=2
	ds_read_b64 v[2:3], v0 offset:872
	s_waitcnt lgkmcnt(0)
	v_add_co_u32_e32 v2, vcc, 1, v2
	v_addc_co_u32_e32 v3, vcc, 0, v3, vcc
	ds_write_b64 v0, v[2:3] offset:872
.LBB4_3030:                             ;   in Loop: Header=BB4_3009 Depth=2
	s_or_b64 exec, exec, s[26:27]
	buffer_store_dword v0, off, s[0:3], s33 offset:84 ; 4-byte Folded Spill
	s_nop 0
	buffer_store_dword v1, off, s[0:3], s33 offset:88 ; 4-byte Folded Spill
.LBB4_3031:                             ;   in Loop: Header=BB4_3009 Depth=2
	s_or_b64 exec, exec, s[90:91]
	s_xor_b64 s[26:27], s[42:43], -1
	s_and_b64 s[26:27], exec, s[26:27]
	s_or_b64 s[40:41], s[26:27], s[40:41]
	s_and_saveexec_b64 s[26:27], s[12:13]
	s_cbranch_execz .LBB4_3050
; %bb.3032:                             ;   in Loop: Header=BB4_3009 Depth=2
	s_and_saveexec_b64 s[42:43], s[58:59]
	s_xor_b64 s[42:43], exec, s[42:43]
	s_cbranch_execz .LBB4_3047
; %bb.3033:                             ;   in Loop: Header=BB4_3009 Depth=2
	s_and_saveexec_b64 s[90:91], s[6:7]
	s_cbranch_execz .LBB4_3046
; %bb.3034:                             ;   in Loop: Header=BB4_3009 Depth=2
	s_mov_b64 s[94:95], exec
	v_mbcnt_lo_u32_b32 v0, s94, 0
	v_mbcnt_hi_u32_b32 v0, s95, v0
	v_cmp_eq_u32_e32 vcc, 0, v0
	s_waitcnt vmcnt(0) lgkmcnt(0)
	buffer_wbinvl1_vol
	s_and_saveexec_b64 s[92:93], vcc
	s_cbranch_execz .LBB4_3036
; %bb.3035:                             ;   in Loop: Header=BB4_3009 Depth=2
	s_bcnt1_i32_b64 s8, s[94:95]
	v_mov_b32_e32 v0, s8
	v_mov_b32_e32 v1, v17
	ds_add_u64 v0, v[0:1]
	s_trap 2
.LBB4_3036:                             ;   in Loop: Header=BB4_3009 Depth=2
	s_or_b64 exec, exec, s[92:93]
	s_trap 2
	ds_read_b64 v[0:1], v0
	s_waitcnt lgkmcnt(0)
	buffer_load_dword v2, off, s[0:3], s33 offset:76 ; 4-byte Folded Reload
	buffer_load_dword v3, off, s[0:3], s33 offset:80 ; 4-byte Folded Reload
	;; [unrolled: 1-line block ×3, first 2 shown]
	s_waitcnt vmcnt(0)
	v_add_co_u32_e32 v2, vcc, v2, v4
	v_addc_co_u32_e32 v3, vcc, 0, v3, vcc
	buffer_store_dword v2, off, s[0:3], s33 offset:76 ; 4-byte Folded Spill
	s_nop 0
	buffer_store_dword v3, off, s[0:3], s33 offset:80 ; 4-byte Folded Spill
	v_cmp_lt_u64_e32 vcc, v[0:1], v[2:3]
	s_and_saveexec_b64 s[92:93], vcc
	s_cbranch_execz .LBB4_3045
; %bb.3037:                             ;   in Loop: Header=BB4_3009 Depth=2
	s_mov_b32 s8, 0
	s_mov_b64 s[94:95], 0
                                        ; implicit-def: $sgpr30_sgpr31
                                        ; implicit-def: $sgpr34_sgpr35
	s_branch .LBB4_3039
.LBB4_3038:                             ;   in Loop: Header=BB4_3039 Depth=3
	s_or_b64 exec, exec, s[38:39]
	s_and_b64 vcc, exec, vcc
	s_or_b64 s[94:95], vcc, s[94:95]
	s_andn2_b64 vcc, s[30:31], exec
	s_and_b64 s[30:31], s[34:35], exec
	s_or_b64 s[30:31], vcc, s[30:31]
	s_andn2_b64 exec, exec, s[94:95]
	s_cbranch_execz .LBB4_3043
.LBB4_3039:                             ;   Parent Loop BB4_47 Depth=1
                                        ;     Parent Loop BB4_3009 Depth=2
                                        ; =>    This Inner Loop Header: Depth=3
	s_add_i32 s8, s8, 1
	s_cmpk_lg_i32 s8, 0x2710
	s_cselect_b64 s[36:37], -1, 0
	s_and_b64 vcc, exec, s[36:37]
	s_cbranch_vccz .LBB4_3041
; %bb.3040:                             ;   in Loop: Header=BB4_3039 Depth=3
	s_mov_b64 vcc, -1
	s_or_b64 s[34:35], s[34:35], exec
	s_and_saveexec_b64 s[38:39], s[36:37]
	s_cbranch_execz .LBB4_3038
	s_branch .LBB4_3042
.LBB4_3041:                             ;   in Loop: Header=BB4_3039 Depth=3
	s_trap 2
	ds_read_b64 v[0:1], v0
	s_andn2_b64 s[36:37], s[36:37], exec
	s_mov_b32 s8, 0
	s_waitcnt vmcnt(0) lgkmcnt(0)
	flat_load_dword v0, v[0:1] glc
	s_waitcnt vmcnt(0) lgkmcnt(0)
	buffer_wbinvl1_vol
	v_cmp_eq_u32_e32 vcc, 0, v0
	s_and_b64 vcc, vcc, exec
	s_or_b64 s[36:37], s[36:37], vcc
	s_mov_b64 vcc, -1
	s_or_b64 s[34:35], s[34:35], exec
	s_and_saveexec_b64 s[38:39], s[36:37]
	s_cbranch_execz .LBB4_3038
.LBB4_3042:                             ;   in Loop: Header=BB4_3039 Depth=3
	s_sleep 1
	s_trap 2
	ds_read_b64 v[0:1], v0
	s_waitcnt lgkmcnt(0)
	buffer_load_dword v2, off, s[0:3], s33 offset:76 ; 4-byte Folded Reload
	buffer_load_dword v3, off, s[0:3], s33 offset:80 ; 4-byte Folded Reload
	s_andn2_b64 s[34:35], s[34:35], exec
	s_waitcnt vmcnt(0)
	v_cmp_ge_u64_e32 vcc, v[0:1], v[2:3]
	s_orn2_b64 vcc, vcc, exec
	s_branch .LBB4_3038
.LBB4_3043:                             ;   in Loop: Header=BB4_3009 Depth=2
	s_or_b64 exec, exec, s[94:95]
	s_and_saveexec_b64 s[94:95], s[30:31]
	s_xor_b64 s[94:95], exec, s[94:95]
	s_cbranch_execz .LBB4_3045
; %bb.3044:                             ;   in Loop: Header=BB4_3009 Depth=2
	v_mov_b32_e32 v0, 1
	ds_write_b32 v0, v0
	s_trap 2
.LBB4_3045:                             ;   in Loop: Header=BB4_3009 Depth=2
	s_or_b64 exec, exec, s[92:93]
	;;#ASMSTART
	s_wakeup
	;;#ASMEND
.LBB4_3046:                             ;   in Loop: Header=BB4_3009 Depth=2
	s_or_b64 exec, exec, s[90:91]
.LBB4_3047:                             ;   in Loop: Header=BB4_3009 Depth=2
	s_andn2_saveexec_b64 s[42:43], s[42:43]
	s_cbranch_execz .LBB4_3049
; %bb.3048:                             ;   in Loop: Header=BB4_3009 Depth=2
	s_waitcnt vmcnt(0) lgkmcnt(0)
	buffer_wbinvl1_vol
	s_barrier
.LBB4_3049:                             ;   in Loop: Header=BB4_3009 Depth=2
	s_or_b64 exec, exec, s[42:43]
.LBB4_3050:                             ;   in Loop: Header=BB4_3009 Depth=2
	s_or_b64 exec, exec, s[26:27]
                                        ; implicit-def: $vgpr0
	s_and_saveexec_b64 s[26:27], s[18:19]
	s_xor_b64 s[26:27], exec, s[26:27]
	s_cbranch_execz .LBB4_3055
; %bb.3051:                             ;   in Loop: Header=BB4_3009 Depth=2
	s_trap 2
	buffer_load_dword v1, off, s[0:3], s33 offset:72 ; 4-byte Folded Reload
	ds_read_b32 v0, v0
	v_cmp_lt_i32_e32 vcc, 0, v53
	s_waitcnt lgkmcnt(0)
	v_readfirstlane_b32 s8, v0
	s_cmp_eq_u32 s8, 0
	s_cselect_b64 s[42:43], -1, 0
	s_and_b64 s[42:43], vcc, s[42:43]
	s_waitcnt vmcnt(0)
	v_and_b32_e32 v0, 16, v1
	v_and_b32_e32 v1, 16, v1
	v_cmp_ne_u32_e32 vcc, 0, v1
	s_and_b64 s[90:91], vcc, s[42:43]
	s_and_saveexec_b64 s[42:43], s[90:91]
	s_cbranch_execz .LBB4_3053
; %bb.3052:                             ;   in Loop: Header=BB4_3009 Depth=2
	v_mov_b32_e32 v0, 1
	buffer_wbinvl1_vol
.LBB4_3053:                             ;   in Loop: Header=BB4_3009 Depth=2
	s_or_b64 exec, exec, s[42:43]
	s_andn2_saveexec_b64 s[26:27], s[26:27]
	s_cbranch_execnz .LBB4_3056
.LBB4_3054:                             ;   in Loop: Header=BB4_3009 Depth=2
	s_or_b64 exec, exec, s[26:27]
	v_cmp_ne_u32_e32 vcc, 0, v0
	s_and_saveexec_b64 s[26:27], vcc
	s_cbranch_execz .LBB4_3008
	s_branch .LBB4_3074
.LBB4_3055:                             ;   in Loop: Header=BB4_3009 Depth=2
	s_andn2_saveexec_b64 s[26:27], s[26:27]
	s_cbranch_execz .LBB4_3054
.LBB4_3056:                             ;   in Loop: Header=BB4_3009 Depth=2
	s_and_saveexec_b64 s[42:43], s[58:59]
	s_xor_b64 s[42:43], exec, s[42:43]
	s_cbranch_execz .LBB4_3071
; %bb.3057:                             ;   in Loop: Header=BB4_3009 Depth=2
	s_and_saveexec_b64 s[90:91], s[6:7]
	s_cbranch_execz .LBB4_3070
; %bb.3058:                             ;   in Loop: Header=BB4_3009 Depth=2
	s_mov_b64 s[94:95], exec
	v_mbcnt_lo_u32_b32 v0, s94, 0
	v_mbcnt_hi_u32_b32 v0, s95, v0
	v_cmp_eq_u32_e32 vcc, 0, v0
	;;#ASMSTART
	s_waitcnt lgkmcnt(0) vmcnt(0)
	;;#ASMEND
	s_and_saveexec_b64 s[92:93], vcc
	s_cbranch_execz .LBB4_3060
; %bb.3059:                             ;   in Loop: Header=BB4_3009 Depth=2
	s_bcnt1_i32_b64 s8, s[94:95]
	v_mov_b32_e32 v0, s8
	v_mov_b32_e32 v1, v17
	s_waitcnt lgkmcnt(0)
	ds_add_u64 v0, v[0:1]
	s_trap 2
.LBB4_3060:                             ;   in Loop: Header=BB4_3009 Depth=2
	s_or_b64 exec, exec, s[92:93]
	s_trap 2
	ds_read_b64 v[0:1], v0
	s_waitcnt lgkmcnt(0)
	buffer_load_dword v2, off, s[0:3], s33 offset:76 ; 4-byte Folded Reload
	buffer_load_dword v3, off, s[0:3], s33 offset:80 ; 4-byte Folded Reload
	buffer_load_dword v4, off, s[0:3], s33 offset:92 ; 4-byte Folded Reload
	s_waitcnt vmcnt(0)
	v_add_co_u32_e32 v2, vcc, v2, v4
	v_addc_co_u32_e32 v3, vcc, 0, v3, vcc
	buffer_store_dword v2, off, s[0:3], s33 offset:76 ; 4-byte Folded Spill
	s_nop 0
	buffer_store_dword v3, off, s[0:3], s33 offset:80 ; 4-byte Folded Spill
	v_cmp_lt_u64_e32 vcc, v[0:1], v[2:3]
	s_and_saveexec_b64 s[92:93], vcc
	s_cbranch_execz .LBB4_3069
; %bb.3061:                             ;   in Loop: Header=BB4_3009 Depth=2
	s_mov_b32 s8, 0
	s_mov_b64 s[94:95], 0
                                        ; implicit-def: $sgpr30_sgpr31
                                        ; implicit-def: $sgpr34_sgpr35
	s_branch .LBB4_3063
.LBB4_3062:                             ;   in Loop: Header=BB4_3063 Depth=3
	s_or_b64 exec, exec, s[38:39]
	s_and_b64 vcc, exec, vcc
	s_or_b64 s[94:95], vcc, s[94:95]
	s_andn2_b64 vcc, s[30:31], exec
	s_and_b64 s[30:31], s[34:35], exec
	s_or_b64 s[30:31], vcc, s[30:31]
	s_andn2_b64 exec, exec, s[94:95]
	s_cbranch_execz .LBB4_3067
.LBB4_3063:                             ;   Parent Loop BB4_47 Depth=1
                                        ;     Parent Loop BB4_3009 Depth=2
                                        ; =>    This Inner Loop Header: Depth=3
	s_add_i32 s8, s8, 1
	s_cmpk_lg_i32 s8, 0x2710
	s_cselect_b64 s[36:37], -1, 0
	s_and_b64 vcc, exec, s[36:37]
	s_cbranch_vccz .LBB4_3065
; %bb.3064:                             ;   in Loop: Header=BB4_3063 Depth=3
	s_mov_b64 vcc, -1
	s_or_b64 s[34:35], s[34:35], exec
	s_and_saveexec_b64 s[38:39], s[36:37]
	s_cbranch_execz .LBB4_3062
	s_branch .LBB4_3066
.LBB4_3065:                             ;   in Loop: Header=BB4_3063 Depth=3
	s_trap 2
	ds_read_b64 v[0:1], v0
	s_andn2_b64 s[36:37], s[36:37], exec
	s_mov_b32 s8, 0
	s_waitcnt vmcnt(0) lgkmcnt(0)
	flat_load_dword v0, v[0:1] glc
	s_waitcnt vmcnt(0) lgkmcnt(0)
	buffer_wbinvl1_vol
	v_cmp_eq_u32_e32 vcc, 0, v0
	s_and_b64 vcc, vcc, exec
	s_or_b64 s[36:37], s[36:37], vcc
	s_mov_b64 vcc, -1
	s_or_b64 s[34:35], s[34:35], exec
	s_and_saveexec_b64 s[38:39], s[36:37]
	s_cbranch_execz .LBB4_3062
.LBB4_3066:                             ;   in Loop: Header=BB4_3063 Depth=3
	s_sleep 1
	s_trap 2
	ds_read_b64 v[0:1], v0
	s_waitcnt lgkmcnt(0)
	buffer_load_dword v2, off, s[0:3], s33 offset:76 ; 4-byte Folded Reload
	buffer_load_dword v3, off, s[0:3], s33 offset:80 ; 4-byte Folded Reload
	s_andn2_b64 s[34:35], s[34:35], exec
	s_waitcnt vmcnt(0)
	v_cmp_ge_u64_e32 vcc, v[0:1], v[2:3]
	s_orn2_b64 vcc, vcc, exec
	s_branch .LBB4_3062
.LBB4_3067:                             ;   in Loop: Header=BB4_3009 Depth=2
	s_or_b64 exec, exec, s[94:95]
	s_and_saveexec_b64 s[94:95], s[30:31]
	s_xor_b64 s[94:95], exec, s[94:95]
	s_cbranch_execz .LBB4_3069
; %bb.3068:                             ;   in Loop: Header=BB4_3009 Depth=2
	v_mov_b32_e32 v0, 1
	ds_write_b32 v0, v0
	s_trap 2
.LBB4_3069:                             ;   in Loop: Header=BB4_3009 Depth=2
	s_or_b64 exec, exec, s[92:93]
	;;#ASMSTART
	s_wakeup
	;;#ASMEND
.LBB4_3070:                             ;   in Loop: Header=BB4_3009 Depth=2
	s_or_b64 exec, exec, s[90:91]
.LBB4_3071:                             ;   in Loop: Header=BB4_3009 Depth=2
	s_andn2_saveexec_b64 s[42:43], s[42:43]
	s_cbranch_execz .LBB4_3073
; %bb.3072:                             ;   in Loop: Header=BB4_3009 Depth=2
	;;#ASMSTART
	s_waitcnt lgkmcnt(0) vmcnt(0)
	;;#ASMEND
	s_waitcnt vmcnt(0) lgkmcnt(0)
	s_barrier
.LBB4_3073:                             ;   in Loop: Header=BB4_3009 Depth=2
	s_or_b64 exec, exec, s[42:43]
	buffer_load_dword v0, off, s[0:3], s33 offset:72 ; 4-byte Folded Reload
	s_waitcnt vmcnt(0)
	v_and_b32_e32 v0, 16, v0
	s_or_b64 exec, exec, s[26:27]
	v_cmp_ne_u32_e32 vcc, 0, v0
	s_and_saveexec_b64 s[26:27], vcc
	s_cbranch_execz .LBB4_3008
.LBB4_3074:                             ;   in Loop: Header=BB4_3009 Depth=2
	s_and_saveexec_b64 s[42:43], s[22:23]
	s_cbranch_execz .LBB4_3007
; %bb.3075:                             ;   in Loop: Header=BB4_3009 Depth=2
	buffer_load_dword v0, off, s[0:3], s33 offset:140 ; 4-byte Folded Reload
	buffer_load_dword v1, off, s[0:3], s33 offset:144 ; 4-byte Folded Reload
	v_mov_b32_e32 v2, 1
	s_waitcnt vmcnt(0)
	flat_store_dword v[0:1], v2
	s_branch .LBB4_3007
.LBB4_3076:                             ;   in Loop: Header=BB4_47 Depth=1
	s_or_b64 exec, exec, s[40:41]
.LBB4_3077:                             ;   in Loop: Header=BB4_47 Depth=1
	s_or_b64 exec, exec, s[28:29]
	v_cndmask_b32_e64 v0, 0, 1, s[62:63]
	v_cmp_ne_u32_e64 s[26:27], 1, v0
	s_andn2_b64 vcc, exec, s[62:63]
	s_cbranch_vccnz .LBB4_7592
; %bb.3078:                             ;   in Loop: Header=BB4_47 Depth=1
	s_mov_b32 s8, 2
	s_branch .LBB4_3081
.LBB4_3079:                             ;   in Loop: Header=BB4_3081 Depth=2
	s_or_b64 exec, exec, s[42:43]
.LBB4_3080:                             ;   in Loop: Header=BB4_3081 Depth=2
	s_or_b64 exec, exec, s[40:41]
	s_add_i32 s8, s8, 1
	s_cmp_eq_u32 s8, s66
	s_cbranch_scc1 .LBB4_7592
.LBB4_3081:                             ;   Parent Loop BB4_47 Depth=1
                                        ; =>  This Loop Header: Depth=2
                                        ;       Child Loop BB4_3084 Depth 3
                                        ;         Child Loop BB4_3092 Depth 4
                                        ;         Child Loop BB4_3120 Depth 4
	;; [unrolled: 1-line block ×9, first 2 shown]
                                        ;       Child Loop BB4_7520 Depth 3
                                        ;         Child Loop BB4_7526 Depth 4
                                        ;         Child Loop BB4_7554 Depth 4
	;; [unrolled: 1-line block ×3, first 2 shown]
	buffer_load_dword v2, off, s[0:3], s33 offset:352 ; 4-byte Folded Reload
	buffer_load_dword v3, off, s[0:3], s33 offset:356 ; 4-byte Folded Reload
	s_sub_i32 s28, s70, s8
	s_cmp_ge_i32 s28, s66
	s_cselect_b32 s29, s66, 0
	s_sub_i32 s28, s28, s29
	s_ashr_i32 s40, s28, 31
	v_mov_b32_e32 v22, 0
	s_waitcnt vmcnt(0)
	v_mul_lo_u32 v1, v2, s40
	v_mul_lo_u32 v0, v3, s28
	v_mad_u64_u32 v[4:5], s[28:29], v2, s28, 0
	v_add3_u32 v5, v5, v1, v0
	buffer_load_dword v0, off, s[0:3], s33 offset:344 ; 4-byte Folded Reload
	buffer_load_dword v1, off, s[0:3], s33 offset:348 ; 4-byte Folded Reload
	s_waitcnt vmcnt(0)
	v_sub_co_u32_e32 v0, vcc, v0, v4
	buffer_store_dword v4, off, s[0:3], s33 offset:204 ; 4-byte Folded Spill
	s_nop 0
	buffer_store_dword v5, off, s[0:3], s33 offset:208 ; 4-byte Folded Spill
	v_subb_co_u32_e32 v1, vcc, v1, v5, vcc
	v_cmp_lt_i64_e32 vcc, v[2:3], v[0:1]
	v_cndmask_b32_e32 v0, v0, v2, vcc
	v_max_i32_e32 v47, 0, v0
	v_add_u32_e32 v1, 31, v47
	v_lshrrev_b32_e32 v1, 1, v1
	v_and_b32_e32 v1, 0x3ffffff0, v1
	v_cmp_lt_i32_e32 vcc, 0, v0
	v_max_i32_e32 v1, s81, v1
	s_and_b64 s[28:29], s[74:75], vcc
	v_mov_b32_e32 v0, 0
	buffer_store_dword v1, off, s[0:3], s33 offset:100 ; 4-byte Folded Spill
	s_nop 0
	buffer_store_dword v2, off, s[0:3], s33 offset:104 ; 4-byte Folded Spill
	s_and_saveexec_b64 s[90:91], s[28:29]
	s_cbranch_execz .LBB4_7517
; %bb.3082:                             ;   in Loop: Header=BB4_3081 Depth=2
	s_mov_b32 s69, 1
	s_mov_b64 s[94:95], -1
	v_mov_b32_e32 v22, 0
	s_mov_b64 s[92:93], 0
	buffer_store_dword v47, off, s[0:3], s33 offset:212 ; 4-byte Folded Spill
	s_branch .LBB4_3084
.LBB4_3083:                             ;   in Loop: Header=BB4_3084 Depth=3
	s_or_b64 exec, exec, s[28:29]
	buffer_load_dword v0, off, s[0:3], s33 offset:100 ; 4-byte Folded Reload
	buffer_load_dword v1, off, s[0:3], s33 offset:104 ; 4-byte Folded Reload
	s_xor_b64 s[28:29], s[94:95], -1
	s_mov_b64 s[94:95], 0
	s_waitcnt vmcnt(0)
	v_add_u32_e32 v22, v0, v22
	v_cmp_ge_i32_e32 vcc, v22, v47
	s_or_b64 s[28:29], s[28:29], vcc
	s_and_b64 s[28:29], exec, s[28:29]
	s_or_b64 s[92:93], s[28:29], s[92:93]
	v_mov_b32_e32 v0, s69
	s_mov_b32 s69, 2
	s_andn2_b64 exec, exec, s[92:93]
	s_cbranch_execz .LBB4_7516
.LBB4_3084:                             ;   Parent Loop BB4_47 Depth=1
                                        ;     Parent Loop BB4_3081 Depth=2
                                        ; =>    This Loop Header: Depth=3
                                        ;         Child Loop BB4_3092 Depth 4
                                        ;         Child Loop BB4_3120 Depth 4
	;; [unrolled: 1-line block ×9, first 2 shown]
	s_and_saveexec_b64 s[28:29], s[4:5]
	s_cbranch_execz .LBB4_3086
; %bb.3085:                             ;   in Loop: Header=BB4_3084 Depth=3
	s_trap 2
	buffer_load_dword v2, off, s[0:3], s33 offset:196 ; 4-byte Folded Reload
	ds_read_b64 v[0:1], v0
	s_waitcnt vmcnt(0) lgkmcnt(0)
	v_add_co_u32_e32 v0, vcc, v0, v2
	buffer_load_dword v2, off, s[0:3], s33 offset:200 ; 4-byte Folded Reload
	s_waitcnt vmcnt(0)
	v_addc_co_u32_e32 v1, vcc, v1, v2, vcc
	buffer_load_dword v2, off, s[0:3], s33 offset:204 ; 4-byte Folded Reload
	buffer_load_dword v3, off, s[0:3], s33 offset:208 ; 4-byte Folded Reload
	s_waitcnt vmcnt(1)
	v_add_co_u32_e32 v0, vcc, v0, v2
	s_waitcnt vmcnt(0)
	v_addc_co_u32_e32 v1, vcc, v1, v3, vcc
	v_ashrrev_i32_e32 v2, 31, v22
	v_add_co_u32_e32 v0, vcc, v0, v22
	v_addc_co_u32_e32 v1, vcc, v1, v2, vcc
	ds_write_b64 v0, v[0:1]
	v_mov_b32_e32 v0, v17
	v_mov_b32_e32 v1, v17
	ds_write_b64 v0, v[0:1]
.LBB4_3086:                             ;   in Loop: Header=BB4_3084 Depth=3
	s_or_b64 exec, exec, s[28:29]
	buffer_load_dword v1, off, s[0:3], s33 offset:100 ; 4-byte Folded Reload
	buffer_load_dword v2, off, s[0:3], s33 offset:104 ; 4-byte Folded Reload
	v_sub_u32_e32 v0, v47, v22
	s_waitcnt vmcnt(0)
	v_min_i32_e32 v1, v1, v0
	buffer_store_dword v1, off, s[0:3], s33 offset:100 ; 4-byte Folded Spill
	s_nop 0
	buffer_store_dword v2, off, s[0:3], s33 offset:104 ; 4-byte Folded Spill
	buffer_load_dword v0, off, s[0:3], s33 offset:72 ; 4-byte Folded Reload
	s_waitcnt vmcnt(0)
	v_and_b32_e32 v0, 12, v0
	v_cmp_ne_u32_e32 vcc, 0, v0
	s_and_saveexec_b64 s[40:41], vcc
	s_cbranch_execz .LBB4_3112
; %bb.3087:                             ;   in Loop: Header=BB4_3084 Depth=3
	buffer_load_dword v0, off, s[0:3], s33 offset:72 ; 4-byte Folded Reload
	s_waitcnt vmcnt(0)
	v_and_b32_e32 v8, 8, v0
	buffer_load_dword v0, off, s[0:3], s33 offset:56 ; 4-byte Folded Reload
	buffer_load_dword v1, off, s[0:3], s33 offset:60 ; 4-byte Folded Reload
	s_waitcnt vmcnt(0)
	v_add_co_u32_e32 v2, vcc, v0, v8
	v_addc_co_u32_e32 v3, vcc, 0, v1, vcc
	buffer_load_dword v0, off, s[0:3], s33 offset:84 ; 4-byte Folded Reload
	buffer_load_dword v1, off, s[0:3], s33 offset:88 ; 4-byte Folded Reload
	s_waitcnt vmcnt(0)
	v_add_co_u32_e32 v0, vcc, 2, v0
	v_addc_co_u32_e32 v1, vcc, 0, v1, vcc
	v_cmp_lt_u64_e32 vcc, v[2:3], v[0:1]
	s_and_saveexec_b64 s[42:43], vcc
	s_cbranch_execz .LBB4_3099
; %bb.3088:                             ;   in Loop: Header=BB4_3084 Depth=3
	buffer_load_dword v2, off, s[0:3], s33 offset:72 ; 4-byte Folded Reload
	s_mov_b32 s80, 0
	s_mov_b64 s[30:31], 0
                                        ; implicit-def: $sgpr34_sgpr35
                                        ; implicit-def: $sgpr36_sgpr37
                                        ; implicit-def: $sgpr38_sgpr39
	s_waitcnt vmcnt(0)
	v_and_b32_e32 v2, 64, v2
	v_cmp_eq_u32_e32 vcc, 0, v2
	s_branch .LBB4_3092
.LBB4_3089:                             ;   in Loop: Header=BB4_3092 Depth=4
	buffer_load_dword v3, off, s[0:3], s33 offset:56 ; 4-byte Folded Reload
	buffer_load_dword v4, off, s[0:3], s33 offset:60 ; 4-byte Folded Reload
	s_or_b64 s[52:53], s[52:53], exec
	s_waitcnt vmcnt(1)
	v_add_co_u32_e64 v3, s[28:29], v3, v8
	s_waitcnt vmcnt(0)
	v_addc_co_u32_e64 v4, s[28:29], 0, v4, s[28:29]
	v_cmp_ge_u64_e64 s[28:29], v[3:4], v[0:1]
	s_orn2_b64 s[50:51], s[28:29], exec
.LBB4_3090:                             ;   in Loop: Header=BB4_3092 Depth=4
	s_or_b64 exec, exec, s[64:65]
	s_andn2_b64 s[28:29], s[38:39], exec
	s_and_b64 s[38:39], s[52:53], exec
	s_or_b64 s[38:39], s[28:29], s[38:39]
	s_andn2_b64 s[28:29], s[36:37], exec
	s_and_b64 s[36:37], s[50:51], exec
	s_or_b64 s[36:37], s[28:29], s[36:37]
.LBB4_3091:                             ;   in Loop: Header=BB4_3092 Depth=4
	s_or_b64 exec, exec, s[48:49]
	s_and_b64 s[28:29], exec, s[36:37]
	s_or_b64 s[30:31], s[28:29], s[30:31]
	s_andn2_b64 s[28:29], s[34:35], exec
	s_and_b64 s[34:35], s[38:39], exec
	s_or_b64 s[34:35], s[28:29], s[34:35]
	s_andn2_b64 exec, exec, s[30:31]
	s_cbranch_execz .LBB4_3096
.LBB4_3092:                             ;   Parent Loop BB4_47 Depth=1
                                        ;     Parent Loop BB4_3081 Depth=2
                                        ;       Parent Loop BB4_3084 Depth=3
                                        ; =>      This Inner Loop Header: Depth=4
	s_sleep 1
	buffer_load_dword v2, off, s[0:3], s33 offset:64 ; 4-byte Folded Reload
	buffer_load_dword v3, off, s[0:3], s33 offset:68 ; 4-byte Folded Reload
	s_or_b64 s[38:39], s[38:39], exec
	s_or_b64 s[36:37], s[36:37], exec
	s_waitcnt vmcnt(0)
	flat_load_dwordx2 v[2:3], v[2:3] glc
	s_waitcnt vmcnt(0) lgkmcnt(0)
	buffer_store_dword v2, off, s[0:3], s33 offset:56 ; 4-byte Folded Spill
	s_nop 0
	buffer_store_dword v3, off, s[0:3], s33 offset:60 ; 4-byte Folded Spill
                                        ; implicit-def: $vgpr2
	s_and_saveexec_b64 s[48:49], vcc
	s_cbranch_execz .LBB4_3091
; %bb.3093:                             ;   in Loop: Header=BB4_3092 Depth=4
	s_cmpk_lt_i32 s80, 0x270f
	s_cselect_b64 s[54:55], -1, 0
	s_cmpk_gt_i32 s80, 0x270e
	s_mov_b64 s[50:51], -1
	s_cbranch_scc0 .LBB4_3095
; %bb.3094:                             ;   in Loop: Header=BB4_3092 Depth=4
	s_trap 2
	ds_read_b64 v[2:3], v0
	s_andn2_b64 s[54:55], s[54:55], exec
	s_mov_b32 s80, 0
	s_mov_b64 s[52:53], 0
	s_waitcnt vmcnt(0) lgkmcnt(0)
	flat_load_dword v2, v[2:3] glc
	s_waitcnt vmcnt(0) lgkmcnt(0)
	buffer_wbinvl1_vol
	v_cmp_eq_u32_e64 s[28:29], 0, v2
	s_and_b64 s[28:29], s[28:29], exec
	s_or_b64 s[54:55], s[54:55], s[28:29]
	s_and_saveexec_b64 s[64:65], s[54:55]
	s_cbranch_execz .LBB4_3090
	s_branch .LBB4_3089
.LBB4_3095:                             ;   in Loop: Header=BB4_3092 Depth=4
	s_add_i32 s80, s80, 1
	s_mov_b64 s[52:53], -1
                                        ; implicit-def: $vgpr2
	s_and_saveexec_b64 s[64:65], s[54:55]
	s_cbranch_execz .LBB4_3090
	s_branch .LBB4_3089
.LBB4_3096:                             ;   in Loop: Header=BB4_3084 Depth=3
	s_or_b64 exec, exec, s[30:31]
	s_xor_b64 s[28:29], s[34:35], -1
	s_and_saveexec_b64 vcc, s[28:29]
	s_xor_b64 s[28:29], exec, vcc
	s_cbranch_execz .LBB4_3098
; %bb.3097:                             ;   in Loop: Header=BB4_3084 Depth=3
	ds_write_b32 v0, v2
	s_trap 2
	buffer_load_dword v2, off, s[0:3], s33 offset:72 ; 4-byte Folded Reload
	s_waitcnt vmcnt(0)
	v_or_b32_e32 v2, 64, v2
	buffer_store_dword v2, off, s[0:3], s33 offset:72 ; 4-byte Folded Spill
.LBB4_3098:                             ;   in Loop: Header=BB4_3084 Depth=3
	s_or_b64 exec, exec, s[28:29]
.LBB4_3099:                             ;   in Loop: Header=BB4_3084 Depth=3
	s_or_b64 exec, exec, s[42:43]
	;;#ASMSTART
	s_wakeup
	;;#ASMEND
	buffer_load_dword v2, off, s[0:3], s33 offset:72 ; 4-byte Folded Reload
	s_waitcnt vmcnt(0)
	v_and_b32_e32 v2, 0x108, v2
	v_cmp_ne_u32_e32 vcc, s9, v2
                                        ; implicit-def: $vgpr2_vgpr3
	s_and_saveexec_b64 s[28:29], vcc
	s_xor_b64 s[28:29], exec, s[28:29]
	s_cbranch_execz .LBB4_3101
; %bb.3100:                             ;   in Loop: Header=BB4_3084 Depth=3
	buffer_load_dword v2, off, s[0:3], s33 offset:84 ; 4-byte Folded Reload
	buffer_load_dword v3, off, s[0:3], s33 offset:88 ; 4-byte Folded Reload
	s_waitcnt vmcnt(0)
	v_mov_b32_e32 v3, v17
                                        ; implicit-def: $vgpr4_vgpr5
                                        ; kill: killed $vgpr4_vgpr5
	v_and_b32_e32 v2, 7, v2
.LBB4_3101:                             ;   in Loop: Header=BB4_3084 Depth=3
	s_andn2_saveexec_b64 s[28:29], s[28:29]
	s_cbranch_execz .LBB4_3103
; %bb.3102:                             ;   in Loop: Header=BB4_3084 Depth=3
	buffer_load_dword v2, off, s[0:3], s33 offset:84 ; 4-byte Folded Reload
	buffer_load_dword v3, off, s[0:3], s33 offset:88 ; 4-byte Folded Reload
	;; [unrolled: 1-line block ×8, first 2 shown]
	s_waitcnt vmcnt(0)
	v_and_b32_e32 v2, 7, v2
	v_mad_u64_u32 v[4:5], s[42:43], v2, 24, v[3:4]
	v_mov_b32_e32 v9, v6
	v_mov_b32_e32 v3, v17
	v_ashrrev_i32_e32 v10, 31, v9
	buffer_store_dword v6, off, s[0:3], s33 offset:100 ; 4-byte Folded Spill
	s_nop 0
	buffer_store_dword v7, off, s[0:3], s33 offset:104 ; 4-byte Folded Spill
	flat_store_dwordx2 v[4:5], v[9:10] offset:8
.LBB4_3103:                             ;   in Loop: Header=BB4_3084 Depth=3
	s_or_b64 exec, exec, s[28:29]
	buffer_load_dword v4, off, s[0:3], s33 offset:72 ; 4-byte Folded Reload
	s_mov_b64 s[28:29], -1
	s_waitcnt vmcnt(0)
	v_and_b32_e32 v4, 0x100, v4
	v_cmp_ne_u32_e32 vcc, 0, v4
                                        ; implicit-def: $vgpr4_vgpr5
	s_and_saveexec_b64 s[42:43], vcc
	s_cbranch_execz .LBB4_3107
; %bb.3104:                             ;   in Loop: Header=BB4_3084 Depth=3
	buffer_load_dword v4, off, s[0:3], s33 offset:124 ; 4-byte Folded Reload
	buffer_load_dword v5, off, s[0:3], s33 offset:128 ; 4-byte Folded Reload
	;; [unrolled: 1-line block ×4, first 2 shown]
	s_waitcnt vmcnt(0)
	v_mad_u64_u32 v[6:7], s[28:29], v2, 24, v[4:5]
	v_mov_b32_e32 v4, v7
	v_mad_u64_u32 v[4:5], s[28:29], v3, 24, v[4:5]
	v_mov_b32_e32 v7, v4
	flat_load_dword v4, v[6:7]
	s_waitcnt vmcnt(0) lgkmcnt(0)
	v_cmp_ne_u32_e32 vcc, 1, v4
	v_cmp_eq_u32_e64 s[28:29], 1, v4
                                        ; implicit-def: $vgpr4_vgpr5
	s_and_saveexec_b64 s[30:31], s[28:29]
	s_cbranch_execz .LBB4_3106
; %bb.3105:                             ;   in Loop: Header=BB4_3084 Depth=3
	flat_load_dword v4, v[6:7] offset:4 glc
	s_waitcnt vmcnt(0) lgkmcnt(0)
	v_ashrrev_i32_e32 v5, 31, v4
.LBB4_3106:                             ;   in Loop: Header=BB4_3084 Depth=3
	s_or_b64 exec, exec, s[30:31]
	s_orn2_b64 s[28:29], vcc, exec
.LBB4_3107:                             ;   in Loop: Header=BB4_3084 Depth=3
	s_or_b64 exec, exec, s[42:43]
	s_and_saveexec_b64 s[42:43], s[28:29]
	s_cbranch_execz .LBB4_3109
; %bb.3108:                             ;   in Loop: Header=BB4_3084 Depth=3
	buffer_load_dword v4, off, s[0:3], s33 offset:152 ; 4-byte Folded Reload
	buffer_load_dword v5, off, s[0:3], s33 offset:172 ; 4-byte Folded Reload
	s_waitcnt vmcnt(0)
	v_mul_lo_u32 v3, v3, v4
	v_mul_lo_u32 v6, v2, v5
	v_mad_u64_u32 v[4:5], s[28:29], v2, v4, 0
	v_add3_u32 v5, v5, v6, v3
.LBB4_3109:                             ;   in Loop: Header=BB4_3084 Depth=3
	s_or_b64 exec, exec, s[42:43]
	v_cmp_eq_u32_e32 vcc, 0, v8
	v_mov_b32_e32 v2, 0xc8
	v_mov_b32_e32 v3, 0x90
	v_cndmask_b32_e32 v6, v2, v3, vcc
	buffer_load_dword v2, off, s[0:3], s33 offset:116 ; 4-byte Folded Reload
	buffer_load_dword v3, off, s[0:3], s33 offset:120 ; 4-byte Folded Reload
	s_waitcnt vmcnt(0)
	v_add_co_u32_e32 v2, vcc, v2, v4
	v_addc_co_u32_e32 v3, vcc, v3, v5, vcc
	v_add_u32_e32 v4, v0, v6
	ds_write_b64 v4, v[2:3] offset:584
	buffer_load_dword v2, off, s[0:3], s33 offset:72 ; 4-byte Folded Reload
	s_waitcnt vmcnt(0)
	v_and_b32_e32 v2, 0x2000, v2
	v_cmp_ne_u32_e32 vcc, 0, v2
	s_and_saveexec_b64 s[28:29], vcc
	s_cbranch_execz .LBB4_3111
; %bb.3110:                             ;   in Loop: Header=BB4_3084 Depth=3
	ds_read_b64 v[2:3], v0 offset:872
	s_waitcnt lgkmcnt(0)
	v_add_co_u32_e32 v2, vcc, 1, v2
	v_addc_co_u32_e32 v3, vcc, 0, v3, vcc
	ds_write_b64 v0, v[2:3] offset:872
.LBB4_3111:                             ;   in Loop: Header=BB4_3084 Depth=3
	s_or_b64 exec, exec, s[28:29]
	buffer_store_dword v0, off, s[0:3], s33 offset:84 ; 4-byte Folded Spill
	s_nop 0
	buffer_store_dword v1, off, s[0:3], s33 offset:88 ; 4-byte Folded Spill
.LBB4_3112:                             ;   in Loop: Header=BB4_3084 Depth=3
	s_or_b64 exec, exec, s[40:41]
	s_and_saveexec_b64 s[28:29], s[12:13]
	s_cbranch_execz .LBB4_3131
; %bb.3113:                             ;   in Loop: Header=BB4_3084 Depth=3
	s_and_saveexec_b64 s[40:41], s[58:59]
	s_xor_b64 s[40:41], exec, s[40:41]
	s_cbranch_execz .LBB4_3128
; %bb.3114:                             ;   in Loop: Header=BB4_3084 Depth=3
	s_and_saveexec_b64 s[42:43], s[6:7]
	s_cbranch_execz .LBB4_3127
; %bb.3115:                             ;   in Loop: Header=BB4_3084 Depth=3
	s_mov_b64 s[34:35], exec
	v_mbcnt_lo_u32_b32 v0, s34, 0
	v_mbcnt_hi_u32_b32 v0, s35, v0
	v_cmp_eq_u32_e32 vcc, 0, v0
	s_waitcnt vmcnt(0) lgkmcnt(0)
	buffer_wbinvl1_vol
	s_and_saveexec_b64 s[30:31], vcc
	s_cbranch_execz .LBB4_3117
; %bb.3116:                             ;   in Loop: Header=BB4_3084 Depth=3
	s_bcnt1_i32_b64 vcc_lo, s[34:35]
	v_mov_b32_e32 v0, vcc_lo
	v_mov_b32_e32 v1, v17
	ds_add_u64 v0, v[0:1]
	s_trap 2
.LBB4_3117:                             ;   in Loop: Header=BB4_3084 Depth=3
	s_or_b64 exec, exec, s[30:31]
	s_trap 2
	ds_read_b64 v[0:1], v0
	s_waitcnt lgkmcnt(0)
	buffer_load_dword v2, off, s[0:3], s33 offset:76 ; 4-byte Folded Reload
	buffer_load_dword v3, off, s[0:3], s33 offset:80 ; 4-byte Folded Reload
	;; [unrolled: 1-line block ×3, first 2 shown]
	s_waitcnt vmcnt(0)
	v_add_co_u32_e32 v2, vcc, v2, v4
	v_addc_co_u32_e32 v3, vcc, 0, v3, vcc
	buffer_store_dword v2, off, s[0:3], s33 offset:76 ; 4-byte Folded Spill
	s_nop 0
	buffer_store_dword v3, off, s[0:3], s33 offset:80 ; 4-byte Folded Spill
	v_cmp_lt_u64_e32 vcc, v[0:1], v[2:3]
	s_and_saveexec_b64 s[30:31], vcc
	s_cbranch_execz .LBB4_3126
; %bb.3118:                             ;   in Loop: Header=BB4_3084 Depth=3
	s_mov_b32 s52, 0
	s_mov_b64 s[34:35], 0
                                        ; implicit-def: $sgpr36_sgpr37
                                        ; implicit-def: $sgpr38_sgpr39
	s_branch .LBB4_3120
.LBB4_3119:                             ;   in Loop: Header=BB4_3120 Depth=4
	s_or_b64 exec, exec, s[50:51]
	s_and_b64 vcc, exec, vcc
	s_or_b64 s[34:35], vcc, s[34:35]
	s_andn2_b64 vcc, s[36:37], exec
	s_and_b64 s[36:37], s[38:39], exec
	s_or_b64 s[36:37], vcc, s[36:37]
	s_andn2_b64 exec, exec, s[34:35]
	s_cbranch_execz .LBB4_3124
.LBB4_3120:                             ;   Parent Loop BB4_47 Depth=1
                                        ;     Parent Loop BB4_3081 Depth=2
                                        ;       Parent Loop BB4_3084 Depth=3
                                        ; =>      This Inner Loop Header: Depth=4
	s_add_i32 s52, s52, 1
	s_cmpk_lg_i32 s52, 0x2710
	s_cselect_b64 s[48:49], -1, 0
	s_and_b64 vcc, exec, s[48:49]
	s_cbranch_vccz .LBB4_3122
; %bb.3121:                             ;   in Loop: Header=BB4_3120 Depth=4
	s_mov_b64 vcc, -1
	s_or_b64 s[38:39], s[38:39], exec
	s_and_saveexec_b64 s[50:51], s[48:49]
	s_cbranch_execz .LBB4_3119
	s_branch .LBB4_3123
.LBB4_3122:                             ;   in Loop: Header=BB4_3120 Depth=4
	s_trap 2
	ds_read_b64 v[0:1], v0
	s_andn2_b64 s[48:49], s[48:49], exec
	s_mov_b32 s52, 0
	s_waitcnt vmcnt(0) lgkmcnt(0)
	flat_load_dword v0, v[0:1] glc
	s_waitcnt vmcnt(0) lgkmcnt(0)
	buffer_wbinvl1_vol
	v_cmp_eq_u32_e32 vcc, 0, v0
	s_and_b64 vcc, vcc, exec
	s_or_b64 s[48:49], s[48:49], vcc
	s_mov_b64 vcc, -1
	s_or_b64 s[38:39], s[38:39], exec
	s_and_saveexec_b64 s[50:51], s[48:49]
	s_cbranch_execz .LBB4_3119
.LBB4_3123:                             ;   in Loop: Header=BB4_3120 Depth=4
	s_sleep 1
	s_trap 2
	ds_read_b64 v[0:1], v0
	s_waitcnt lgkmcnt(0)
	buffer_load_dword v2, off, s[0:3], s33 offset:76 ; 4-byte Folded Reload
	buffer_load_dword v3, off, s[0:3], s33 offset:80 ; 4-byte Folded Reload
	s_andn2_b64 s[38:39], s[38:39], exec
	s_waitcnt vmcnt(0)
	v_cmp_ge_u64_e32 vcc, v[0:1], v[2:3]
	s_orn2_b64 vcc, vcc, exec
	s_branch .LBB4_3119
.LBB4_3124:                             ;   in Loop: Header=BB4_3084 Depth=3
	s_or_b64 exec, exec, s[34:35]
	s_and_saveexec_b64 vcc, s[36:37]
	s_xor_b64 vcc, exec, vcc
	s_cbranch_execz .LBB4_3126
; %bb.3125:                             ;   in Loop: Header=BB4_3084 Depth=3
	v_mov_b32_e32 v0, 1
	ds_write_b32 v0, v0
	s_trap 2
.LBB4_3126:                             ;   in Loop: Header=BB4_3084 Depth=3
	s_or_b64 exec, exec, s[30:31]
	;;#ASMSTART
	s_wakeup
	;;#ASMEND
.LBB4_3127:                             ;   in Loop: Header=BB4_3084 Depth=3
	s_or_b64 exec, exec, s[42:43]
.LBB4_3128:                             ;   in Loop: Header=BB4_3084 Depth=3
	s_andn2_saveexec_b64 s[40:41], s[40:41]
	s_cbranch_execz .LBB4_3130
; %bb.3129:                             ;   in Loop: Header=BB4_3084 Depth=3
	s_waitcnt vmcnt(0) lgkmcnt(0)
	buffer_wbinvl1_vol
	s_barrier
.LBB4_3130:                             ;   in Loop: Header=BB4_3084 Depth=3
	s_or_b64 exec, exec, s[40:41]
.LBB4_3131:                             ;   in Loop: Header=BB4_3084 Depth=3
	s_or_b64 exec, exec, s[28:29]
	s_trap 2
	buffer_load_dword v1, off, s[0:3], s33 offset:72 ; 4-byte Folded Reload
	ds_read_b32 v0, v0
	s_xor_b64 s[28:29], s[10:11], -1
	s_waitcnt vmcnt(0)
	v_and_b32_e32 v1, 0x4000, v1
	v_cmp_ne_u32_e32 vcc, 0, v1
	s_and_b64 s[40:41], s[28:29], vcc
	s_and_saveexec_b64 s[28:29], s[40:41]
	s_cbranch_execz .LBB4_3150
; %bb.3132:                             ;   in Loop: Header=BB4_3084 Depth=3
	s_and_saveexec_b64 s[40:41], s[58:59]
	s_xor_b64 s[40:41], exec, s[40:41]
	s_cbranch_execz .LBB4_3147
; %bb.3133:                             ;   in Loop: Header=BB4_3084 Depth=3
	s_and_saveexec_b64 s[42:43], s[6:7]
	s_cbranch_execz .LBB4_3146
; %bb.3134:                             ;   in Loop: Header=BB4_3084 Depth=3
	s_mov_b64 s[34:35], exec
	v_mbcnt_lo_u32_b32 v1, s34, 0
	v_mbcnt_hi_u32_b32 v1, s35, v1
	v_cmp_eq_u32_e32 vcc, 0, v1
	s_waitcnt lgkmcnt(0)
	buffer_wbinvl1_vol
	s_and_saveexec_b64 s[30:31], vcc
	s_cbranch_execz .LBB4_3136
; %bb.3135:                             ;   in Loop: Header=BB4_3084 Depth=3
	s_bcnt1_i32_b64 vcc_lo, s[34:35]
	v_mov_b32_e32 v1, vcc_lo
	v_mov_b32_e32 v2, v17
	ds_add_u64 v0, v[1:2]
	s_trap 2
.LBB4_3136:                             ;   in Loop: Header=BB4_3084 Depth=3
	s_or_b64 exec, exec, s[30:31]
	s_trap 2
	ds_read_b64 v[1:2], v0
	s_waitcnt lgkmcnt(0)
	buffer_load_dword v3, off, s[0:3], s33 offset:76 ; 4-byte Folded Reload
	buffer_load_dword v4, off, s[0:3], s33 offset:80 ; 4-byte Folded Reload
	;; [unrolled: 1-line block ×3, first 2 shown]
	s_waitcnt vmcnt(0)
	v_add_co_u32_e32 v3, vcc, v3, v5
	v_addc_co_u32_e32 v4, vcc, 0, v4, vcc
	buffer_store_dword v3, off, s[0:3], s33 offset:76 ; 4-byte Folded Spill
	s_nop 0
	buffer_store_dword v4, off, s[0:3], s33 offset:80 ; 4-byte Folded Spill
	v_cmp_lt_u64_e32 vcc, v[1:2], v[3:4]
	s_and_saveexec_b64 s[30:31], vcc
	s_cbranch_execz .LBB4_3145
; %bb.3137:                             ;   in Loop: Header=BB4_3084 Depth=3
	s_mov_b32 s52, 0
	s_mov_b64 s[34:35], 0
                                        ; implicit-def: $sgpr36_sgpr37
                                        ; implicit-def: $sgpr38_sgpr39
	s_branch .LBB4_3139
.LBB4_3138:                             ;   in Loop: Header=BB4_3139 Depth=4
	s_or_b64 exec, exec, s[50:51]
	s_and_b64 vcc, exec, vcc
	s_or_b64 s[34:35], vcc, s[34:35]
	s_andn2_b64 vcc, s[36:37], exec
	s_and_b64 s[36:37], s[38:39], exec
	s_or_b64 s[36:37], vcc, s[36:37]
	s_andn2_b64 exec, exec, s[34:35]
	s_cbranch_execz .LBB4_3143
.LBB4_3139:                             ;   Parent Loop BB4_47 Depth=1
                                        ;     Parent Loop BB4_3081 Depth=2
                                        ;       Parent Loop BB4_3084 Depth=3
                                        ; =>      This Inner Loop Header: Depth=4
	s_add_i32 s52, s52, 1
	s_cmpk_lg_i32 s52, 0x2710
	s_cselect_b64 s[48:49], -1, 0
	s_and_b64 vcc, exec, s[48:49]
	s_cbranch_vccz .LBB4_3141
; %bb.3140:                             ;   in Loop: Header=BB4_3139 Depth=4
	s_mov_b64 vcc, -1
	s_or_b64 s[38:39], s[38:39], exec
	s_and_saveexec_b64 s[50:51], s[48:49]
	s_cbranch_execz .LBB4_3138
	s_branch .LBB4_3142
.LBB4_3141:                             ;   in Loop: Header=BB4_3139 Depth=4
	s_trap 2
	ds_read_b64 v[1:2], v0
	s_andn2_b64 s[48:49], s[48:49], exec
	s_mov_b32 s52, 0
	s_waitcnt vmcnt(0) lgkmcnt(0)
	flat_load_dword v1, v[1:2] glc
	s_waitcnt vmcnt(0) lgkmcnt(0)
	buffer_wbinvl1_vol
	v_cmp_eq_u32_e32 vcc, 0, v1
	s_and_b64 vcc, vcc, exec
	s_or_b64 s[48:49], s[48:49], vcc
	s_mov_b64 vcc, -1
	s_or_b64 s[38:39], s[38:39], exec
	s_and_saveexec_b64 s[50:51], s[48:49]
	s_cbranch_execz .LBB4_3138
.LBB4_3142:                             ;   in Loop: Header=BB4_3139 Depth=4
	s_sleep 1
	s_trap 2
	ds_read_b64 v[1:2], v0
	s_waitcnt lgkmcnt(0)
	buffer_load_dword v3, off, s[0:3], s33 offset:76 ; 4-byte Folded Reload
	buffer_load_dword v4, off, s[0:3], s33 offset:80 ; 4-byte Folded Reload
	s_andn2_b64 s[38:39], s[38:39], exec
	s_waitcnt vmcnt(0)
	v_cmp_ge_u64_e32 vcc, v[1:2], v[3:4]
	s_orn2_b64 vcc, vcc, exec
	s_branch .LBB4_3138
.LBB4_3143:                             ;   in Loop: Header=BB4_3084 Depth=3
	s_or_b64 exec, exec, s[34:35]
	s_and_saveexec_b64 vcc, s[36:37]
	s_xor_b64 vcc, exec, vcc
	s_cbranch_execz .LBB4_3145
; %bb.3144:                             ;   in Loop: Header=BB4_3084 Depth=3
	v_mov_b32_e32 v1, 1
	ds_write_b32 v0, v1
	s_trap 2
.LBB4_3145:                             ;   in Loop: Header=BB4_3084 Depth=3
	s_or_b64 exec, exec, s[30:31]
	;;#ASMSTART
	s_wakeup
	;;#ASMEND
.LBB4_3146:                             ;   in Loop: Header=BB4_3084 Depth=3
	s_or_b64 exec, exec, s[42:43]
.LBB4_3147:                             ;   in Loop: Header=BB4_3084 Depth=3
	s_andn2_saveexec_b64 s[40:41], s[40:41]
	s_cbranch_execz .LBB4_3149
; %bb.3148:                             ;   in Loop: Header=BB4_3084 Depth=3
	s_waitcnt vmcnt(0) lgkmcnt(0)
	buffer_wbinvl1_vol
	s_barrier
.LBB4_3149:                             ;   in Loop: Header=BB4_3084 Depth=3
	s_or_b64 exec, exec, s[40:41]
.LBB4_3150:                             ;   in Loop: Header=BB4_3084 Depth=3
	s_or_b64 exec, exec, s[28:29]
	s_trap 2
	s_waitcnt lgkmcnt(0)
	ds_read_b64 v[40:41], v0
	s_waitcnt lgkmcnt(0)
	v_cmp_eq_u64_e32 vcc, 0, v[40:41]
	s_cbranch_vccnz .LBB4_3158
; %bb.3151:                             ;   in Loop: Header=BB4_3084 Depth=3
	s_trap 2
	ds_read_b64 v[53:54], v0
	s_waitcnt lgkmcnt(0)
	v_cmp_eq_u64_e32 vcc, 0, v[53:54]
	s_cbranch_vccnz .LBB4_3158
; %bb.3152:                             ;   in Loop: Header=BB4_3084 Depth=3
	s_mov_b64 s[40:41], -1
	s_and_saveexec_b64 s[28:29], s[24:25]
	s_cbranch_execz .LBB4_3154
; %bb.3153:                             ;   in Loop: Header=BB4_3084 Depth=3
	ds_read_b32 v1, v0 offset:720
	s_waitcnt lgkmcnt(0)
	v_and_b32_e32 v1, 15, v1
	v_cmp_eq_u32_e32 vcc, 0, v1
	s_orn2_b64 s[40:41], vcc, exec
.LBB4_3154:                             ;   in Loop: Header=BB4_3084 Depth=3
	s_or_b64 exec, exec, s[28:29]
	s_and_saveexec_b64 s[28:29], s[16:17]
	s_cbranch_execz .LBB4_3156
; %bb.3155:                             ;   in Loop: Header=BB4_3084 Depth=3
	ds_read_b32 v1, v0 offset:784
	s_waitcnt lgkmcnt(0)
	v_and_b32_e32 v1, 15, v1
	v_cmp_eq_u32_e32 vcc, 0, v1
	s_and_b64 s[42:43], s[40:41], vcc
	s_andn2_b64 s[40:41], s[40:41], exec
	s_and_b64 s[42:43], s[42:43], exec
	s_or_b64 s[40:41], s[40:41], s[42:43]
.LBB4_3156:                             ;   in Loop: Header=BB4_3084 Depth=3
	s_or_b64 exec, exec, s[28:29]
	v_cmp_eq_u32_e32 vcc, 0, v0
	buffer_load_dword v0, off, s[0:3], s33 offset:100 ; 4-byte Folded Reload
	buffer_load_dword v1, off, s[0:3], s33 offset:104 ; 4-byte Folded Reload
	buffer_load_dword v2, off, s[0:3], s33 offset:176 ; 4-byte Folded Reload
	s_xor_b64 s[40:41], s[40:41], -1
	s_mov_b64 s[28:29], -1
	v_mov_b32_e32 v6, 0
	s_waitcnt vmcnt(1)
	v_cndmask_b32_e32 v1, 0, v0, vcc
	v_cndmask_b32_e64 v0, 0, 1, s[40:41]
	v_cmp_ne_u32_e32 vcc, 0, v0
	v_mov_b32_e32 v7, v1
	buffer_store_dword v1, off, s[0:3], s33 offset:148 ; 4-byte Folded Spill
	s_cbranch_vccz .LBB4_3163
; %bb.3157:                             ;   in Loop: Header=BB4_3084 Depth=3
	s_and_saveexec_b64 s[40:41], s[28:29]
	s_cbranch_execnz .LBB4_6230
	s_branch .LBB4_7474
.LBB4_3158:                             ;   in Loop: Header=BB4_3084 Depth=3
	s_mov_b64 s[28:29], 0
	s_and_saveexec_b64 s[40:41], s[12:13]
	s_cbranch_execnz .LBB4_7475
.LBB4_3159:                             ;   in Loop: Header=BB4_3084 Depth=3
	s_or_b64 exec, exec, s[40:41]
                                        ; implicit-def: $vgpr0
	s_and_saveexec_b64 s[40:41], s[18:19]
	s_xor_b64 s[40:41], exec, s[40:41]
	s_cbranch_execz .LBB4_7493
.LBB4_3160:                             ;   in Loop: Header=BB4_3084 Depth=3
	buffer_load_dword v1, off, s[0:3], s33 offset:72 ; 4-byte Folded Reload
	s_waitcnt vmcnt(0)
	v_and_b32_e32 v0, 16, v1
	v_and_b32_e32 v1, 16, v1
	v_cmp_ne_u32_e32 vcc, 0, v1
	s_and_b64 s[42:43], vcc, s[28:29]
	s_and_saveexec_b64 s[28:29], s[42:43]
	s_cbranch_execz .LBB4_3162
; %bb.3161:                             ;   in Loop: Header=BB4_3084 Depth=3
	v_mov_b32_e32 v0, 1
	s_waitcnt lgkmcnt(0)
	buffer_wbinvl1_vol
.LBB4_3162:                             ;   in Loop: Header=BB4_3084 Depth=3
	s_or_b64 exec, exec, s[28:29]
	s_andn2_saveexec_b64 s[28:29], s[40:41]
	s_cbranch_execz .LBB4_7512
	s_branch .LBB4_7494
.LBB4_3163:                             ;   in Loop: Header=BB4_3084 Depth=3
	buffer_load_dword v1, off, s[0:3], s33 offset:148 ; 4-byte Folded Reload
	s_waitcnt vmcnt(0)
	v_ashrrev_i32_e32 v0, 31, v1
	v_lshrrev_b32_e32 v0, 21, v0
	v_add_u32_e32 v0, v1, v0
	v_ashrrev_i32_e32 v1, 11, v0
	buffer_load_dword v0, off, s[0:3], s33 offset:220 ; 4-byte Folded Reload
	s_waitcnt vmcnt(0)
	v_sub_u32_e32 v3, v1, v0
	v_cmp_lt_i32_e32 vcc, 0, v3
	s_and_saveexec_b64 s[42:43], vcc
	s_cbranch_execz .LBB4_5223
; %bb.3164:                             ;   in Loop: Header=BB4_3084 Depth=3
	buffer_store_dword v1, off, s[0:3], s33 offset:244 ; 4-byte Folded Spill
	s_trap 2
	buffer_load_dword v2, off, s[0:3], s33 offset:360 ; 4-byte Folded Reload
	ds_read_b64 v[0:1], v0
	s_waitcnt lgkmcnt(0)
	v_readfirstlane_b32 s40, v0
	s_bfe_i32 s30, s40, 0x80000
	s_and_b32 s41, s40, 3
	s_bfe_u32 s28, s40, 0x50002
	s_and_b32 s29, s40, 0x7c
	s_cmpk_eq_i32 s29, 0x7c
	s_flbit_i32_b32 s29, s41
	s_waitcnt vmcnt(0)
	v_add_co_u32_e32 v44, vcc, v40, v2
	buffer_store_dword v40, off, s[0:3], s33 offset:236 ; 4-byte Folded Spill
	s_nop 0
	buffer_store_dword v41, off, s[0:3], s33 offset:240 ; 4-byte Folded Spill
	v_addc_co_u32_e32 v45, vcc, 0, v41, vcc
	v_add_co_u32_e32 v46, vcc, v0, v2
	v_addc_co_u32_e32 v47, vcc, 0, v1, vcc
	v_add_co_u32_e32 v56, vcc, v53, v2
	buffer_store_dword v53, off, s[0:3], s33 offset:228 ; 4-byte Folded Spill
	s_nop 0
	buffer_store_dword v54, off, s[0:3], s33 offset:232 ; 4-byte Folded Spill
	v_mov_b32_e32 v2, 0x7f800000
	v_addc_co_u32_e32 v57, vcc, 0, v54, vcc
	s_cselect_b64 vcc, -1, 0
	s_min_u32 s29, s29, 32
	s_sub_i32 s31, s29, 29
	v_lshlrev_b64 v[0:1], s31, v[0:1]
	s_sub_i32 s29, 30, s29
	s_cmp_eq_u32 s28, 0
	v_and_b32_e32 v0, 3, v0
	s_cselect_b32 s31, s29, s28
	v_mov_b32_e32 v1, s41
	s_cselect_b64 s[28:29], -1, 0
	v_cndmask_b32_e64 v0, v1, v0, s[28:29]
	s_lshl_b32 s28, s40, 24
	s_and_b32 s28, s28, 0x80000000
	s_lshl_b32 s29, s31, 23
	s_add_i32 s29, s29, s28
	v_lshlrev_b32_e32 v0, 21, v0
	s_cmp_eq_u32 s41, 0
	s_sext_i32_i8 s40, s40
	v_or_b32_e32 v0, s29, v0
	s_cselect_b64 s[28:29], -1, 0
	s_cmp_gt_i32 s40, -1
	s_cselect_b64 s[40:41], -1, 0
	v_mov_b32_e32 v1, 0xff800000
	v_cndmask_b32_e64 v1, v1, v2, s[40:41]
	v_mov_b32_e32 v2, 0x7f800001
	v_add_u32_e32 v0, 0x38000000, v0
	v_cndmask_b32_e64 v1, v2, v1, s[28:29]
	v_cndmask_b32_e32 v5, v0, v1, vcc
	s_mov_b64 s[40:41], 0
	s_and_b32 s48, s30, 0xff
	s_branch .LBB4_3167
.LBB4_3165:                             ;   in Loop: Header=BB4_3167 Depth=4
	s_or_b64 exec, exec, s[30:31]
.LBB4_3166:                             ;   in Loop: Header=BB4_3167 Depth=4
	s_or_b64 exec, exec, s[28:29]
	v_lshl_or_b32 v1, v50, 8, v37
	v_lshlrev_b32_e32 v2, 16, v55
	v_lshlrev_b32_e32 v4, 24, v12
	v_or3_b32 v11, v1, v2, v4
	v_lshl_or_b32 v1, v18, 8, v6
	v_lshlrev_b32_e32 v2, 16, v21
	v_lshlrev_b32_e32 v4, 24, v32
	v_or3_b32 v10, v1, v2, v4
	v_lshl_or_b32 v1, v38, 8, v13
	v_lshlrev_b32_e32 v2, 16, v54
	v_lshlrev_b32_e32 v4, 24, v59
	v_or3_b32 v12, v1, v2, v4
	v_lshlrev_b32_e32 v1, 24, v14
	v_lshlrev_b32_e32 v2, 16, v53
	v_lshl_or_b32 v4, v49, 8, v33
	v_or3_b32 v13, v4, v2, v1
	v_lshl_or_b32 v1, v31, 8, v23
	v_lshlrev_b32_e32 v2, 16, v35
	v_lshlrev_b32_e32 v4, 24, v8
	v_or3_b32 v31, v1, v2, v4
	v_lshl_or_b32 v1, v26, 8, v15
	v_lshlrev_b32_e32 v2, 16, v36
	v_lshlrev_b32_e32 v4, 24, v48
	;; [unrolled: 4-line block ×3, first 2 shown]
	v_or3_b32 v32, v1, v2, v4
	v_lshlrev_b32_e32 v0, 24, v0
	v_lshlrev_b32_e32 v1, 16, v24
	v_lshl_or_b32 v2, v20, 8, v7
	v_or3_b32 v33, v2, v1, v0
	global_store_dwordx4 v[56:57], v[10:13], off glc slc
	global_store_dwordx4 v[56:57], v[30:33], off offset:1024 glc slc
	buffer_load_dword v1, off, s[0:3], s33 offset:112 ; 4-byte Folded Reload
	buffer_load_dword v0, off, s[0:3], s33 offset:92 ; 4-byte Folded Reload
	s_waitcnt vmcnt(1)
	v_add_co_u32_e32 v44, vcc, v44, v1
	v_addc_co_u32_e32 v45, vcc, 0, v45, vcc
	v_add_co_u32_e32 v46, vcc, v46, v1
	v_addc_co_u32_e32 v47, vcc, 0, v47, vcc
	s_waitcnt vmcnt(0)
	v_sub_u32_e32 v3, v3, v0
	v_cmp_gt_i32_e32 vcc, 1, v3
	s_or_b64 s[40:41], vcc, s[40:41]
	v_add_co_u32_e32 v56, vcc, v56, v1
	v_addc_co_u32_e32 v57, vcc, 0, v57, vcc
	s_andn2_b64 exec, exec, s[40:41]
	s_cbranch_execz .LBB4_5222
.LBB4_3167:                             ;   Parent Loop BB4_47 Depth=1
                                        ;     Parent Loop BB4_3081 Depth=2
                                        ;       Parent Loop BB4_3084 Depth=3
                                        ; =>      This Inner Loop Header: Depth=4
	s_cmpk_lt_i32 s48, 0x80
	s_cbranch_scc1 .LBB4_3171
; %bb.3168:                             ;   in Loop: Header=BB4_3167 Depth=4
	s_and_b32 vcc_lo, 0xffff, s48
	s_mov_b64 s[28:29], -1
	s_cmpk_eq_i32 vcc_lo, 0x80
	s_cbranch_scc0 .LBB4_3170
; %bb.3169:                             ;   in Loop: Header=BB4_3167 Depth=4
	s_mov_b64 s[28:29], 0
.LBB4_3170:                             ;   in Loop: Header=BB4_3167 Depth=4
	s_brev_b32 s30, 1
	s_branch .LBB4_3173
.LBB4_3171:                             ;   in Loop: Header=BB4_3167 Depth=4
	s_mov_b64 s[28:29], 0
	s_brev_b32 s30, 1
	s_cbranch_execz .LBB4_3173
; %bb.3172:                             ;   in Loop: Header=BB4_3167 Depth=4
	s_and_b32 s28, 0xffff, s48
	s_cmp_lg_u32 s28, 0
	s_mov_b32 s30, 0
	s_cselect_b64 s[28:29], -1, 0
.LBB4_3173:                             ;   in Loop: Header=BB4_3167 Depth=4
	s_andn2_b64 vcc, exec, s[28:29]
	v_mov_b32_e32 v12, s30
	s_cbranch_vccnz .LBB4_3175
; %bb.3174:                             ;   in Loop: Header=BB4_3167 Depth=4
	v_mov_b32_e32 v12, v5
.LBB4_3175:                             ;   in Loop: Header=BB4_3167 Depth=4
	global_load_dwordx4 v[8:11], v[44:45], off glc slc
	v_mov_b32_e32 v0, 0
	s_waitcnt vmcnt(0)
	v_cmp_ne_u16_sdwa vcc, v8, v17 src0_sel:BYTE_0 src1_sel:DWORD
	s_and_saveexec_b64 s[28:29], vcc
	s_cbranch_execz .LBB4_3183
; %bb.3176:                             ;   in Loop: Header=BB4_3167 Depth=4
	v_cmp_ne_u16_sdwa vcc, sext(v8), s97 src0_sel:BYTE_0 src1_sel:DWORD
	v_bfrev_b32_e32 v0, 1
	s_and_saveexec_b64 s[30:31], vcc
	s_cbranch_execz .LBB4_3182
; %bb.3177:                             ;   in Loop: Header=BB4_3167 Depth=4
	v_and_b32_e32 v0, 0x7c, v8
	v_and_b32_e32 v1, 3, v8
	v_cmp_ne_u32_e32 vcc, s85, v0
                                        ; implicit-def: $vgpr0
	s_and_saveexec_b64 s[34:35], vcc
	s_xor_b64 s[34:35], exec, s[34:35]
	s_cbranch_execz .LBB4_3179
; %bb.3178:                             ;   in Loop: Header=BB4_3167 Depth=4
	v_ffbh_u32_e32 v2, v1
	v_min_u32_e32 v2, 32, v2
	v_bfe_u32 v0, v8, 2, 5
	v_subrev_u32_e32 v4, 29, v2
	v_lshlrev_b64 v[6:7], v4, v[8:9]
	v_sub_u32_e32 v2, 30, v2
	v_cmp_eq_u32_e32 vcc, 0, v0
	v_cndmask_b32_e32 v0, v0, v2, vcc
	v_lshlrev_b32_e32 v2, 24, v8
	v_and_b32_e32 v4, 3, v6
	v_and_b32_e32 v2, 0x80000000, v2
	v_cndmask_b32_e32 v1, v1, v4, vcc
	v_lshl_add_u32 v0, v0, 23, v2
	v_lshl_or_b32 v0, v1, 21, v0
	v_add_u32_e32 v0, 0x38000000, v0
                                        ; implicit-def: $vgpr1
.LBB4_3179:                             ;   in Loop: Header=BB4_3167 Depth=4
	s_andn2_saveexec_b64 s[34:35], s[34:35]
; %bb.3180:                             ;   in Loop: Header=BB4_3167 Depth=4
	v_mov_b32_e32 v0, -1
	v_cmp_gt_i16_sdwa vcc, sext(v8), v0 src0_sel:BYTE_0 src1_sel:DWORD
	v_mov_b32_e32 v0, 0xff800000
	v_mov_b32_e32 v2, 0x7f800000
	v_cndmask_b32_e32 v0, v0, v2, vcc
	v_cmp_eq_u32_e32 vcc, 0, v1
	v_mov_b32_e32 v1, 0x7f800001
	v_cndmask_b32_e32 v0, v1, v0, vcc
; %bb.3181:                             ;   in Loop: Header=BB4_3167 Depth=4
	s_or_b64 exec, exec, s[34:35]
.LBB4_3182:                             ;   in Loop: Header=BB4_3167 Depth=4
	s_or_b64 exec, exec, s[30:31]
.LBB4_3183:                             ;   in Loop: Header=BB4_3167 Depth=4
	s_or_b64 exec, exec, s[28:29]
	v_mul_f32_e32 v0, v12, v0
	v_and_b32_e32 v1, 0x7f800000, v0
	v_mov_b32_e32 v2, v17
	v_cmp_ne_u64_e32 vcc, s[76:77], v[1:2]
	v_and_b32_e32 v16, 0x7fffff, v0
                                        ; implicit-def: $vgpr6
	s_and_saveexec_b64 s[28:29], vcc
	s_xor_b64 s[30:31], exec, s[28:29]
	s_cbranch_execz .LBB4_3197
; %bb.3184:                             ;   in Loop: Header=BB4_3167 Depth=4
	v_and_b32_e32 v1, 0x7fffffff, v0
	v_mov_b32_e32 v2, v17
	v_cmp_gt_u64_e32 vcc, s[78:79], v[1:2]
	v_and_b32_sdwa v7, v0, s96 dst_sel:DWORD dst_unused:UNUSED_PAD src0_sel:BYTE_3 src1_sel:DWORD
                                        ; implicit-def: $vgpr6
	s_and_saveexec_b64 s[28:29], vcc
	s_xor_b64 s[34:35], exec, s[28:29]
	s_cbranch_execz .LBB4_3194
; %bb.3185:                             ;   in Loop: Header=BB4_3167 Depth=4
	v_mov_b32_e32 v6, 0
	v_cmp_ne_u32_e32 vcc, 0, v0
	s_and_saveexec_b64 s[36:37], vcc
	s_cbranch_execz .LBB4_3193
; %bb.3186:                             ;   in Loop: Header=BB4_3167 Depth=4
	v_bfe_u32 v4, v0, 23, 8
	v_cmp_gt_u32_e64 s[28:29], s46, v4
	v_sub_u32_e32 v0, 0x71, v4
	v_cmp_eq_u32_e32 vcc, 0, v4
	v_cndmask_b32_e64 v0, 0, v0, s[28:29]
	v_mov_b32_e32 v2, 0x70
	v_cndmask_b32_e32 v6, v0, v2, vcc
	v_add_u32_e32 v2, 21, v6
	v_or_b32_e32 v1, 0x800000, v16
	v_lshlrev_b64 v[13:14], v2, -1
	v_cndmask_b32_e32 v0, v1, v16, vcc
	v_mov_b32_e32 v1, v17
	v_add_u32_e32 v2, 20, v6
	v_bfi_b32 v13, v13, 0, v0
	v_lshlrev_b64 v[15:16], v2, 1
	v_lshrrev_b64 v[0:1], v6, v[0:1]
	v_bfi_b32 v14, v14, 0, 0
	v_cmp_eq_u64_e64 s[28:29], v[13:14], v[15:16]
	v_mov_b32_e32 v2, v1
	v_mov_b32_e32 v1, v0
	s_and_saveexec_b64 s[38:39], s[28:29]
; %bb.3187:                             ;   in Loop: Header=BB4_3167 Depth=4
	v_bfe_u32 v1, v0, 21, 1
	v_add_co_u32_e64 v1, s[28:29], v0, v1
	v_add_co_u32_e64 v1, s[28:29], -1, v1
; %bb.3188:                             ;   in Loop: Header=BB4_3167 Depth=4
	s_or_b64 exec, exec, s[38:39]
	v_add_u32_e32 v2, 0xffffff81, v4
	v_mov_b32_e32 v4, 0xffffff82
	v_cndmask_b32_e32 v2, v2, v4, vcc
	v_lshrrev_b32_e32 v4, 23, v0
	v_add3_u32 v6, v6, v2, v4
	v_add_u32_e32 v4, 14, v6
	v_and_b32_e32 v1, 0x1fffff, v1
	v_add_u32_e32 v16, v1, v0
	v_cmp_ne_u32_e32 vcc, 0, v4
                                        ; implicit-def: $vgpr0_vgpr1
                                        ; implicit-def: $vgpr2
	s_and_saveexec_b64 s[28:29], vcc
	s_xor_b64 s[28:29], exec, s[28:29]
; %bb.3189:                             ;   in Loop: Header=BB4_3167 Depth=4
	v_cmp_lt_u64_e32 vcc, s[88:89], v[16:17]
	v_add_u32_e32 v0, 15, v6
	v_cndmask_b32_e32 v2, v4, v0, vcc
	v_cndmask_b32_e64 v0, 0, 1, vcc
	v_lshrrev_b64 v[0:1], v0, v[16:17]
; %bb.3190:                             ;   in Loop: Header=BB4_3167 Depth=4
	s_andn2_saveexec_b64 s[28:29], s[28:29]
; %bb.3191:                             ;   in Loop: Header=BB4_3167 Depth=4
	v_mov_b32_e32 v0, v16
	v_mov_b32_e32 v1, v17
	v_bfe_u32 v2, v16, 23, 1
; %bb.3192:                             ;   in Loop: Header=BB4_3167 Depth=4
	s_or_b64 exec, exec, s[28:29]
	v_lshrrev_b64 v[0:1], 21, v[0:1]
	v_cmp_gt_i32_e32 vcc, 32, v2
	v_cndmask_b32_e32 v1, 0, v1, vcc
	v_cndmask_b32_e32 v0, 3, v0, vcc
	v_cmp_eq_u64_e64 s[28:29], 0, v[0:1]
	v_min_i32_e32 v1, 31, v2
	v_lshlrev_b32_e32 v1, 2, v1
	v_cmp_eq_u32_e32 vcc, 0, v2
	v_and_b32_e32 v1, 0xfc, v1
	v_and_or_b32 v0, v0, 3, v1
	s_and_b64 s[28:29], vcc, s[28:29]
	v_cndmask_b32_e64 v0, v0, 0, s[28:29]
	v_or_b32_e32 v6, v0, v7
.LBB4_3193:                             ;   in Loop: Header=BB4_3167 Depth=4
	s_or_b64 exec, exec, s[36:37]
                                        ; implicit-def: $vgpr7
.LBB4_3194:                             ;   in Loop: Header=BB4_3167 Depth=4
	s_andn2_saveexec_b64 s[28:29], s[34:35]
; %bb.3195:                             ;   in Loop: Header=BB4_3167 Depth=4
	v_or_b32_e32 v6, 0x7b, v7
; %bb.3196:                             ;   in Loop: Header=BB4_3167 Depth=4
	s_or_b64 exec, exec, s[28:29]
                                        ; implicit-def: $vgpr0
.LBB4_3197:                             ;   in Loop: Header=BB4_3167 Depth=4
	s_andn2_saveexec_b64 s[28:29], s[30:31]
	s_cbranch_execz .LBB4_3203
; %bb.3198:                             ;   in Loop: Header=BB4_3167 Depth=4
	v_cmp_ne_u64_e32 vcc, 0, v[16:17]
                                        ; implicit-def: $vgpr6
	s_and_saveexec_b64 s[30:31], vcc
	s_xor_b64 vcc, exec, s[30:31]
; %bb.3199:                             ;   in Loop: Header=BB4_3167 Depth=4
	v_or_b32_sdwa v6, v0, s47 dst_sel:DWORD dst_unused:UNUSED_PAD src0_sel:BYTE_3 src1_sel:DWORD
                                        ; implicit-def: $vgpr0
; %bb.3200:                             ;   in Loop: Header=BB4_3167 Depth=4
	s_andn2_saveexec_b64 s[30:31], vcc
; %bb.3201:                             ;   in Loop: Header=BB4_3167 Depth=4
	v_cmp_lt_i32_e32 vcc, -1, v0
	v_bfrev_b32_e32 v0, 0.5
	v_cndmask_b32_e32 v6, v0, v52, vcc
; %bb.3202:                             ;   in Loop: Header=BB4_3167 Depth=4
	s_or_b64 exec, exec, s[30:31]
.LBB4_3203:                             ;   in Loop: Header=BB4_3167 Depth=4
	s_or_b64 exec, exec, s[28:29]
	v_lshrrev_b16_e32 v0, 8, v8
	v_cmp_ne_u16_e32 vcc, 0, v0
	v_mov_b32_e32 v1, 0
	s_and_saveexec_b64 s[28:29], vcc
	s_cbranch_execz .LBB4_3211
; %bb.3204:                             ;   in Loop: Header=BB4_3167 Depth=4
	v_cmp_ne_u16_e32 vcc, s96, v0
	v_bfrev_b32_e32 v1, 1
	s_and_saveexec_b64 s[30:31], vcc
	s_cbranch_execz .LBB4_3210
; %bb.3205:                             ;   in Loop: Header=BB4_3167 Depth=4
	v_and_b32_e32 v1, 0x7c, v0
	v_and_b32_e32 v2, 3, v0
	v_cmp_ne_u32_e32 vcc, s85, v1
                                        ; implicit-def: $vgpr1
	s_and_saveexec_b64 s[34:35], vcc
	s_xor_b64 s[34:35], exec, s[34:35]
	s_cbranch_execz .LBB4_3207
; %bb.3206:                             ;   in Loop: Header=BB4_3167 Depth=4
	v_ffbh_u32_e32 v7, v2
	v_min_u32_e32 v7, 32, v7
	v_mov_b32_e32 v1, v17
	v_subrev_u32_e32 v13, 29, v7
	v_bfe_u32 v4, v0, 2, 5
	v_lshlrev_b64 v[0:1], v13, v[0:1]
	v_cmp_eq_u32_e32 vcc, 0, v4
	v_and_b32_e32 v0, 3, v0
	v_sub_u32_e32 v1, 30, v7
	v_cndmask_b32_e32 v0, v2, v0, vcc
	v_lshlrev_b32_e32 v2, 16, v8
	v_cndmask_b32_e32 v1, v4, v1, vcc
	v_and_b32_e32 v2, 0x80000000, v2
	v_lshl_add_u32 v1, v1, 23, v2
	v_lshl_or_b32 v0, v0, 21, v1
	v_add_u32_e32 v1, 0x38000000, v0
                                        ; implicit-def: $vgpr2
.LBB4_3207:                             ;   in Loop: Header=BB4_3167 Depth=4
	s_andn2_saveexec_b64 s[34:35], s[34:35]
; %bb.3208:                             ;   in Loop: Header=BB4_3167 Depth=4
	v_cmp_lt_i16_e32 vcc, -1, v8
	v_mov_b32_e32 v0, 0xff800000
	v_mov_b32_e32 v1, 0x7f800000
	v_cndmask_b32_e32 v0, v0, v1, vcc
	v_cmp_eq_u32_e32 vcc, 0, v2
	v_mov_b32_e32 v1, 0x7f800001
	v_cndmask_b32_e32 v1, v1, v0, vcc
; %bb.3209:                             ;   in Loop: Header=BB4_3167 Depth=4
	s_or_b64 exec, exec, s[34:35]
.LBB4_3210:                             ;   in Loop: Header=BB4_3167 Depth=4
	s_or_b64 exec, exec, s[30:31]
.LBB4_3211:                             ;   in Loop: Header=BB4_3167 Depth=4
	s_or_b64 exec, exec, s[28:29]
	v_mul_f32_e32 v0, v12, v1
	v_and_b32_e32 v1, 0x7f800000, v0
	v_mov_b32_e32 v2, v17
	v_cmp_ne_u64_e32 vcc, s[76:77], v[1:2]
	v_and_b32_e32 v16, 0x7fffff, v0
                                        ; implicit-def: $vgpr18
	s_and_saveexec_b64 s[28:29], vcc
	s_xor_b64 s[30:31], exec, s[28:29]
	s_cbranch_execz .LBB4_3225
; %bb.3212:                             ;   in Loop: Header=BB4_3167 Depth=4
	v_and_b32_e32 v1, 0x7fffffff, v0
	v_mov_b32_e32 v2, v17
	v_cmp_gt_u64_e32 vcc, s[78:79], v[1:2]
	v_and_b32_sdwa v7, v0, s96 dst_sel:DWORD dst_unused:UNUSED_PAD src0_sel:BYTE_3 src1_sel:DWORD
                                        ; implicit-def: $vgpr18
	s_and_saveexec_b64 s[28:29], vcc
	s_xor_b64 s[34:35], exec, s[28:29]
	s_cbranch_execz .LBB4_3222
; %bb.3213:                             ;   in Loop: Header=BB4_3167 Depth=4
	v_mov_b32_e32 v18, 0
	v_cmp_ne_u32_e32 vcc, 0, v0
	s_and_saveexec_b64 s[36:37], vcc
	s_cbranch_execz .LBB4_3221
; %bb.3214:                             ;   in Loop: Header=BB4_3167 Depth=4
	v_bfe_u32 v4, v0, 23, 8
	v_cmp_gt_u32_e64 s[28:29], s46, v4
	v_sub_u32_e32 v0, 0x71, v4
	v_cmp_eq_u32_e32 vcc, 0, v4
	v_cndmask_b32_e64 v0, 0, v0, s[28:29]
	v_mov_b32_e32 v2, 0x70
	v_cndmask_b32_e32 v13, v0, v2, vcc
	v_add_u32_e32 v2, 21, v13
	v_or_b32_e32 v1, 0x800000, v16
	v_lshlrev_b64 v[14:15], v2, -1
	v_cndmask_b32_e32 v0, v1, v16, vcc
	v_mov_b32_e32 v1, v17
	v_add_u32_e32 v2, 20, v13
	v_bfi_b32 v14, v14, 0, v0
	v_lshlrev_b64 v[18:19], v2, 1
	v_lshrrev_b64 v[0:1], v13, v[0:1]
	v_bfi_b32 v15, v15, 0, 0
	v_cmp_eq_u64_e64 s[28:29], v[14:15], v[18:19]
	v_mov_b32_e32 v2, v1
	v_mov_b32_e32 v1, v0
	s_and_saveexec_b64 s[38:39], s[28:29]
; %bb.3215:                             ;   in Loop: Header=BB4_3167 Depth=4
	v_bfe_u32 v1, v0, 21, 1
	v_add_co_u32_e64 v1, s[28:29], v0, v1
	v_add_co_u32_e64 v1, s[28:29], -1, v1
; %bb.3216:                             ;   in Loop: Header=BB4_3167 Depth=4
	s_or_b64 exec, exec, s[38:39]
	v_add_u32_e32 v2, 0xffffff81, v4
	v_mov_b32_e32 v4, 0xffffff82
	v_cndmask_b32_e32 v2, v2, v4, vcc
	v_lshrrev_b32_e32 v4, 23, v0
	v_add3_u32 v13, v13, v2, v4
	v_add_u32_e32 v4, 14, v13
	v_and_b32_e32 v1, 0x1fffff, v1
	v_add_u32_e32 v16, v1, v0
	v_cmp_ne_u32_e32 vcc, 0, v4
                                        ; implicit-def: $vgpr0_vgpr1
                                        ; implicit-def: $vgpr2
	s_and_saveexec_b64 s[28:29], vcc
	s_xor_b64 s[28:29], exec, s[28:29]
; %bb.3217:                             ;   in Loop: Header=BB4_3167 Depth=4
	v_cmp_lt_u64_e32 vcc, s[88:89], v[16:17]
	v_add_u32_e32 v0, 15, v13
	v_cndmask_b32_e32 v2, v4, v0, vcc
	v_cndmask_b32_e64 v0, 0, 1, vcc
	v_lshrrev_b64 v[0:1], v0, v[16:17]
; %bb.3218:                             ;   in Loop: Header=BB4_3167 Depth=4
	s_andn2_saveexec_b64 s[28:29], s[28:29]
; %bb.3219:                             ;   in Loop: Header=BB4_3167 Depth=4
	v_mov_b32_e32 v0, v16
	v_mov_b32_e32 v1, v17
	v_bfe_u32 v2, v16, 23, 1
; %bb.3220:                             ;   in Loop: Header=BB4_3167 Depth=4
	s_or_b64 exec, exec, s[28:29]
	v_lshrrev_b64 v[0:1], 21, v[0:1]
	v_cmp_gt_i32_e32 vcc, 32, v2
	v_cndmask_b32_e32 v1, 0, v1, vcc
	v_cndmask_b32_e32 v0, 3, v0, vcc
	v_cmp_eq_u64_e64 s[28:29], 0, v[0:1]
	v_min_i32_e32 v1, 31, v2
	v_lshlrev_b32_e32 v1, 2, v1
	v_cmp_eq_u32_e32 vcc, 0, v2
	v_and_b32_e32 v1, 0xfc, v1
	v_and_or_b32 v0, v0, 3, v1
	s_and_b64 s[28:29], vcc, s[28:29]
	v_cndmask_b32_e64 v0, v0, 0, s[28:29]
	v_or_b32_e32 v18, v0, v7
.LBB4_3221:                             ;   in Loop: Header=BB4_3167 Depth=4
	s_or_b64 exec, exec, s[36:37]
                                        ; implicit-def: $vgpr7
.LBB4_3222:                             ;   in Loop: Header=BB4_3167 Depth=4
	s_andn2_saveexec_b64 s[28:29], s[34:35]
; %bb.3223:                             ;   in Loop: Header=BB4_3167 Depth=4
	v_or_b32_e32 v18, 0x7b, v7
; %bb.3224:                             ;   in Loop: Header=BB4_3167 Depth=4
	s_or_b64 exec, exec, s[28:29]
                                        ; implicit-def: $vgpr0
.LBB4_3225:                             ;   in Loop: Header=BB4_3167 Depth=4
	s_andn2_saveexec_b64 s[28:29], s[30:31]
	s_cbranch_execz .LBB4_3231
; %bb.3226:                             ;   in Loop: Header=BB4_3167 Depth=4
	v_cmp_ne_u64_e32 vcc, 0, v[16:17]
                                        ; implicit-def: $vgpr18
	s_and_saveexec_b64 s[30:31], vcc
	s_xor_b64 vcc, exec, s[30:31]
; %bb.3227:                             ;   in Loop: Header=BB4_3167 Depth=4
	v_or_b32_sdwa v18, v0, s47 dst_sel:DWORD dst_unused:UNUSED_PAD src0_sel:BYTE_3 src1_sel:DWORD
                                        ; implicit-def: $vgpr0
; %bb.3228:                             ;   in Loop: Header=BB4_3167 Depth=4
	s_andn2_saveexec_b64 s[30:31], vcc
; %bb.3229:                             ;   in Loop: Header=BB4_3167 Depth=4
	v_cmp_lt_i32_e32 vcc, -1, v0
	v_bfrev_b32_e32 v0, 0.5
	v_cndmask_b32_e32 v18, v0, v52, vcc
; %bb.3230:                             ;   in Loop: Header=BB4_3167 Depth=4
	s_or_b64 exec, exec, s[30:31]
.LBB4_3231:                             ;   in Loop: Header=BB4_3167 Depth=4
	s_or_b64 exec, exec, s[28:29]
	v_lshrrev_b32_e32 v0, 16, v8
	v_cmp_ne_u16_sdwa vcc, v0, v17 src0_sel:BYTE_0 src1_sel:DWORD
	v_mov_b32_e32 v1, 0
	s_and_saveexec_b64 s[28:29], vcc
	s_cbranch_execz .LBB4_3239
; %bb.3232:                             ;   in Loop: Header=BB4_3167 Depth=4
	v_cmp_ne_u16_sdwa vcc, v0, s96 src0_sel:BYTE_0 src1_sel:DWORD
	v_bfrev_b32_e32 v1, 1
	s_and_saveexec_b64 s[30:31], vcc
	s_cbranch_execz .LBB4_3238
; %bb.3233:                             ;   in Loop: Header=BB4_3167 Depth=4
	v_and_b32_e32 v1, 0x7c0000, v8
	v_bfe_u32 v2, v8, 16, 2
	v_cmp_ne_u32_e32 vcc, s44, v1
                                        ; implicit-def: $vgpr1
	s_and_saveexec_b64 s[34:35], vcc
	s_xor_b64 s[34:35], exec, s[34:35]
	s_cbranch_execz .LBB4_3235
; %bb.3234:                             ;   in Loop: Header=BB4_3167 Depth=4
	v_ffbh_u32_e32 v1, v2
	v_min_u32_e32 v7, 32, v1
	v_subrev_u32_e32 v1, 29, v7
	v_lshlrev_b64 v[0:1], v1, v[0:1]
	v_bfe_u32 v4, v8, 18, 5
	v_and_b32_e32 v0, 3, v0
	v_cmp_eq_u32_e32 vcc, 0, v4
	v_sub_u32_e32 v1, 30, v7
	v_cndmask_b32_e32 v0, v2, v0, vcc
	v_lshlrev_b32_e32 v2, 8, v8
	v_cndmask_b32_e32 v1, v4, v1, vcc
	v_and_b32_e32 v2, 0x80000000, v2
	v_lshl_add_u32 v1, v1, 23, v2
	v_lshl_or_b32 v0, v0, 21, v1
	v_add_u32_e32 v1, 0x38000000, v0
                                        ; implicit-def: $vgpr2
                                        ; implicit-def: $vgpr0
.LBB4_3235:                             ;   in Loop: Header=BB4_3167 Depth=4
	s_andn2_saveexec_b64 s[34:35], s[34:35]
; %bb.3236:                             ;   in Loop: Header=BB4_3167 Depth=4
	v_mov_b32_e32 v1, -1
	v_cmp_gt_i16_sdwa vcc, sext(v0), v1 src0_sel:BYTE_0 src1_sel:DWORD
	v_mov_b32_e32 v0, 0xff800000
	v_mov_b32_e32 v1, 0x7f800000
	v_cndmask_b32_e32 v0, v0, v1, vcc
	v_cmp_eq_u32_e32 vcc, 0, v2
	v_mov_b32_e32 v1, 0x7f800001
	v_cndmask_b32_e32 v1, v1, v0, vcc
; %bb.3237:                             ;   in Loop: Header=BB4_3167 Depth=4
	s_or_b64 exec, exec, s[34:35]
.LBB4_3238:                             ;   in Loop: Header=BB4_3167 Depth=4
	s_or_b64 exec, exec, s[30:31]
.LBB4_3239:                             ;   in Loop: Header=BB4_3167 Depth=4
	s_or_b64 exec, exec, s[28:29]
	v_mul_f32_e32 v0, v12, v1
	v_and_b32_e32 v1, 0x7f800000, v0
	v_mov_b32_e32 v2, v17
	v_cmp_ne_u64_e32 vcc, s[76:77], v[1:2]
	v_and_b32_e32 v16, 0x7fffff, v0
                                        ; implicit-def: $vgpr21
	s_and_saveexec_b64 s[28:29], vcc
	s_xor_b64 s[30:31], exec, s[28:29]
	s_cbranch_execz .LBB4_3253
; %bb.3240:                             ;   in Loop: Header=BB4_3167 Depth=4
	v_and_b32_e32 v1, 0x7fffffff, v0
	v_mov_b32_e32 v2, v17
	v_cmp_gt_u64_e32 vcc, s[78:79], v[1:2]
	v_and_b32_sdwa v7, v0, s96 dst_sel:DWORD dst_unused:UNUSED_PAD src0_sel:BYTE_3 src1_sel:DWORD
                                        ; implicit-def: $vgpr21
	s_and_saveexec_b64 s[28:29], vcc
	s_xor_b64 s[34:35], exec, s[28:29]
	s_cbranch_execz .LBB4_3250
; %bb.3241:                             ;   in Loop: Header=BB4_3167 Depth=4
	v_mov_b32_e32 v21, 0
	v_cmp_ne_u32_e32 vcc, 0, v0
	s_and_saveexec_b64 s[36:37], vcc
	s_cbranch_execz .LBB4_3249
; %bb.3242:                             ;   in Loop: Header=BB4_3167 Depth=4
	v_bfe_u32 v4, v0, 23, 8
	v_cmp_gt_u32_e64 s[28:29], s46, v4
	v_sub_u32_e32 v0, 0x71, v4
	v_cmp_eq_u32_e32 vcc, 0, v4
	v_cndmask_b32_e64 v0, 0, v0, s[28:29]
	v_mov_b32_e32 v2, 0x70
	v_cndmask_b32_e32 v13, v0, v2, vcc
	v_add_u32_e32 v2, 21, v13
	v_or_b32_e32 v1, 0x800000, v16
	v_lshlrev_b64 v[14:15], v2, -1
	v_cndmask_b32_e32 v0, v1, v16, vcc
	v_mov_b32_e32 v1, v17
	v_add_u32_e32 v2, 20, v13
	v_bfi_b32 v14, v14, 0, v0
	v_lshlrev_b64 v[19:20], v2, 1
	v_lshrrev_b64 v[0:1], v13, v[0:1]
	v_bfi_b32 v15, v15, 0, 0
	v_cmp_eq_u64_e64 s[28:29], v[14:15], v[19:20]
	v_mov_b32_e32 v2, v1
	v_mov_b32_e32 v1, v0
	s_and_saveexec_b64 s[38:39], s[28:29]
; %bb.3243:                             ;   in Loop: Header=BB4_3167 Depth=4
	v_bfe_u32 v1, v0, 21, 1
	v_add_co_u32_e64 v1, s[28:29], v0, v1
	v_add_co_u32_e64 v1, s[28:29], -1, v1
; %bb.3244:                             ;   in Loop: Header=BB4_3167 Depth=4
	s_or_b64 exec, exec, s[38:39]
	v_add_u32_e32 v2, 0xffffff81, v4
	v_mov_b32_e32 v4, 0xffffff82
	v_cndmask_b32_e32 v2, v2, v4, vcc
	v_lshrrev_b32_e32 v4, 23, v0
	v_add3_u32 v13, v13, v2, v4
	v_add_u32_e32 v4, 14, v13
	v_and_b32_e32 v1, 0x1fffff, v1
	v_add_u32_e32 v16, v1, v0
	v_cmp_ne_u32_e32 vcc, 0, v4
                                        ; implicit-def: $vgpr0_vgpr1
                                        ; implicit-def: $vgpr2
	s_and_saveexec_b64 s[28:29], vcc
	s_xor_b64 s[28:29], exec, s[28:29]
; %bb.3245:                             ;   in Loop: Header=BB4_3167 Depth=4
	v_cmp_lt_u64_e32 vcc, s[88:89], v[16:17]
	v_add_u32_e32 v0, 15, v13
	v_cndmask_b32_e32 v2, v4, v0, vcc
	v_cndmask_b32_e64 v0, 0, 1, vcc
	v_lshrrev_b64 v[0:1], v0, v[16:17]
; %bb.3246:                             ;   in Loop: Header=BB4_3167 Depth=4
	s_andn2_saveexec_b64 s[28:29], s[28:29]
; %bb.3247:                             ;   in Loop: Header=BB4_3167 Depth=4
	v_mov_b32_e32 v0, v16
	v_mov_b32_e32 v1, v17
	v_bfe_u32 v2, v16, 23, 1
; %bb.3248:                             ;   in Loop: Header=BB4_3167 Depth=4
	s_or_b64 exec, exec, s[28:29]
	v_lshrrev_b64 v[0:1], 21, v[0:1]
	v_cmp_gt_i32_e32 vcc, 32, v2
	v_cndmask_b32_e32 v1, 0, v1, vcc
	v_cndmask_b32_e32 v0, 3, v0, vcc
	v_cmp_eq_u64_e64 s[28:29], 0, v[0:1]
	v_min_i32_e32 v1, 31, v2
	v_lshlrev_b32_e32 v1, 2, v1
	v_cmp_eq_u32_e32 vcc, 0, v2
	v_and_b32_e32 v1, 0xfc, v1
	v_and_or_b32 v0, v0, 3, v1
	s_and_b64 s[28:29], vcc, s[28:29]
	v_cndmask_b32_e64 v0, v0, 0, s[28:29]
	v_or_b32_e32 v21, v0, v7
.LBB4_3249:                             ;   in Loop: Header=BB4_3167 Depth=4
	s_or_b64 exec, exec, s[36:37]
                                        ; implicit-def: $vgpr7
.LBB4_3250:                             ;   in Loop: Header=BB4_3167 Depth=4
	s_andn2_saveexec_b64 s[28:29], s[34:35]
; %bb.3251:                             ;   in Loop: Header=BB4_3167 Depth=4
	v_or_b32_e32 v21, 0x7b, v7
; %bb.3252:                             ;   in Loop: Header=BB4_3167 Depth=4
	s_or_b64 exec, exec, s[28:29]
                                        ; implicit-def: $vgpr0
.LBB4_3253:                             ;   in Loop: Header=BB4_3167 Depth=4
	s_andn2_saveexec_b64 s[28:29], s[30:31]
	s_cbranch_execz .LBB4_3259
; %bb.3254:                             ;   in Loop: Header=BB4_3167 Depth=4
	v_cmp_ne_u64_e32 vcc, 0, v[16:17]
                                        ; implicit-def: $vgpr21
	s_and_saveexec_b64 s[30:31], vcc
	s_xor_b64 vcc, exec, s[30:31]
; %bb.3255:                             ;   in Loop: Header=BB4_3167 Depth=4
	v_or_b32_sdwa v21, v0, s47 dst_sel:DWORD dst_unused:UNUSED_PAD src0_sel:BYTE_3 src1_sel:DWORD
                                        ; implicit-def: $vgpr0
; %bb.3256:                             ;   in Loop: Header=BB4_3167 Depth=4
	s_andn2_saveexec_b64 s[30:31], vcc
; %bb.3257:                             ;   in Loop: Header=BB4_3167 Depth=4
	v_cmp_lt_i32_e32 vcc, -1, v0
	v_bfrev_b32_e32 v0, 0.5
	v_cndmask_b32_e32 v21, v0, v52, vcc
; %bb.3258:                             ;   in Loop: Header=BB4_3167 Depth=4
	s_or_b64 exec, exec, s[30:31]
.LBB4_3259:                             ;   in Loop: Header=BB4_3167 Depth=4
	s_or_b64 exec, exec, s[28:29]
	v_cmp_lt_u32_e32 vcc, s57, v8
	v_mov_b32_e32 v1, 0
	s_and_saveexec_b64 s[28:29], vcc
	s_cbranch_execz .LBB4_3267
; %bb.3260:                             ;   in Loop: Header=BB4_3167 Depth=4
	v_lshrrev_b32_e32 v0, 24, v8
	v_cmp_ne_u32_e32 vcc, s96, v0
	v_bfrev_b32_e32 v1, 1
	s_and_saveexec_b64 s[30:31], vcc
	s_cbranch_execz .LBB4_3266
; %bb.3261:                             ;   in Loop: Header=BB4_3167 Depth=4
	v_and_b32_e32 v1, 0x7c000000, v8
	v_bfe_u32 v2, v8, 24, 2
	v_cmp_ne_u32_e32 vcc, s45, v1
                                        ; implicit-def: $vgpr1
	s_and_saveexec_b64 s[34:35], vcc
	s_xor_b64 s[34:35], exec, s[34:35]
	s_cbranch_execz .LBB4_3263
; %bb.3262:                             ;   in Loop: Header=BB4_3167 Depth=4
	v_ffbh_u32_e32 v1, v2
	v_min_u32_e32 v7, 32, v1
	v_subrev_u32_e32 v1, 29, v7
	v_lshlrev_b64 v[0:1], v1, v[0:1]
	v_bfe_u32 v4, v8, 26, 5
	v_sub_u32_e32 v1, 30, v7
	v_and_b32_e32 v0, 3, v0
	v_cmp_eq_u32_e32 vcc, 0, v4
	v_cndmask_b32_e32 v1, v4, v1, vcc
	v_cndmask_b32_e32 v0, v2, v0, vcc
	v_and_b32_e32 v2, 0x80000000, v8
	v_lshl_add_u32 v1, v1, 23, v2
	v_lshl_or_b32 v0, v0, 21, v1
	v_add_u32_e32 v1, 0x38000000, v0
                                        ; implicit-def: $vgpr2
.LBB4_3263:                             ;   in Loop: Header=BB4_3167 Depth=4
	s_andn2_saveexec_b64 s[34:35], s[34:35]
; %bb.3264:                             ;   in Loop: Header=BB4_3167 Depth=4
	v_cmp_lt_i32_e32 vcc, -1, v8
	v_mov_b32_e32 v0, 0xff800000
	v_mov_b32_e32 v1, 0x7f800000
	v_cndmask_b32_e32 v0, v0, v1, vcc
	v_cmp_eq_u32_e32 vcc, 0, v2
	v_mov_b32_e32 v1, 0x7f800001
	v_cndmask_b32_e32 v1, v1, v0, vcc
; %bb.3265:                             ;   in Loop: Header=BB4_3167 Depth=4
	s_or_b64 exec, exec, s[34:35]
.LBB4_3266:                             ;   in Loop: Header=BB4_3167 Depth=4
	s_or_b64 exec, exec, s[30:31]
.LBB4_3267:                             ;   in Loop: Header=BB4_3167 Depth=4
	s_or_b64 exec, exec, s[28:29]
	v_mul_f32_e32 v0, v12, v1
	v_and_b32_e32 v1, 0x7f800000, v0
	v_mov_b32_e32 v2, v17
	v_cmp_ne_u64_e32 vcc, s[76:77], v[1:2]
	v_and_b32_e32 v16, 0x7fffff, v0
                                        ; implicit-def: $vgpr32
	s_and_saveexec_b64 s[28:29], vcc
	s_xor_b64 s[30:31], exec, s[28:29]
	s_cbranch_execz .LBB4_3281
; %bb.3268:                             ;   in Loop: Header=BB4_3167 Depth=4
	v_and_b32_e32 v1, 0x7fffffff, v0
	v_mov_b32_e32 v2, v17
	v_cmp_gt_u64_e32 vcc, s[78:79], v[1:2]
	v_and_b32_sdwa v7, v0, s96 dst_sel:DWORD dst_unused:UNUSED_PAD src0_sel:BYTE_3 src1_sel:DWORD
                                        ; implicit-def: $vgpr32
	s_and_saveexec_b64 s[28:29], vcc
	s_xor_b64 s[34:35], exec, s[28:29]
	s_cbranch_execz .LBB4_3278
; %bb.3269:                             ;   in Loop: Header=BB4_3167 Depth=4
	v_mov_b32_e32 v32, 0
	v_cmp_ne_u32_e32 vcc, 0, v0
	s_and_saveexec_b64 s[36:37], vcc
	s_cbranch_execz .LBB4_3277
; %bb.3270:                             ;   in Loop: Header=BB4_3167 Depth=4
	v_bfe_u32 v4, v0, 23, 8
	v_cmp_gt_u32_e64 s[28:29], s46, v4
	v_sub_u32_e32 v0, 0x71, v4
	v_cmp_eq_u32_e32 vcc, 0, v4
	v_cndmask_b32_e64 v0, 0, v0, s[28:29]
	v_mov_b32_e32 v2, 0x70
	v_cndmask_b32_e32 v13, v0, v2, vcc
	v_add_u32_e32 v2, 21, v13
	v_or_b32_e32 v1, 0x800000, v16
	v_lshlrev_b64 v[14:15], v2, -1
	v_cndmask_b32_e32 v0, v1, v16, vcc
	v_mov_b32_e32 v1, v17
	v_add_u32_e32 v2, 20, v13
	v_bfi_b32 v14, v14, 0, v0
	v_lshlrev_b64 v[19:20], v2, 1
	v_lshrrev_b64 v[0:1], v13, v[0:1]
	v_bfi_b32 v15, v15, 0, 0
	v_cmp_eq_u64_e64 s[28:29], v[14:15], v[19:20]
	v_mov_b32_e32 v2, v1
	v_mov_b32_e32 v1, v0
	s_and_saveexec_b64 s[38:39], s[28:29]
; %bb.3271:                             ;   in Loop: Header=BB4_3167 Depth=4
	v_bfe_u32 v1, v0, 21, 1
	v_add_co_u32_e64 v1, s[28:29], v0, v1
	v_add_co_u32_e64 v1, s[28:29], -1, v1
; %bb.3272:                             ;   in Loop: Header=BB4_3167 Depth=4
	s_or_b64 exec, exec, s[38:39]
	v_add_u32_e32 v2, 0xffffff81, v4
	v_mov_b32_e32 v4, 0xffffff82
	v_cndmask_b32_e32 v2, v2, v4, vcc
	v_lshrrev_b32_e32 v4, 23, v0
	v_add3_u32 v13, v13, v2, v4
	v_add_u32_e32 v4, 14, v13
	v_and_b32_e32 v1, 0x1fffff, v1
	v_add_u32_e32 v16, v1, v0
	v_cmp_ne_u32_e32 vcc, 0, v4
                                        ; implicit-def: $vgpr0_vgpr1
                                        ; implicit-def: $vgpr2
	s_and_saveexec_b64 s[28:29], vcc
	s_xor_b64 s[28:29], exec, s[28:29]
; %bb.3273:                             ;   in Loop: Header=BB4_3167 Depth=4
	v_cmp_lt_u64_e32 vcc, s[88:89], v[16:17]
	v_add_u32_e32 v0, 15, v13
	v_cndmask_b32_e32 v2, v4, v0, vcc
	v_cndmask_b32_e64 v0, 0, 1, vcc
	v_lshrrev_b64 v[0:1], v0, v[16:17]
; %bb.3274:                             ;   in Loop: Header=BB4_3167 Depth=4
	s_andn2_saveexec_b64 s[28:29], s[28:29]
; %bb.3275:                             ;   in Loop: Header=BB4_3167 Depth=4
	v_mov_b32_e32 v0, v16
	v_mov_b32_e32 v1, v17
	v_bfe_u32 v2, v16, 23, 1
; %bb.3276:                             ;   in Loop: Header=BB4_3167 Depth=4
	s_or_b64 exec, exec, s[28:29]
	v_lshrrev_b64 v[0:1], 21, v[0:1]
	v_cmp_gt_i32_e32 vcc, 32, v2
	v_cndmask_b32_e32 v1, 0, v1, vcc
	v_cndmask_b32_e32 v0, 3, v0, vcc
	v_cmp_eq_u64_e64 s[28:29], 0, v[0:1]
	v_min_i32_e32 v1, 31, v2
	v_lshlrev_b32_e32 v1, 2, v1
	v_cmp_eq_u32_e32 vcc, 0, v2
	v_and_b32_e32 v1, 0xfc, v1
	v_and_or_b32 v0, v0, 3, v1
	s_and_b64 s[28:29], vcc, s[28:29]
	v_cndmask_b32_e64 v0, v0, 0, s[28:29]
	v_or_b32_e32 v32, v0, v7
.LBB4_3277:                             ;   in Loop: Header=BB4_3167 Depth=4
	s_or_b64 exec, exec, s[36:37]
                                        ; implicit-def: $vgpr7
.LBB4_3278:                             ;   in Loop: Header=BB4_3167 Depth=4
	s_andn2_saveexec_b64 s[28:29], s[34:35]
; %bb.3279:                             ;   in Loop: Header=BB4_3167 Depth=4
	v_or_b32_e32 v32, 0x7b, v7
; %bb.3280:                             ;   in Loop: Header=BB4_3167 Depth=4
	s_or_b64 exec, exec, s[28:29]
                                        ; implicit-def: $vgpr0
.LBB4_3281:                             ;   in Loop: Header=BB4_3167 Depth=4
	s_andn2_saveexec_b64 s[28:29], s[30:31]
	s_cbranch_execz .LBB4_3287
; %bb.3282:                             ;   in Loop: Header=BB4_3167 Depth=4
	v_cmp_ne_u64_e32 vcc, 0, v[16:17]
                                        ; implicit-def: $vgpr32
	s_and_saveexec_b64 s[30:31], vcc
	s_xor_b64 vcc, exec, s[30:31]
; %bb.3283:                             ;   in Loop: Header=BB4_3167 Depth=4
	v_or_b32_sdwa v32, v0, s47 dst_sel:DWORD dst_unused:UNUSED_PAD src0_sel:BYTE_3 src1_sel:DWORD
                                        ; implicit-def: $vgpr0
; %bb.3284:                             ;   in Loop: Header=BB4_3167 Depth=4
	s_andn2_saveexec_b64 s[30:31], vcc
; %bb.3285:                             ;   in Loop: Header=BB4_3167 Depth=4
	v_cmp_lt_i32_e32 vcc, -1, v0
	v_bfrev_b32_e32 v0, 0.5
	v_cndmask_b32_e32 v32, v0, v52, vcc
; %bb.3286:                             ;   in Loop: Header=BB4_3167 Depth=4
	s_or_b64 exec, exec, s[30:31]
.LBB4_3287:                             ;   in Loop: Header=BB4_3167 Depth=4
	s_or_b64 exec, exec, s[28:29]
	v_mov_b32_e32 v16, v9
	v_cmp_ne_u16_sdwa vcc, v9, v17 src0_sel:BYTE_0 src1_sel:DWORD
	v_mov_b32_e32 v0, 0
	s_and_saveexec_b64 s[28:29], vcc
	s_cbranch_execz .LBB4_3295
; %bb.3288:                             ;   in Loop: Header=BB4_3167 Depth=4
	v_cmp_ne_u16_sdwa vcc, v9, s96 src0_sel:BYTE_0 src1_sel:DWORD
	v_bfrev_b32_e32 v0, 1
	s_and_saveexec_b64 s[30:31], vcc
	s_cbranch_execz .LBB4_3294
; %bb.3289:                             ;   in Loop: Header=BB4_3167 Depth=4
	v_and_b32_e32 v0, 0x7c, v9
	v_and_b32_e32 v1, 3, v9
	v_cmp_ne_u32_e32 vcc, s85, v0
                                        ; implicit-def: $vgpr0
	s_and_saveexec_b64 s[34:35], vcc
	s_xor_b64 s[34:35], exec, s[34:35]
	s_cbranch_execz .LBB4_3291
; %bb.3290:                             ;   in Loop: Header=BB4_3167 Depth=4
	v_ffbh_u32_e32 v2, v1
	v_min_u32_e32 v2, 32, v2
	v_bfe_u32 v0, v9, 2, 5
	v_subrev_u32_e32 v4, 29, v2
	v_lshlrev_b64 v[13:14], v4, v[16:17]
	v_sub_u32_e32 v2, 30, v2
	v_cmp_eq_u32_e32 vcc, 0, v0
	v_cndmask_b32_e32 v0, v0, v2, vcc
	v_lshlrev_b32_e32 v2, 24, v9
	v_and_b32_e32 v4, 3, v13
	v_and_b32_e32 v2, 0x80000000, v2
	v_cndmask_b32_e32 v1, v1, v4, vcc
	v_lshl_add_u32 v0, v0, 23, v2
	v_lshl_or_b32 v0, v1, 21, v0
	v_add_u32_e32 v0, 0x38000000, v0
                                        ; implicit-def: $vgpr1
.LBB4_3291:                             ;   in Loop: Header=BB4_3167 Depth=4
	s_andn2_saveexec_b64 s[34:35], s[34:35]
; %bb.3292:                             ;   in Loop: Header=BB4_3167 Depth=4
	v_mov_b32_e32 v0, -1
	v_cmp_gt_i16_sdwa vcc, sext(v9), v0 src0_sel:BYTE_0 src1_sel:DWORD
	v_mov_b32_e32 v0, 0xff800000
	v_mov_b32_e32 v2, 0x7f800000
	v_cndmask_b32_e32 v0, v0, v2, vcc
	v_cmp_eq_u32_e32 vcc, 0, v1
	v_mov_b32_e32 v1, 0x7f800001
	v_cndmask_b32_e32 v0, v1, v0, vcc
; %bb.3293:                             ;   in Loop: Header=BB4_3167 Depth=4
	s_or_b64 exec, exec, s[34:35]
.LBB4_3294:                             ;   in Loop: Header=BB4_3167 Depth=4
	s_or_b64 exec, exec, s[30:31]
.LBB4_3295:                             ;   in Loop: Header=BB4_3167 Depth=4
	s_or_b64 exec, exec, s[28:29]
	v_mul_f32_e32 v2, v12, v0
	v_and_b32_e32 v13, 0x7f800000, v2
	v_mov_b32_e32 v14, v17
	v_cmp_ne_u64_e32 vcc, s[76:77], v[13:14]
	v_and_b32_e32 v0, 0x7fffff, v2
	v_mov_b32_e32 v1, v17
                                        ; implicit-def: $vgpr37
	s_and_saveexec_b64 s[28:29], vcc
	s_xor_b64 s[30:31], exec, s[28:29]
	s_cbranch_execz .LBB4_3309
; %bb.3296:                             ;   in Loop: Header=BB4_3167 Depth=4
	v_and_b32_e32 v13, 0x7fffffff, v2
	v_mov_b32_e32 v14, v17
	v_cmp_gt_u64_e32 vcc, s[78:79], v[13:14]
	v_and_b32_sdwa v7, v2, s96 dst_sel:DWORD dst_unused:UNUSED_PAD src0_sel:BYTE_3 src1_sel:DWORD
                                        ; implicit-def: $vgpr37
	s_and_saveexec_b64 s[28:29], vcc
	s_xor_b64 s[34:35], exec, s[28:29]
	s_cbranch_execz .LBB4_3306
; %bb.3297:                             ;   in Loop: Header=BB4_3167 Depth=4
	v_mov_b32_e32 v37, 0
	v_cmp_ne_u32_e32 vcc, 0, v2
	s_and_saveexec_b64 s[36:37], vcc
	s_cbranch_execz .LBB4_3305
; %bb.3298:                             ;   in Loop: Header=BB4_3167 Depth=4
	v_bfe_u32 v4, v2, 23, 8
	v_cmp_gt_u32_e64 s[28:29], s46, v4
	v_sub_u32_e32 v2, 0x71, v4
	v_cmp_eq_u32_e32 vcc, 0, v4
	v_cndmask_b32_e64 v2, 0, v2, s[28:29]
	v_mov_b32_e32 v13, 0x70
	v_cndmask_b32_e32 v13, v2, v13, vcc
	v_or_b32_e32 v14, 0x800000, v0
	v_add_u32_e32 v2, 21, v13
	v_cndmask_b32_e32 v0, v14, v0, vcc
	v_lshlrev_b64 v[14:15], v2, -1
	v_add_u32_e32 v2, 20, v13
	v_bfi_b32 v14, v14, 0, v0
	v_lshlrev_b64 v[19:20], v2, 1
	v_lshrrev_b64 v[0:1], v13, v[0:1]
	v_bfi_b32 v15, v15, 0, 0
	v_cmp_eq_u64_e64 s[28:29], v[14:15], v[19:20]
	v_mov_b32_e32 v2, v1
	v_mov_b32_e32 v1, v0
	s_and_saveexec_b64 s[38:39], s[28:29]
; %bb.3299:                             ;   in Loop: Header=BB4_3167 Depth=4
	v_bfe_u32 v1, v0, 21, 1
	v_add_co_u32_e64 v1, s[28:29], v0, v1
	v_add_co_u32_e64 v1, s[28:29], -1, v1
; %bb.3300:                             ;   in Loop: Header=BB4_3167 Depth=4
	s_or_b64 exec, exec, s[38:39]
	v_add_u32_e32 v2, 0xffffff81, v4
	v_mov_b32_e32 v4, 0xffffff82
	v_cndmask_b32_e32 v2, v2, v4, vcc
	v_lshrrev_b32_e32 v4, 23, v0
	v_add3_u32 v13, v13, v2, v4
	v_add_u32_e32 v4, 14, v13
	v_and_b32_e32 v1, 0x1fffff, v1
	v_add_u32_e32 v0, v1, v0
	v_mov_b32_e32 v1, v17
	v_cmp_ne_u32_e32 vcc, 0, v4
                                        ; implicit-def: $vgpr2
	s_and_saveexec_b64 s[28:29], vcc
	s_xor_b64 s[28:29], exec, s[28:29]
; %bb.3301:                             ;   in Loop: Header=BB4_3167 Depth=4
	v_cmp_lt_u64_e32 vcc, s[88:89], v[0:1]
	v_add_u32_e32 v2, 15, v13
	v_cndmask_b32_e32 v2, v4, v2, vcc
	v_cndmask_b32_e64 v4, 0, 1, vcc
	v_lshrrev_b64 v[0:1], v4, v[0:1]
; %bb.3302:                             ;   in Loop: Header=BB4_3167 Depth=4
	s_andn2_saveexec_b64 s[28:29], s[28:29]
; %bb.3303:                             ;   in Loop: Header=BB4_3167 Depth=4
	v_bfe_u32 v2, v0, 23, 1
; %bb.3304:                             ;   in Loop: Header=BB4_3167 Depth=4
	s_or_b64 exec, exec, s[28:29]
	v_lshrrev_b64 v[0:1], 21, v[0:1]
	v_cmp_gt_i32_e32 vcc, 32, v2
	v_cndmask_b32_e32 v1, 0, v1, vcc
	v_cndmask_b32_e32 v0, 3, v0, vcc
	v_cmp_eq_u64_e64 s[28:29], 0, v[0:1]
	v_min_i32_e32 v1, 31, v2
	v_lshlrev_b32_e32 v1, 2, v1
	v_cmp_eq_u32_e32 vcc, 0, v2
	v_and_b32_e32 v1, 0xfc, v1
	v_and_or_b32 v0, v0, 3, v1
	s_and_b64 s[28:29], vcc, s[28:29]
	v_cndmask_b32_e64 v0, v0, 0, s[28:29]
	v_or_b32_e32 v37, v0, v7
.LBB4_3305:                             ;   in Loop: Header=BB4_3167 Depth=4
	s_or_b64 exec, exec, s[36:37]
                                        ; implicit-def: $vgpr7
.LBB4_3306:                             ;   in Loop: Header=BB4_3167 Depth=4
	s_andn2_saveexec_b64 s[28:29], s[34:35]
; %bb.3307:                             ;   in Loop: Header=BB4_3167 Depth=4
	v_or_b32_e32 v37, 0x7b, v7
; %bb.3308:                             ;   in Loop: Header=BB4_3167 Depth=4
	s_or_b64 exec, exec, s[28:29]
                                        ; implicit-def: $vgpr2
                                        ; implicit-def: $vgpr0_vgpr1
.LBB4_3309:                             ;   in Loop: Header=BB4_3167 Depth=4
	s_andn2_saveexec_b64 s[28:29], s[30:31]
	s_cbranch_execz .LBB4_3315
; %bb.3310:                             ;   in Loop: Header=BB4_3167 Depth=4
	v_cmp_ne_u64_e32 vcc, 0, v[0:1]
                                        ; implicit-def: $vgpr37
	s_and_saveexec_b64 s[30:31], vcc
	s_xor_b64 vcc, exec, s[30:31]
; %bb.3311:                             ;   in Loop: Header=BB4_3167 Depth=4
	v_or_b32_sdwa v37, v2, s47 dst_sel:DWORD dst_unused:UNUSED_PAD src0_sel:BYTE_3 src1_sel:DWORD
                                        ; implicit-def: $vgpr2
; %bb.3312:                             ;   in Loop: Header=BB4_3167 Depth=4
	s_andn2_saveexec_b64 s[30:31], vcc
; %bb.3313:                             ;   in Loop: Header=BB4_3167 Depth=4
	v_cmp_lt_i32_e32 vcc, -1, v2
	v_bfrev_b32_e32 v0, 0.5
	v_cndmask_b32_e32 v37, v0, v52, vcc
; %bb.3314:                             ;   in Loop: Header=BB4_3167 Depth=4
	s_or_b64 exec, exec, s[30:31]
.LBB4_3315:                             ;   in Loop: Header=BB4_3167 Depth=4
	s_or_b64 exec, exec, s[28:29]
	v_lshrrev_b16_e32 v0, 8, v16
	v_cmp_ne_u16_e32 vcc, 0, v0
	v_mov_b32_e32 v1, 0
	s_and_saveexec_b64 s[28:29], vcc
	s_cbranch_execz .LBB4_3323
; %bb.3316:                             ;   in Loop: Header=BB4_3167 Depth=4
	v_cmp_ne_u16_e32 vcc, s96, v0
	v_bfrev_b32_e32 v1, 1
	s_and_saveexec_b64 s[30:31], vcc
	s_cbranch_execz .LBB4_3322
; %bb.3317:                             ;   in Loop: Header=BB4_3167 Depth=4
	v_and_b32_e32 v1, 0x7c, v0
	v_and_b32_e32 v2, 3, v0
	v_cmp_ne_u32_e32 vcc, s85, v1
                                        ; implicit-def: $vgpr1
	s_and_saveexec_b64 s[34:35], vcc
	s_xor_b64 s[34:35], exec, s[34:35]
	s_cbranch_execz .LBB4_3319
; %bb.3318:                             ;   in Loop: Header=BB4_3167 Depth=4
	v_ffbh_u32_e32 v7, v2
	v_min_u32_e32 v7, 32, v7
	v_mov_b32_e32 v1, v17
	v_subrev_u32_e32 v13, 29, v7
	v_bfe_u32 v4, v0, 2, 5
	v_lshlrev_b64 v[0:1], v13, v[0:1]
	v_cmp_eq_u32_e32 vcc, 0, v4
	v_and_b32_e32 v0, 3, v0
	v_sub_u32_e32 v1, 30, v7
	v_cndmask_b32_e32 v0, v2, v0, vcc
	v_lshlrev_b32_e32 v2, 16, v16
	v_cndmask_b32_e32 v1, v4, v1, vcc
	v_and_b32_e32 v2, 0x80000000, v2
	v_lshl_add_u32 v1, v1, 23, v2
	v_lshl_or_b32 v0, v0, 21, v1
	v_add_u32_e32 v1, 0x38000000, v0
                                        ; implicit-def: $vgpr2
.LBB4_3319:                             ;   in Loop: Header=BB4_3167 Depth=4
	s_andn2_saveexec_b64 s[34:35], s[34:35]
; %bb.3320:                             ;   in Loop: Header=BB4_3167 Depth=4
	v_cmp_lt_i16_e32 vcc, -1, v16
	v_mov_b32_e32 v0, 0xff800000
	v_mov_b32_e32 v1, 0x7f800000
	v_cndmask_b32_e32 v0, v0, v1, vcc
	v_cmp_eq_u32_e32 vcc, 0, v2
	v_mov_b32_e32 v1, 0x7f800001
	v_cndmask_b32_e32 v1, v1, v0, vcc
; %bb.3321:                             ;   in Loop: Header=BB4_3167 Depth=4
	s_or_b64 exec, exec, s[34:35]
.LBB4_3322:                             ;   in Loop: Header=BB4_3167 Depth=4
	s_or_b64 exec, exec, s[30:31]
.LBB4_3323:                             ;   in Loop: Header=BB4_3167 Depth=4
	s_or_b64 exec, exec, s[28:29]
	v_mul_f32_e32 v0, v12, v1
	v_and_b32_e32 v1, 0x7f800000, v0
	v_mov_b32_e32 v2, v17
	v_cmp_ne_u64_e32 vcc, s[76:77], v[1:2]
	v_and_b32_e32 v16, 0x7fffff, v0
                                        ; implicit-def: $vgpr50
	s_and_saveexec_b64 s[28:29], vcc
	s_xor_b64 s[30:31], exec, s[28:29]
	s_cbranch_execz .LBB4_3337
; %bb.3324:                             ;   in Loop: Header=BB4_3167 Depth=4
	v_and_b32_e32 v1, 0x7fffffff, v0
	v_mov_b32_e32 v2, v17
	v_cmp_gt_u64_e32 vcc, s[78:79], v[1:2]
	v_and_b32_sdwa v7, v0, s96 dst_sel:DWORD dst_unused:UNUSED_PAD src0_sel:BYTE_3 src1_sel:DWORD
                                        ; implicit-def: $vgpr50
	s_and_saveexec_b64 s[28:29], vcc
	s_xor_b64 s[34:35], exec, s[28:29]
	s_cbranch_execz .LBB4_3334
; %bb.3325:                             ;   in Loop: Header=BB4_3167 Depth=4
	v_mov_b32_e32 v50, 0
	v_cmp_ne_u32_e32 vcc, 0, v0
	s_and_saveexec_b64 s[36:37], vcc
	s_cbranch_execz .LBB4_3333
; %bb.3326:                             ;   in Loop: Header=BB4_3167 Depth=4
	v_bfe_u32 v4, v0, 23, 8
	v_cmp_gt_u32_e64 s[28:29], s46, v4
	v_sub_u32_e32 v0, 0x71, v4
	v_cmp_eq_u32_e32 vcc, 0, v4
	v_cndmask_b32_e64 v0, 0, v0, s[28:29]
	v_mov_b32_e32 v2, 0x70
	v_cndmask_b32_e32 v13, v0, v2, vcc
	v_add_u32_e32 v2, 21, v13
	v_or_b32_e32 v1, 0x800000, v16
	v_lshlrev_b64 v[14:15], v2, -1
	v_cndmask_b32_e32 v0, v1, v16, vcc
	v_mov_b32_e32 v1, v17
	v_add_u32_e32 v2, 20, v13
	v_bfi_b32 v14, v14, 0, v0
	v_lshlrev_b64 v[19:20], v2, 1
	v_lshrrev_b64 v[0:1], v13, v[0:1]
	v_bfi_b32 v15, v15, 0, 0
	v_cmp_eq_u64_e64 s[28:29], v[14:15], v[19:20]
	v_mov_b32_e32 v2, v1
	v_mov_b32_e32 v1, v0
	s_and_saveexec_b64 s[38:39], s[28:29]
; %bb.3327:                             ;   in Loop: Header=BB4_3167 Depth=4
	v_bfe_u32 v1, v0, 21, 1
	v_add_co_u32_e64 v1, s[28:29], v0, v1
	v_add_co_u32_e64 v1, s[28:29], -1, v1
; %bb.3328:                             ;   in Loop: Header=BB4_3167 Depth=4
	s_or_b64 exec, exec, s[38:39]
	v_add_u32_e32 v2, 0xffffff81, v4
	v_mov_b32_e32 v4, 0xffffff82
	v_cndmask_b32_e32 v2, v2, v4, vcc
	v_lshrrev_b32_e32 v4, 23, v0
	v_add3_u32 v13, v13, v2, v4
	v_add_u32_e32 v4, 14, v13
	v_and_b32_e32 v1, 0x1fffff, v1
	v_add_u32_e32 v16, v1, v0
	v_cmp_ne_u32_e32 vcc, 0, v4
                                        ; implicit-def: $vgpr0_vgpr1
                                        ; implicit-def: $vgpr2
	s_and_saveexec_b64 s[28:29], vcc
	s_xor_b64 s[28:29], exec, s[28:29]
; %bb.3329:                             ;   in Loop: Header=BB4_3167 Depth=4
	v_cmp_lt_u64_e32 vcc, s[88:89], v[16:17]
	v_add_u32_e32 v0, 15, v13
	v_cndmask_b32_e32 v2, v4, v0, vcc
	v_cndmask_b32_e64 v0, 0, 1, vcc
	v_lshrrev_b64 v[0:1], v0, v[16:17]
; %bb.3330:                             ;   in Loop: Header=BB4_3167 Depth=4
	s_andn2_saveexec_b64 s[28:29], s[28:29]
; %bb.3331:                             ;   in Loop: Header=BB4_3167 Depth=4
	v_mov_b32_e32 v0, v16
	v_mov_b32_e32 v1, v17
	v_bfe_u32 v2, v16, 23, 1
; %bb.3332:                             ;   in Loop: Header=BB4_3167 Depth=4
	s_or_b64 exec, exec, s[28:29]
	v_lshrrev_b64 v[0:1], 21, v[0:1]
	v_cmp_gt_i32_e32 vcc, 32, v2
	v_cndmask_b32_e32 v1, 0, v1, vcc
	v_cndmask_b32_e32 v0, 3, v0, vcc
	v_cmp_eq_u64_e64 s[28:29], 0, v[0:1]
	v_min_i32_e32 v1, 31, v2
	v_lshlrev_b32_e32 v1, 2, v1
	v_cmp_eq_u32_e32 vcc, 0, v2
	v_and_b32_e32 v1, 0xfc, v1
	v_and_or_b32 v0, v0, 3, v1
	s_and_b64 s[28:29], vcc, s[28:29]
	v_cndmask_b32_e64 v0, v0, 0, s[28:29]
	v_or_b32_e32 v50, v0, v7
.LBB4_3333:                             ;   in Loop: Header=BB4_3167 Depth=4
	s_or_b64 exec, exec, s[36:37]
                                        ; implicit-def: $vgpr7
.LBB4_3334:                             ;   in Loop: Header=BB4_3167 Depth=4
	s_andn2_saveexec_b64 s[28:29], s[34:35]
; %bb.3335:                             ;   in Loop: Header=BB4_3167 Depth=4
	v_or_b32_e32 v50, 0x7b, v7
; %bb.3336:                             ;   in Loop: Header=BB4_3167 Depth=4
	s_or_b64 exec, exec, s[28:29]
                                        ; implicit-def: $vgpr0
.LBB4_3337:                             ;   in Loop: Header=BB4_3167 Depth=4
	s_andn2_saveexec_b64 s[28:29], s[30:31]
	s_cbranch_execz .LBB4_3343
; %bb.3338:                             ;   in Loop: Header=BB4_3167 Depth=4
	v_cmp_ne_u64_e32 vcc, 0, v[16:17]
                                        ; implicit-def: $vgpr50
	s_and_saveexec_b64 s[30:31], vcc
	s_xor_b64 vcc, exec, s[30:31]
; %bb.3339:                             ;   in Loop: Header=BB4_3167 Depth=4
	v_or_b32_sdwa v50, v0, s47 dst_sel:DWORD dst_unused:UNUSED_PAD src0_sel:BYTE_3 src1_sel:DWORD
                                        ; implicit-def: $vgpr0
; %bb.3340:                             ;   in Loop: Header=BB4_3167 Depth=4
	s_andn2_saveexec_b64 s[30:31], vcc
; %bb.3341:                             ;   in Loop: Header=BB4_3167 Depth=4
	v_cmp_lt_i32_e32 vcc, -1, v0
	v_bfrev_b32_e32 v0, 0.5
	v_cndmask_b32_e32 v50, v0, v52, vcc
; %bb.3342:                             ;   in Loop: Header=BB4_3167 Depth=4
	s_or_b64 exec, exec, s[30:31]
.LBB4_3343:                             ;   in Loop: Header=BB4_3167 Depth=4
	s_or_b64 exec, exec, s[28:29]
	v_lshrrev_b32_e32 v0, 16, v9
	v_cmp_ne_u16_sdwa vcc, v0, v17 src0_sel:BYTE_0 src1_sel:DWORD
	v_mov_b32_e32 v1, 0
	s_and_saveexec_b64 s[28:29], vcc
	s_cbranch_execz .LBB4_3351
; %bb.3344:                             ;   in Loop: Header=BB4_3167 Depth=4
	v_cmp_ne_u16_sdwa vcc, v0, s96 src0_sel:BYTE_0 src1_sel:DWORD
	v_bfrev_b32_e32 v1, 1
	s_and_saveexec_b64 s[30:31], vcc
	s_cbranch_execz .LBB4_3350
; %bb.3345:                             ;   in Loop: Header=BB4_3167 Depth=4
	v_and_b32_e32 v1, 0x7c0000, v9
	v_bfe_u32 v2, v9, 16, 2
	v_cmp_ne_u32_e32 vcc, s44, v1
                                        ; implicit-def: $vgpr1
	s_and_saveexec_b64 s[34:35], vcc
	s_xor_b64 s[34:35], exec, s[34:35]
	s_cbranch_execz .LBB4_3347
; %bb.3346:                             ;   in Loop: Header=BB4_3167 Depth=4
	v_ffbh_u32_e32 v1, v2
	v_min_u32_e32 v7, 32, v1
	v_subrev_u32_e32 v1, 29, v7
	v_lshlrev_b64 v[0:1], v1, v[0:1]
	v_bfe_u32 v4, v9, 18, 5
	v_and_b32_e32 v0, 3, v0
	v_cmp_eq_u32_e32 vcc, 0, v4
	v_sub_u32_e32 v1, 30, v7
	v_cndmask_b32_e32 v0, v2, v0, vcc
	v_lshlrev_b32_e32 v2, 8, v9
	v_cndmask_b32_e32 v1, v4, v1, vcc
	v_and_b32_e32 v2, 0x80000000, v2
	v_lshl_add_u32 v1, v1, 23, v2
	v_lshl_or_b32 v0, v0, 21, v1
	v_add_u32_e32 v1, 0x38000000, v0
                                        ; implicit-def: $vgpr2
                                        ; implicit-def: $vgpr0
.LBB4_3347:                             ;   in Loop: Header=BB4_3167 Depth=4
	s_andn2_saveexec_b64 s[34:35], s[34:35]
; %bb.3348:                             ;   in Loop: Header=BB4_3167 Depth=4
	v_mov_b32_e32 v1, -1
	v_cmp_gt_i16_sdwa vcc, sext(v0), v1 src0_sel:BYTE_0 src1_sel:DWORD
	v_mov_b32_e32 v0, 0xff800000
	v_mov_b32_e32 v1, 0x7f800000
	v_cndmask_b32_e32 v0, v0, v1, vcc
	v_cmp_eq_u32_e32 vcc, 0, v2
	v_mov_b32_e32 v1, 0x7f800001
	v_cndmask_b32_e32 v1, v1, v0, vcc
; %bb.3349:                             ;   in Loop: Header=BB4_3167 Depth=4
	s_or_b64 exec, exec, s[34:35]
.LBB4_3350:                             ;   in Loop: Header=BB4_3167 Depth=4
	s_or_b64 exec, exec, s[30:31]
.LBB4_3351:                             ;   in Loop: Header=BB4_3167 Depth=4
	s_or_b64 exec, exec, s[28:29]
	v_mul_f32_e32 v0, v12, v1
	v_and_b32_e32 v1, 0x7f800000, v0
	v_mov_b32_e32 v2, v17
	v_cmp_ne_u64_e32 vcc, s[76:77], v[1:2]
	v_and_b32_e32 v16, 0x7fffff, v0
                                        ; implicit-def: $vgpr55
	s_and_saveexec_b64 s[28:29], vcc
	s_xor_b64 s[30:31], exec, s[28:29]
	s_cbranch_execz .LBB4_3365
; %bb.3352:                             ;   in Loop: Header=BB4_3167 Depth=4
	v_and_b32_e32 v1, 0x7fffffff, v0
	v_mov_b32_e32 v2, v17
	v_cmp_gt_u64_e32 vcc, s[78:79], v[1:2]
	v_and_b32_sdwa v7, v0, s96 dst_sel:DWORD dst_unused:UNUSED_PAD src0_sel:BYTE_3 src1_sel:DWORD
                                        ; implicit-def: $vgpr55
	s_and_saveexec_b64 s[28:29], vcc
	s_xor_b64 s[34:35], exec, s[28:29]
	s_cbranch_execz .LBB4_3362
; %bb.3353:                             ;   in Loop: Header=BB4_3167 Depth=4
	v_mov_b32_e32 v55, 0
	v_cmp_ne_u32_e32 vcc, 0, v0
	s_and_saveexec_b64 s[36:37], vcc
	s_cbranch_execz .LBB4_3361
; %bb.3354:                             ;   in Loop: Header=BB4_3167 Depth=4
	v_bfe_u32 v4, v0, 23, 8
	v_cmp_gt_u32_e64 s[28:29], s46, v4
	v_sub_u32_e32 v0, 0x71, v4
	v_cmp_eq_u32_e32 vcc, 0, v4
	v_cndmask_b32_e64 v0, 0, v0, s[28:29]
	v_mov_b32_e32 v2, 0x70
	v_cndmask_b32_e32 v13, v0, v2, vcc
	v_add_u32_e32 v2, 21, v13
	v_or_b32_e32 v1, 0x800000, v16
	v_lshlrev_b64 v[14:15], v2, -1
	v_cndmask_b32_e32 v0, v1, v16, vcc
	v_mov_b32_e32 v1, v17
	v_add_u32_e32 v2, 20, v13
	v_bfi_b32 v14, v14, 0, v0
	v_lshlrev_b64 v[19:20], v2, 1
	v_lshrrev_b64 v[0:1], v13, v[0:1]
	v_bfi_b32 v15, v15, 0, 0
	v_cmp_eq_u64_e64 s[28:29], v[14:15], v[19:20]
	v_mov_b32_e32 v2, v1
	v_mov_b32_e32 v1, v0
	s_and_saveexec_b64 s[38:39], s[28:29]
; %bb.3355:                             ;   in Loop: Header=BB4_3167 Depth=4
	v_bfe_u32 v1, v0, 21, 1
	v_add_co_u32_e64 v1, s[28:29], v0, v1
	v_add_co_u32_e64 v1, s[28:29], -1, v1
; %bb.3356:                             ;   in Loop: Header=BB4_3167 Depth=4
	s_or_b64 exec, exec, s[38:39]
	v_add_u32_e32 v2, 0xffffff81, v4
	v_mov_b32_e32 v4, 0xffffff82
	v_cndmask_b32_e32 v2, v2, v4, vcc
	v_lshrrev_b32_e32 v4, 23, v0
	v_add3_u32 v13, v13, v2, v4
	v_add_u32_e32 v4, 14, v13
	v_and_b32_e32 v1, 0x1fffff, v1
	v_add_u32_e32 v16, v1, v0
	v_cmp_ne_u32_e32 vcc, 0, v4
                                        ; implicit-def: $vgpr0_vgpr1
                                        ; implicit-def: $vgpr2
	s_and_saveexec_b64 s[28:29], vcc
	s_xor_b64 s[28:29], exec, s[28:29]
; %bb.3357:                             ;   in Loop: Header=BB4_3167 Depth=4
	v_cmp_lt_u64_e32 vcc, s[88:89], v[16:17]
	v_add_u32_e32 v0, 15, v13
	v_cndmask_b32_e32 v2, v4, v0, vcc
	v_cndmask_b32_e64 v0, 0, 1, vcc
	v_lshrrev_b64 v[0:1], v0, v[16:17]
; %bb.3358:                             ;   in Loop: Header=BB4_3167 Depth=4
	s_andn2_saveexec_b64 s[28:29], s[28:29]
; %bb.3359:                             ;   in Loop: Header=BB4_3167 Depth=4
	v_mov_b32_e32 v0, v16
	v_mov_b32_e32 v1, v17
	v_bfe_u32 v2, v16, 23, 1
; %bb.3360:                             ;   in Loop: Header=BB4_3167 Depth=4
	s_or_b64 exec, exec, s[28:29]
	v_lshrrev_b64 v[0:1], 21, v[0:1]
	v_cmp_gt_i32_e32 vcc, 32, v2
	v_cndmask_b32_e32 v1, 0, v1, vcc
	v_cndmask_b32_e32 v0, 3, v0, vcc
	v_cmp_eq_u64_e64 s[28:29], 0, v[0:1]
	v_min_i32_e32 v1, 31, v2
	v_lshlrev_b32_e32 v1, 2, v1
	v_cmp_eq_u32_e32 vcc, 0, v2
	v_and_b32_e32 v1, 0xfc, v1
	v_and_or_b32 v0, v0, 3, v1
	s_and_b64 s[28:29], vcc, s[28:29]
	v_cndmask_b32_e64 v0, v0, 0, s[28:29]
	v_or_b32_e32 v55, v0, v7
.LBB4_3361:                             ;   in Loop: Header=BB4_3167 Depth=4
	s_or_b64 exec, exec, s[36:37]
                                        ; implicit-def: $vgpr7
.LBB4_3362:                             ;   in Loop: Header=BB4_3167 Depth=4
	s_andn2_saveexec_b64 s[28:29], s[34:35]
; %bb.3363:                             ;   in Loop: Header=BB4_3167 Depth=4
	v_or_b32_e32 v55, 0x7b, v7
; %bb.3364:                             ;   in Loop: Header=BB4_3167 Depth=4
	s_or_b64 exec, exec, s[28:29]
                                        ; implicit-def: $vgpr0
.LBB4_3365:                             ;   in Loop: Header=BB4_3167 Depth=4
	s_andn2_saveexec_b64 s[28:29], s[30:31]
	s_cbranch_execz .LBB4_3371
; %bb.3366:                             ;   in Loop: Header=BB4_3167 Depth=4
	v_cmp_ne_u64_e32 vcc, 0, v[16:17]
                                        ; implicit-def: $vgpr55
	s_and_saveexec_b64 s[30:31], vcc
	s_xor_b64 vcc, exec, s[30:31]
; %bb.3367:                             ;   in Loop: Header=BB4_3167 Depth=4
	v_or_b32_sdwa v55, v0, s47 dst_sel:DWORD dst_unused:UNUSED_PAD src0_sel:BYTE_3 src1_sel:DWORD
                                        ; implicit-def: $vgpr0
; %bb.3368:                             ;   in Loop: Header=BB4_3167 Depth=4
	s_andn2_saveexec_b64 s[30:31], vcc
; %bb.3369:                             ;   in Loop: Header=BB4_3167 Depth=4
	v_cmp_lt_i32_e32 vcc, -1, v0
	v_bfrev_b32_e32 v0, 0.5
	v_cndmask_b32_e32 v55, v0, v52, vcc
; %bb.3370:                             ;   in Loop: Header=BB4_3167 Depth=4
	s_or_b64 exec, exec, s[30:31]
.LBB4_3371:                             ;   in Loop: Header=BB4_3167 Depth=4
	s_or_b64 exec, exec, s[28:29]
	v_cmp_lt_u64_e32 vcc, s[56:57], v[8:9]
	v_mov_b32_e32 v1, 0
	s_and_saveexec_b64 s[28:29], vcc
	s_cbranch_execz .LBB4_3379
; %bb.3372:                             ;   in Loop: Header=BB4_3167 Depth=4
	v_lshrrev_b32_e32 v0, 24, v9
	v_cmp_ne_u32_e32 vcc, s96, v0
	v_bfrev_b32_e32 v1, 1
	s_and_saveexec_b64 s[30:31], vcc
	s_cbranch_execz .LBB4_3378
; %bb.3373:                             ;   in Loop: Header=BB4_3167 Depth=4
	v_and_b32_e32 v1, 0x7c000000, v9
	v_bfe_u32 v2, v9, 24, 2
	v_cmp_ne_u32_e32 vcc, s45, v1
                                        ; implicit-def: $vgpr1
	s_and_saveexec_b64 s[34:35], vcc
	s_xor_b64 s[34:35], exec, s[34:35]
	s_cbranch_execz .LBB4_3375
; %bb.3374:                             ;   in Loop: Header=BB4_3167 Depth=4
	v_ffbh_u32_e32 v1, v2
	v_min_u32_e32 v7, 32, v1
	v_subrev_u32_e32 v1, 29, v7
	v_lshlrev_b64 v[0:1], v1, v[0:1]
	v_bfe_u32 v4, v9, 26, 5
	v_sub_u32_e32 v1, 30, v7
	v_and_b32_e32 v0, 3, v0
	v_cmp_eq_u32_e32 vcc, 0, v4
	v_cndmask_b32_e32 v1, v4, v1, vcc
	v_cndmask_b32_e32 v0, v2, v0, vcc
	v_and_b32_e32 v2, 0x80000000, v9
	v_lshl_add_u32 v1, v1, 23, v2
	v_lshl_or_b32 v0, v0, 21, v1
	v_add_u32_e32 v1, 0x38000000, v0
                                        ; implicit-def: $vgpr2
.LBB4_3375:                             ;   in Loop: Header=BB4_3167 Depth=4
	s_andn2_saveexec_b64 s[34:35], s[34:35]
; %bb.3376:                             ;   in Loop: Header=BB4_3167 Depth=4
	v_cmp_lt_i64_e32 vcc, -1, v[8:9]
	v_mov_b32_e32 v0, 0xff800000
	v_mov_b32_e32 v1, 0x7f800000
	v_cndmask_b32_e32 v0, v0, v1, vcc
	v_cmp_eq_u32_e32 vcc, 0, v2
	v_mov_b32_e32 v1, 0x7f800001
	v_cndmask_b32_e32 v1, v1, v0, vcc
; %bb.3377:                             ;   in Loop: Header=BB4_3167 Depth=4
	s_or_b64 exec, exec, s[34:35]
.LBB4_3378:                             ;   in Loop: Header=BB4_3167 Depth=4
	s_or_b64 exec, exec, s[30:31]
.LBB4_3379:                             ;   in Loop: Header=BB4_3167 Depth=4
	s_or_b64 exec, exec, s[28:29]
	v_mul_f32_e32 v0, v12, v1
	v_and_b32_e32 v1, 0x7f800000, v0
	v_mov_b32_e32 v2, v17
	v_cmp_ne_u64_e32 vcc, s[76:77], v[1:2]
	v_and_b32_e32 v16, 0x7fffff, v0
                                        ; implicit-def: $vgpr61
	s_and_saveexec_b64 s[28:29], vcc
	s_xor_b64 s[30:31], exec, s[28:29]
	s_cbranch_execz .LBB4_3393
; %bb.3380:                             ;   in Loop: Header=BB4_3167 Depth=4
	v_and_b32_e32 v1, 0x7fffffff, v0
	v_mov_b32_e32 v2, v17
	v_cmp_gt_u64_e32 vcc, s[78:79], v[1:2]
	v_and_b32_sdwa v7, v0, s96 dst_sel:DWORD dst_unused:UNUSED_PAD src0_sel:BYTE_3 src1_sel:DWORD
                                        ; implicit-def: $vgpr61
	s_and_saveexec_b64 s[28:29], vcc
	s_xor_b64 s[34:35], exec, s[28:29]
	s_cbranch_execz .LBB4_3390
; %bb.3381:                             ;   in Loop: Header=BB4_3167 Depth=4
	v_mov_b32_e32 v61, 0
	v_cmp_ne_u32_e32 vcc, 0, v0
	s_and_saveexec_b64 s[36:37], vcc
	s_cbranch_execz .LBB4_3389
; %bb.3382:                             ;   in Loop: Header=BB4_3167 Depth=4
	v_bfe_u32 v4, v0, 23, 8
	v_cmp_gt_u32_e64 s[28:29], s46, v4
	v_sub_u32_e32 v0, 0x71, v4
	v_cmp_eq_u32_e32 vcc, 0, v4
	v_cndmask_b32_e64 v0, 0, v0, s[28:29]
	v_mov_b32_e32 v2, 0x70
	v_cndmask_b32_e32 v8, v0, v2, vcc
	v_add_u32_e32 v2, 21, v8
	v_or_b32_e32 v1, 0x800000, v16
	v_lshlrev_b64 v[13:14], v2, -1
	v_cndmask_b32_e32 v0, v1, v16, vcc
	v_mov_b32_e32 v1, v17
	v_add_u32_e32 v2, 20, v8
	v_bfi_b32 v13, v13, 0, v0
	v_lshlrev_b64 v[15:16], v2, 1
	v_lshrrev_b64 v[0:1], v8, v[0:1]
	v_bfi_b32 v14, v14, 0, 0
	v_cmp_eq_u64_e64 s[28:29], v[13:14], v[15:16]
	v_mov_b32_e32 v2, v1
	v_mov_b32_e32 v1, v0
	s_and_saveexec_b64 s[38:39], s[28:29]
; %bb.3383:                             ;   in Loop: Header=BB4_3167 Depth=4
	v_bfe_u32 v1, v0, 21, 1
	v_add_co_u32_e64 v1, s[28:29], v0, v1
	v_add_co_u32_e64 v1, s[28:29], -1, v1
; %bb.3384:                             ;   in Loop: Header=BB4_3167 Depth=4
	s_or_b64 exec, exec, s[38:39]
	v_add_u32_e32 v2, 0xffffff81, v4
	v_mov_b32_e32 v4, 0xffffff82
	v_cndmask_b32_e32 v2, v2, v4, vcc
	v_lshrrev_b32_e32 v4, 23, v0
	v_add3_u32 v8, v8, v2, v4
	v_add_u32_e32 v4, 14, v8
	v_and_b32_e32 v1, 0x1fffff, v1
	v_add_u32_e32 v16, v1, v0
	v_cmp_ne_u32_e32 vcc, 0, v4
                                        ; implicit-def: $vgpr0_vgpr1
                                        ; implicit-def: $vgpr2
	s_and_saveexec_b64 s[28:29], vcc
	s_xor_b64 s[28:29], exec, s[28:29]
; %bb.3385:                             ;   in Loop: Header=BB4_3167 Depth=4
	v_cmp_lt_u64_e32 vcc, s[88:89], v[16:17]
	v_add_u32_e32 v0, 15, v8
	v_cndmask_b32_e32 v2, v4, v0, vcc
	v_cndmask_b32_e64 v0, 0, 1, vcc
	v_lshrrev_b64 v[0:1], v0, v[16:17]
; %bb.3386:                             ;   in Loop: Header=BB4_3167 Depth=4
	s_andn2_saveexec_b64 s[28:29], s[28:29]
; %bb.3387:                             ;   in Loop: Header=BB4_3167 Depth=4
	v_mov_b32_e32 v0, v16
	v_mov_b32_e32 v1, v17
	v_bfe_u32 v2, v16, 23, 1
; %bb.3388:                             ;   in Loop: Header=BB4_3167 Depth=4
	s_or_b64 exec, exec, s[28:29]
	v_lshrrev_b64 v[0:1], 21, v[0:1]
	v_cmp_gt_i32_e32 vcc, 32, v2
	v_cndmask_b32_e32 v1, 0, v1, vcc
	v_cndmask_b32_e32 v0, 3, v0, vcc
	v_cmp_eq_u64_e64 s[28:29], 0, v[0:1]
	v_min_i32_e32 v1, 31, v2
	v_lshlrev_b32_e32 v1, 2, v1
	v_cmp_eq_u32_e32 vcc, 0, v2
	v_and_b32_e32 v1, 0xfc, v1
	v_and_or_b32 v0, v0, 3, v1
	s_and_b64 s[28:29], vcc, s[28:29]
	v_cndmask_b32_e64 v0, v0, 0, s[28:29]
	v_or_b32_e32 v61, v0, v7
.LBB4_3389:                             ;   in Loop: Header=BB4_3167 Depth=4
	s_or_b64 exec, exec, s[36:37]
                                        ; implicit-def: $vgpr7
.LBB4_3390:                             ;   in Loop: Header=BB4_3167 Depth=4
	s_andn2_saveexec_b64 s[28:29], s[34:35]
; %bb.3391:                             ;   in Loop: Header=BB4_3167 Depth=4
	v_or_b32_e32 v61, 0x7b, v7
; %bb.3392:                             ;   in Loop: Header=BB4_3167 Depth=4
	s_or_b64 exec, exec, s[28:29]
                                        ; implicit-def: $vgpr0
.LBB4_3393:                             ;   in Loop: Header=BB4_3167 Depth=4
	s_andn2_saveexec_b64 s[28:29], s[30:31]
	s_cbranch_execz .LBB4_3399
; %bb.3394:                             ;   in Loop: Header=BB4_3167 Depth=4
	v_cmp_ne_u64_e32 vcc, 0, v[16:17]
                                        ; implicit-def: $vgpr61
	s_and_saveexec_b64 s[30:31], vcc
	s_xor_b64 vcc, exec, s[30:31]
; %bb.3395:                             ;   in Loop: Header=BB4_3167 Depth=4
	v_or_b32_sdwa v61, v0, s47 dst_sel:DWORD dst_unused:UNUSED_PAD src0_sel:BYTE_3 src1_sel:DWORD
                                        ; implicit-def: $vgpr0
; %bb.3396:                             ;   in Loop: Header=BB4_3167 Depth=4
	s_andn2_saveexec_b64 s[30:31], vcc
; %bb.3397:                             ;   in Loop: Header=BB4_3167 Depth=4
	v_cmp_lt_i32_e32 vcc, -1, v0
	v_bfrev_b32_e32 v0, 0.5
	v_cndmask_b32_e32 v61, v0, v52, vcc
; %bb.3398:                             ;   in Loop: Header=BB4_3167 Depth=4
	s_or_b64 exec, exec, s[30:31]
.LBB4_3399:                             ;   in Loop: Header=BB4_3167 Depth=4
	s_or_b64 exec, exec, s[28:29]
	v_cmp_ne_u16_sdwa vcc, v10, v17 src0_sel:BYTE_0 src1_sel:DWORD
	v_mov_b32_e32 v0, 0
	s_and_saveexec_b64 s[28:29], vcc
	s_cbranch_execz .LBB4_3407
; %bb.3400:                             ;   in Loop: Header=BB4_3167 Depth=4
	v_cmp_ne_u16_sdwa vcc, sext(v10), s97 src0_sel:BYTE_0 src1_sel:DWORD
	v_bfrev_b32_e32 v0, 1
	s_and_saveexec_b64 s[30:31], vcc
	s_cbranch_execz .LBB4_3406
; %bb.3401:                             ;   in Loop: Header=BB4_3167 Depth=4
	v_and_b32_e32 v0, 0x7c, v10
	v_and_b32_e32 v1, 3, v10
	v_cmp_ne_u32_e32 vcc, s85, v0
                                        ; implicit-def: $vgpr0
	s_and_saveexec_b64 s[34:35], vcc
	s_xor_b64 s[34:35], exec, s[34:35]
	s_cbranch_execz .LBB4_3403
; %bb.3402:                             ;   in Loop: Header=BB4_3167 Depth=4
	v_ffbh_u32_e32 v2, v1
	v_min_u32_e32 v2, 32, v2
	v_bfe_u32 v0, v10, 2, 5
	v_subrev_u32_e32 v4, 29, v2
	v_lshlrev_b64 v[7:8], v4, v[10:11]
	v_sub_u32_e32 v2, 30, v2
	v_cmp_eq_u32_e32 vcc, 0, v0
	v_cndmask_b32_e32 v0, v0, v2, vcc
	v_lshlrev_b32_e32 v2, 24, v10
	v_and_b32_e32 v4, 3, v7
	v_and_b32_e32 v2, 0x80000000, v2
	v_cndmask_b32_e32 v1, v1, v4, vcc
	v_lshl_add_u32 v0, v0, 23, v2
	v_lshl_or_b32 v0, v1, 21, v0
	v_add_u32_e32 v0, 0x38000000, v0
                                        ; implicit-def: $vgpr1
.LBB4_3403:                             ;   in Loop: Header=BB4_3167 Depth=4
	s_andn2_saveexec_b64 s[34:35], s[34:35]
; %bb.3404:                             ;   in Loop: Header=BB4_3167 Depth=4
	v_mov_b32_e32 v0, -1
	v_cmp_gt_i16_sdwa vcc, sext(v10), v0 src0_sel:BYTE_0 src1_sel:DWORD
	v_mov_b32_e32 v0, 0xff800000
	v_mov_b32_e32 v2, 0x7f800000
	v_cndmask_b32_e32 v0, v0, v2, vcc
	v_cmp_eq_u32_e32 vcc, 0, v1
	v_mov_b32_e32 v1, 0x7f800001
	v_cndmask_b32_e32 v0, v1, v0, vcc
; %bb.3405:                             ;   in Loop: Header=BB4_3167 Depth=4
	s_or_b64 exec, exec, s[34:35]
.LBB4_3406:                             ;   in Loop: Header=BB4_3167 Depth=4
	s_or_b64 exec, exec, s[30:31]
.LBB4_3407:                             ;   in Loop: Header=BB4_3167 Depth=4
	s_or_b64 exec, exec, s[28:29]
	v_mul_f32_e32 v0, v12, v0
	v_and_b32_e32 v1, 0x7f800000, v0
	v_mov_b32_e32 v2, v17
	v_cmp_ne_u64_e32 vcc, s[76:77], v[1:2]
	v_and_b32_e32 v16, 0x7fffff, v0
                                        ; implicit-def: $vgpr38
	s_and_saveexec_b64 s[28:29], vcc
	s_xor_b64 s[30:31], exec, s[28:29]
	s_cbranch_execz .LBB4_3421
; %bb.3408:                             ;   in Loop: Header=BB4_3167 Depth=4
	v_and_b32_e32 v1, 0x7fffffff, v0
	v_mov_b32_e32 v2, v17
	v_cmp_gt_u64_e32 vcc, s[78:79], v[1:2]
	v_and_b32_sdwa v7, v0, s96 dst_sel:DWORD dst_unused:UNUSED_PAD src0_sel:BYTE_3 src1_sel:DWORD
                                        ; implicit-def: $vgpr38
	s_and_saveexec_b64 s[28:29], vcc
	s_xor_b64 s[34:35], exec, s[28:29]
	s_cbranch_execz .LBB4_3418
; %bb.3409:                             ;   in Loop: Header=BB4_3167 Depth=4
	v_mov_b32_e32 v38, 0
	v_cmp_ne_u32_e32 vcc, 0, v0
	s_and_saveexec_b64 s[36:37], vcc
	s_cbranch_execz .LBB4_3417
; %bb.3410:                             ;   in Loop: Header=BB4_3167 Depth=4
	v_bfe_u32 v4, v0, 23, 8
	v_cmp_gt_u32_e64 s[28:29], s46, v4
	v_sub_u32_e32 v0, 0x71, v4
	v_cmp_eq_u32_e32 vcc, 0, v4
	v_cndmask_b32_e64 v0, 0, v0, s[28:29]
	v_mov_b32_e32 v2, 0x70
	v_cndmask_b32_e32 v8, v0, v2, vcc
	v_add_u32_e32 v2, 21, v8
	v_or_b32_e32 v1, 0x800000, v16
	v_lshlrev_b64 v[13:14], v2, -1
	v_cndmask_b32_e32 v0, v1, v16, vcc
	v_mov_b32_e32 v1, v17
	v_add_u32_e32 v2, 20, v8
	v_bfi_b32 v13, v13, 0, v0
	v_lshlrev_b64 v[15:16], v2, 1
	v_lshrrev_b64 v[0:1], v8, v[0:1]
	v_bfi_b32 v14, v14, 0, 0
	v_cmp_eq_u64_e64 s[28:29], v[13:14], v[15:16]
	v_mov_b32_e32 v2, v1
	v_mov_b32_e32 v1, v0
	s_and_saveexec_b64 s[38:39], s[28:29]
; %bb.3411:                             ;   in Loop: Header=BB4_3167 Depth=4
	v_bfe_u32 v1, v0, 21, 1
	v_add_co_u32_e64 v1, s[28:29], v0, v1
	v_add_co_u32_e64 v1, s[28:29], -1, v1
; %bb.3412:                             ;   in Loop: Header=BB4_3167 Depth=4
	s_or_b64 exec, exec, s[38:39]
	v_add_u32_e32 v2, 0xffffff81, v4
	v_mov_b32_e32 v4, 0xffffff82
	v_cndmask_b32_e32 v2, v2, v4, vcc
	v_lshrrev_b32_e32 v4, 23, v0
	v_add3_u32 v8, v8, v2, v4
	v_add_u32_e32 v4, 14, v8
	v_and_b32_e32 v1, 0x1fffff, v1
	v_add_u32_e32 v16, v1, v0
	v_cmp_ne_u32_e32 vcc, 0, v4
                                        ; implicit-def: $vgpr0_vgpr1
                                        ; implicit-def: $vgpr2
	s_and_saveexec_b64 s[28:29], vcc
	s_xor_b64 s[28:29], exec, s[28:29]
; %bb.3413:                             ;   in Loop: Header=BB4_3167 Depth=4
	v_cmp_lt_u64_e32 vcc, s[88:89], v[16:17]
	v_add_u32_e32 v0, 15, v8
	v_cndmask_b32_e32 v2, v4, v0, vcc
	v_cndmask_b32_e64 v0, 0, 1, vcc
	v_lshrrev_b64 v[0:1], v0, v[16:17]
; %bb.3414:                             ;   in Loop: Header=BB4_3167 Depth=4
	s_andn2_saveexec_b64 s[28:29], s[28:29]
; %bb.3415:                             ;   in Loop: Header=BB4_3167 Depth=4
	v_mov_b32_e32 v0, v16
	v_mov_b32_e32 v1, v17
	v_bfe_u32 v2, v16, 23, 1
; %bb.3416:                             ;   in Loop: Header=BB4_3167 Depth=4
	s_or_b64 exec, exec, s[28:29]
	v_lshrrev_b64 v[0:1], 21, v[0:1]
	v_cmp_gt_i32_e32 vcc, 32, v2
	v_cndmask_b32_e32 v1, 0, v1, vcc
	v_cndmask_b32_e32 v0, 3, v0, vcc
	v_cmp_eq_u64_e64 s[28:29], 0, v[0:1]
	v_min_i32_e32 v1, 31, v2
	v_lshlrev_b32_e32 v1, 2, v1
	v_cmp_eq_u32_e32 vcc, 0, v2
	v_and_b32_e32 v1, 0xfc, v1
	v_and_or_b32 v0, v0, 3, v1
	s_and_b64 s[28:29], vcc, s[28:29]
	v_cndmask_b32_e64 v0, v0, 0, s[28:29]
	v_or_b32_e32 v38, v0, v7
.LBB4_3417:                             ;   in Loop: Header=BB4_3167 Depth=4
	s_or_b64 exec, exec, s[36:37]
                                        ; implicit-def: $vgpr7
.LBB4_3418:                             ;   in Loop: Header=BB4_3167 Depth=4
	s_andn2_saveexec_b64 s[28:29], s[34:35]
; %bb.3419:                             ;   in Loop: Header=BB4_3167 Depth=4
	v_or_b32_e32 v38, 0x7b, v7
; %bb.3420:                             ;   in Loop: Header=BB4_3167 Depth=4
	s_or_b64 exec, exec, s[28:29]
                                        ; implicit-def: $vgpr0
.LBB4_3421:                             ;   in Loop: Header=BB4_3167 Depth=4
	s_andn2_saveexec_b64 s[28:29], s[30:31]
	s_cbranch_execz .LBB4_3427
; %bb.3422:                             ;   in Loop: Header=BB4_3167 Depth=4
	v_cmp_ne_u64_e32 vcc, 0, v[16:17]
                                        ; implicit-def: $vgpr38
	s_and_saveexec_b64 s[30:31], vcc
	s_xor_b64 vcc, exec, s[30:31]
; %bb.3423:                             ;   in Loop: Header=BB4_3167 Depth=4
	v_or_b32_sdwa v38, v0, s47 dst_sel:DWORD dst_unused:UNUSED_PAD src0_sel:BYTE_3 src1_sel:DWORD
                                        ; implicit-def: $vgpr0
; %bb.3424:                             ;   in Loop: Header=BB4_3167 Depth=4
	s_andn2_saveexec_b64 s[30:31], vcc
; %bb.3425:                             ;   in Loop: Header=BB4_3167 Depth=4
	v_cmp_lt_i32_e32 vcc, -1, v0
	v_bfrev_b32_e32 v0, 0.5
	v_cndmask_b32_e32 v38, v0, v52, vcc
; %bb.3426:                             ;   in Loop: Header=BB4_3167 Depth=4
	s_or_b64 exec, exec, s[30:31]
.LBB4_3427:                             ;   in Loop: Header=BB4_3167 Depth=4
	s_or_b64 exec, exec, s[28:29]
	v_lshrrev_b16_e32 v0, 8, v10
	v_cmp_ne_u16_e32 vcc, 0, v0
	v_mov_b32_e32 v1, 0
	s_and_saveexec_b64 s[28:29], vcc
	s_cbranch_execz .LBB4_3435
; %bb.3428:                             ;   in Loop: Header=BB4_3167 Depth=4
	v_cmp_ne_u16_e32 vcc, s96, v0
	v_bfrev_b32_e32 v1, 1
	s_and_saveexec_b64 s[30:31], vcc
	s_cbranch_execz .LBB4_3434
; %bb.3429:                             ;   in Loop: Header=BB4_3167 Depth=4
	v_and_b32_e32 v1, 0x7c, v0
	v_and_b32_e32 v2, 3, v0
	v_cmp_ne_u32_e32 vcc, s85, v1
                                        ; implicit-def: $vgpr1
	s_and_saveexec_b64 s[34:35], vcc
	s_xor_b64 s[34:35], exec, s[34:35]
	s_cbranch_execz .LBB4_3431
; %bb.3430:                             ;   in Loop: Header=BB4_3167 Depth=4
	v_ffbh_u32_e32 v7, v2
	v_min_u32_e32 v7, 32, v7
	v_mov_b32_e32 v1, v17
	v_subrev_u32_e32 v8, 29, v7
	v_bfe_u32 v4, v0, 2, 5
	v_lshlrev_b64 v[0:1], v8, v[0:1]
	v_cmp_eq_u32_e32 vcc, 0, v4
	v_and_b32_e32 v0, 3, v0
	v_sub_u32_e32 v1, 30, v7
	v_cndmask_b32_e32 v0, v2, v0, vcc
	v_lshlrev_b32_e32 v2, 16, v10
	v_cndmask_b32_e32 v1, v4, v1, vcc
	v_and_b32_e32 v2, 0x80000000, v2
	v_lshl_add_u32 v1, v1, 23, v2
	v_lshl_or_b32 v0, v0, 21, v1
	v_add_u32_e32 v1, 0x38000000, v0
                                        ; implicit-def: $vgpr2
.LBB4_3431:                             ;   in Loop: Header=BB4_3167 Depth=4
	s_andn2_saveexec_b64 s[34:35], s[34:35]
; %bb.3432:                             ;   in Loop: Header=BB4_3167 Depth=4
	v_cmp_lt_i16_e32 vcc, -1, v10
	v_mov_b32_e32 v0, 0xff800000
	v_mov_b32_e32 v1, 0x7f800000
	v_cndmask_b32_e32 v0, v0, v1, vcc
	v_cmp_eq_u32_e32 vcc, 0, v2
	v_mov_b32_e32 v1, 0x7f800001
	v_cndmask_b32_e32 v1, v1, v0, vcc
; %bb.3433:                             ;   in Loop: Header=BB4_3167 Depth=4
	s_or_b64 exec, exec, s[34:35]
.LBB4_3434:                             ;   in Loop: Header=BB4_3167 Depth=4
	s_or_b64 exec, exec, s[30:31]
.LBB4_3435:                             ;   in Loop: Header=BB4_3167 Depth=4
	s_or_b64 exec, exec, s[28:29]
	v_mul_f32_e32 v0, v12, v1
	v_and_b32_e32 v1, 0x7f800000, v0
	v_mov_b32_e32 v2, v17
	v_cmp_ne_u64_e32 vcc, s[76:77], v[1:2]
	v_and_b32_e32 v16, 0x7fffff, v0
                                        ; implicit-def: $vgpr54
	s_and_saveexec_b64 s[28:29], vcc
	s_xor_b64 s[30:31], exec, s[28:29]
	s_cbranch_execz .LBB4_3449
; %bb.3436:                             ;   in Loop: Header=BB4_3167 Depth=4
	v_and_b32_e32 v1, 0x7fffffff, v0
	v_mov_b32_e32 v2, v17
	v_cmp_gt_u64_e32 vcc, s[78:79], v[1:2]
	v_and_b32_sdwa v7, v0, s96 dst_sel:DWORD dst_unused:UNUSED_PAD src0_sel:BYTE_3 src1_sel:DWORD
                                        ; implicit-def: $vgpr54
	s_and_saveexec_b64 s[28:29], vcc
	s_xor_b64 s[34:35], exec, s[28:29]
	s_cbranch_execz .LBB4_3446
; %bb.3437:                             ;   in Loop: Header=BB4_3167 Depth=4
	v_mov_b32_e32 v54, 0
	v_cmp_ne_u32_e32 vcc, 0, v0
	s_and_saveexec_b64 s[36:37], vcc
	s_cbranch_execz .LBB4_3445
; %bb.3438:                             ;   in Loop: Header=BB4_3167 Depth=4
	v_bfe_u32 v4, v0, 23, 8
	v_cmp_gt_u32_e64 s[28:29], s46, v4
	v_sub_u32_e32 v0, 0x71, v4
	v_cmp_eq_u32_e32 vcc, 0, v4
	v_cndmask_b32_e64 v0, 0, v0, s[28:29]
	v_mov_b32_e32 v2, 0x70
	v_cndmask_b32_e32 v8, v0, v2, vcc
	v_add_u32_e32 v2, 21, v8
	v_or_b32_e32 v1, 0x800000, v16
	v_lshlrev_b64 v[13:14], v2, -1
	v_cndmask_b32_e32 v0, v1, v16, vcc
	v_mov_b32_e32 v1, v17
	v_add_u32_e32 v2, 20, v8
	v_bfi_b32 v13, v13, 0, v0
	v_lshlrev_b64 v[15:16], v2, 1
	v_lshrrev_b64 v[0:1], v8, v[0:1]
	v_bfi_b32 v14, v14, 0, 0
	v_cmp_eq_u64_e64 s[28:29], v[13:14], v[15:16]
	v_mov_b32_e32 v2, v1
	v_mov_b32_e32 v1, v0
	s_and_saveexec_b64 s[38:39], s[28:29]
; %bb.3439:                             ;   in Loop: Header=BB4_3167 Depth=4
	v_bfe_u32 v1, v0, 21, 1
	v_add_co_u32_e64 v1, s[28:29], v0, v1
	v_add_co_u32_e64 v1, s[28:29], -1, v1
; %bb.3440:                             ;   in Loop: Header=BB4_3167 Depth=4
	s_or_b64 exec, exec, s[38:39]
	v_add_u32_e32 v2, 0xffffff81, v4
	v_mov_b32_e32 v4, 0xffffff82
	v_cndmask_b32_e32 v2, v2, v4, vcc
	v_lshrrev_b32_e32 v4, 23, v0
	v_add3_u32 v8, v8, v2, v4
	v_add_u32_e32 v4, 14, v8
	v_and_b32_e32 v1, 0x1fffff, v1
	v_add_u32_e32 v16, v1, v0
	v_cmp_ne_u32_e32 vcc, 0, v4
                                        ; implicit-def: $vgpr0_vgpr1
                                        ; implicit-def: $vgpr2
	s_and_saveexec_b64 s[28:29], vcc
	s_xor_b64 s[28:29], exec, s[28:29]
; %bb.3441:                             ;   in Loop: Header=BB4_3167 Depth=4
	v_cmp_lt_u64_e32 vcc, s[88:89], v[16:17]
	v_add_u32_e32 v0, 15, v8
	v_cndmask_b32_e32 v2, v4, v0, vcc
	v_cndmask_b32_e64 v0, 0, 1, vcc
	v_lshrrev_b64 v[0:1], v0, v[16:17]
; %bb.3442:                             ;   in Loop: Header=BB4_3167 Depth=4
	s_andn2_saveexec_b64 s[28:29], s[28:29]
; %bb.3443:                             ;   in Loop: Header=BB4_3167 Depth=4
	v_mov_b32_e32 v0, v16
	v_mov_b32_e32 v1, v17
	v_bfe_u32 v2, v16, 23, 1
; %bb.3444:                             ;   in Loop: Header=BB4_3167 Depth=4
	s_or_b64 exec, exec, s[28:29]
	v_lshrrev_b64 v[0:1], 21, v[0:1]
	v_cmp_gt_i32_e32 vcc, 32, v2
	v_cndmask_b32_e32 v1, 0, v1, vcc
	v_cndmask_b32_e32 v0, 3, v0, vcc
	v_cmp_eq_u64_e64 s[28:29], 0, v[0:1]
	v_min_i32_e32 v1, 31, v2
	v_lshlrev_b32_e32 v1, 2, v1
	v_cmp_eq_u32_e32 vcc, 0, v2
	v_and_b32_e32 v1, 0xfc, v1
	v_and_or_b32 v0, v0, 3, v1
	s_and_b64 s[28:29], vcc, s[28:29]
	v_cndmask_b32_e64 v0, v0, 0, s[28:29]
	v_or_b32_e32 v54, v0, v7
.LBB4_3445:                             ;   in Loop: Header=BB4_3167 Depth=4
	s_or_b64 exec, exec, s[36:37]
                                        ; implicit-def: $vgpr7
.LBB4_3446:                             ;   in Loop: Header=BB4_3167 Depth=4
	s_andn2_saveexec_b64 s[28:29], s[34:35]
; %bb.3447:                             ;   in Loop: Header=BB4_3167 Depth=4
	v_or_b32_e32 v54, 0x7b, v7
; %bb.3448:                             ;   in Loop: Header=BB4_3167 Depth=4
	s_or_b64 exec, exec, s[28:29]
                                        ; implicit-def: $vgpr0
.LBB4_3449:                             ;   in Loop: Header=BB4_3167 Depth=4
	s_andn2_saveexec_b64 s[28:29], s[30:31]
	s_cbranch_execz .LBB4_3455
; %bb.3450:                             ;   in Loop: Header=BB4_3167 Depth=4
	v_cmp_ne_u64_e32 vcc, 0, v[16:17]
                                        ; implicit-def: $vgpr54
	s_and_saveexec_b64 s[30:31], vcc
	s_xor_b64 vcc, exec, s[30:31]
; %bb.3451:                             ;   in Loop: Header=BB4_3167 Depth=4
	v_or_b32_sdwa v54, v0, s47 dst_sel:DWORD dst_unused:UNUSED_PAD src0_sel:BYTE_3 src1_sel:DWORD
                                        ; implicit-def: $vgpr0
; %bb.3452:                             ;   in Loop: Header=BB4_3167 Depth=4
	s_andn2_saveexec_b64 s[30:31], vcc
; %bb.3453:                             ;   in Loop: Header=BB4_3167 Depth=4
	v_cmp_lt_i32_e32 vcc, -1, v0
	v_bfrev_b32_e32 v0, 0.5
	v_cndmask_b32_e32 v54, v0, v52, vcc
; %bb.3454:                             ;   in Loop: Header=BB4_3167 Depth=4
	s_or_b64 exec, exec, s[30:31]
.LBB4_3455:                             ;   in Loop: Header=BB4_3167 Depth=4
	s_or_b64 exec, exec, s[28:29]
	v_lshrrev_b32_e32 v0, 16, v10
	v_cmp_ne_u16_sdwa vcc, v0, v17 src0_sel:BYTE_0 src1_sel:DWORD
	v_mov_b32_e32 v1, 0
	s_and_saveexec_b64 s[28:29], vcc
	s_cbranch_execz .LBB4_3463
; %bb.3456:                             ;   in Loop: Header=BB4_3167 Depth=4
	v_cmp_ne_u16_sdwa vcc, v0, s96 src0_sel:BYTE_0 src1_sel:DWORD
	v_bfrev_b32_e32 v1, 1
	s_and_saveexec_b64 s[30:31], vcc
	s_cbranch_execz .LBB4_3462
; %bb.3457:                             ;   in Loop: Header=BB4_3167 Depth=4
	v_and_b32_e32 v1, 0x7c0000, v10
	v_bfe_u32 v2, v10, 16, 2
	v_cmp_ne_u32_e32 vcc, s44, v1
                                        ; implicit-def: $vgpr1
	s_and_saveexec_b64 s[34:35], vcc
	s_xor_b64 s[34:35], exec, s[34:35]
	s_cbranch_execz .LBB4_3459
; %bb.3458:                             ;   in Loop: Header=BB4_3167 Depth=4
	v_ffbh_u32_e32 v1, v2
	v_min_u32_e32 v7, 32, v1
	v_subrev_u32_e32 v1, 29, v7
	v_lshlrev_b64 v[0:1], v1, v[0:1]
	v_bfe_u32 v4, v10, 18, 5
	v_and_b32_e32 v0, 3, v0
	v_cmp_eq_u32_e32 vcc, 0, v4
	v_sub_u32_e32 v1, 30, v7
	v_cndmask_b32_e32 v0, v2, v0, vcc
	v_lshlrev_b32_e32 v2, 8, v10
	v_cndmask_b32_e32 v1, v4, v1, vcc
	v_and_b32_e32 v2, 0x80000000, v2
	v_lshl_add_u32 v1, v1, 23, v2
	v_lshl_or_b32 v0, v0, 21, v1
	v_add_u32_e32 v1, 0x38000000, v0
                                        ; implicit-def: $vgpr2
                                        ; implicit-def: $vgpr0
.LBB4_3459:                             ;   in Loop: Header=BB4_3167 Depth=4
	s_andn2_saveexec_b64 s[34:35], s[34:35]
; %bb.3460:                             ;   in Loop: Header=BB4_3167 Depth=4
	v_mov_b32_e32 v1, -1
	v_cmp_gt_i16_sdwa vcc, sext(v0), v1 src0_sel:BYTE_0 src1_sel:DWORD
	v_mov_b32_e32 v0, 0xff800000
	v_mov_b32_e32 v1, 0x7f800000
	v_cndmask_b32_e32 v0, v0, v1, vcc
	v_cmp_eq_u32_e32 vcc, 0, v2
	v_mov_b32_e32 v1, 0x7f800001
	v_cndmask_b32_e32 v1, v1, v0, vcc
; %bb.3461:                             ;   in Loop: Header=BB4_3167 Depth=4
	s_or_b64 exec, exec, s[34:35]
.LBB4_3462:                             ;   in Loop: Header=BB4_3167 Depth=4
	s_or_b64 exec, exec, s[30:31]
.LBB4_3463:                             ;   in Loop: Header=BB4_3167 Depth=4
	s_or_b64 exec, exec, s[28:29]
	v_mul_f32_e32 v0, v12, v1
	v_and_b32_e32 v1, 0x7f800000, v0
	v_mov_b32_e32 v2, v17
	v_cmp_ne_u64_e32 vcc, s[76:77], v[1:2]
	v_and_b32_e32 v16, 0x7fffff, v0
                                        ; implicit-def: $vgpr59
	s_and_saveexec_b64 s[28:29], vcc
	s_xor_b64 s[30:31], exec, s[28:29]
	s_cbranch_execz .LBB4_3477
; %bb.3464:                             ;   in Loop: Header=BB4_3167 Depth=4
	v_and_b32_e32 v1, 0x7fffffff, v0
	v_mov_b32_e32 v2, v17
	v_cmp_gt_u64_e32 vcc, s[78:79], v[1:2]
	v_and_b32_sdwa v7, v0, s96 dst_sel:DWORD dst_unused:UNUSED_PAD src0_sel:BYTE_3 src1_sel:DWORD
                                        ; implicit-def: $vgpr59
	s_and_saveexec_b64 s[28:29], vcc
	s_xor_b64 s[34:35], exec, s[28:29]
	s_cbranch_execz .LBB4_3474
; %bb.3465:                             ;   in Loop: Header=BB4_3167 Depth=4
	v_mov_b32_e32 v59, 0
	v_cmp_ne_u32_e32 vcc, 0, v0
	s_and_saveexec_b64 s[36:37], vcc
	s_cbranch_execz .LBB4_3473
; %bb.3466:                             ;   in Loop: Header=BB4_3167 Depth=4
	v_bfe_u32 v4, v0, 23, 8
	v_cmp_gt_u32_e64 s[28:29], s46, v4
	v_sub_u32_e32 v0, 0x71, v4
	v_cmp_eq_u32_e32 vcc, 0, v4
	v_cndmask_b32_e64 v0, 0, v0, s[28:29]
	v_mov_b32_e32 v2, 0x70
	v_cndmask_b32_e32 v8, v0, v2, vcc
	v_add_u32_e32 v2, 21, v8
	v_or_b32_e32 v1, 0x800000, v16
	v_lshlrev_b64 v[13:14], v2, -1
	v_cndmask_b32_e32 v0, v1, v16, vcc
	v_mov_b32_e32 v1, v17
	v_add_u32_e32 v2, 20, v8
	v_bfi_b32 v13, v13, 0, v0
	v_lshlrev_b64 v[15:16], v2, 1
	v_lshrrev_b64 v[0:1], v8, v[0:1]
	v_bfi_b32 v14, v14, 0, 0
	v_cmp_eq_u64_e64 s[28:29], v[13:14], v[15:16]
	v_mov_b32_e32 v2, v1
	v_mov_b32_e32 v1, v0
	s_and_saveexec_b64 s[38:39], s[28:29]
; %bb.3467:                             ;   in Loop: Header=BB4_3167 Depth=4
	v_bfe_u32 v1, v0, 21, 1
	v_add_co_u32_e64 v1, s[28:29], v0, v1
	v_add_co_u32_e64 v1, s[28:29], -1, v1
; %bb.3468:                             ;   in Loop: Header=BB4_3167 Depth=4
	s_or_b64 exec, exec, s[38:39]
	v_add_u32_e32 v2, 0xffffff81, v4
	v_mov_b32_e32 v4, 0xffffff82
	v_cndmask_b32_e32 v2, v2, v4, vcc
	v_lshrrev_b32_e32 v4, 23, v0
	v_add3_u32 v8, v8, v2, v4
	v_add_u32_e32 v4, 14, v8
	v_and_b32_e32 v1, 0x1fffff, v1
	v_add_u32_e32 v16, v1, v0
	v_cmp_ne_u32_e32 vcc, 0, v4
                                        ; implicit-def: $vgpr0_vgpr1
                                        ; implicit-def: $vgpr2
	s_and_saveexec_b64 s[28:29], vcc
	s_xor_b64 s[28:29], exec, s[28:29]
; %bb.3469:                             ;   in Loop: Header=BB4_3167 Depth=4
	v_cmp_lt_u64_e32 vcc, s[88:89], v[16:17]
	v_add_u32_e32 v0, 15, v8
	v_cndmask_b32_e32 v2, v4, v0, vcc
	v_cndmask_b32_e64 v0, 0, 1, vcc
	v_lshrrev_b64 v[0:1], v0, v[16:17]
; %bb.3470:                             ;   in Loop: Header=BB4_3167 Depth=4
	s_andn2_saveexec_b64 s[28:29], s[28:29]
; %bb.3471:                             ;   in Loop: Header=BB4_3167 Depth=4
	v_mov_b32_e32 v0, v16
	v_mov_b32_e32 v1, v17
	v_bfe_u32 v2, v16, 23, 1
; %bb.3472:                             ;   in Loop: Header=BB4_3167 Depth=4
	s_or_b64 exec, exec, s[28:29]
	v_lshrrev_b64 v[0:1], 21, v[0:1]
	v_cmp_gt_i32_e32 vcc, 32, v2
	v_cndmask_b32_e32 v1, 0, v1, vcc
	v_cndmask_b32_e32 v0, 3, v0, vcc
	v_cmp_eq_u64_e64 s[28:29], 0, v[0:1]
	v_min_i32_e32 v1, 31, v2
	v_lshlrev_b32_e32 v1, 2, v1
	v_cmp_eq_u32_e32 vcc, 0, v2
	v_and_b32_e32 v1, 0xfc, v1
	v_and_or_b32 v0, v0, 3, v1
	s_and_b64 s[28:29], vcc, s[28:29]
	v_cndmask_b32_e64 v0, v0, 0, s[28:29]
	v_or_b32_e32 v59, v0, v7
.LBB4_3473:                             ;   in Loop: Header=BB4_3167 Depth=4
	s_or_b64 exec, exec, s[36:37]
                                        ; implicit-def: $vgpr7
.LBB4_3474:                             ;   in Loop: Header=BB4_3167 Depth=4
	s_andn2_saveexec_b64 s[28:29], s[34:35]
; %bb.3475:                             ;   in Loop: Header=BB4_3167 Depth=4
	v_or_b32_e32 v59, 0x7b, v7
; %bb.3476:                             ;   in Loop: Header=BB4_3167 Depth=4
	s_or_b64 exec, exec, s[28:29]
                                        ; implicit-def: $vgpr0
.LBB4_3477:                             ;   in Loop: Header=BB4_3167 Depth=4
	s_andn2_saveexec_b64 s[28:29], s[30:31]
	s_cbranch_execz .LBB4_3483
; %bb.3478:                             ;   in Loop: Header=BB4_3167 Depth=4
	v_cmp_ne_u64_e32 vcc, 0, v[16:17]
                                        ; implicit-def: $vgpr59
	s_and_saveexec_b64 s[30:31], vcc
	s_xor_b64 vcc, exec, s[30:31]
; %bb.3479:                             ;   in Loop: Header=BB4_3167 Depth=4
	v_or_b32_sdwa v59, v0, s47 dst_sel:DWORD dst_unused:UNUSED_PAD src0_sel:BYTE_3 src1_sel:DWORD
                                        ; implicit-def: $vgpr0
; %bb.3480:                             ;   in Loop: Header=BB4_3167 Depth=4
	s_andn2_saveexec_b64 s[30:31], vcc
; %bb.3481:                             ;   in Loop: Header=BB4_3167 Depth=4
	v_cmp_lt_i32_e32 vcc, -1, v0
	v_bfrev_b32_e32 v0, 0.5
	v_cndmask_b32_e32 v59, v0, v52, vcc
; %bb.3482:                             ;   in Loop: Header=BB4_3167 Depth=4
	s_or_b64 exec, exec, s[30:31]
.LBB4_3483:                             ;   in Loop: Header=BB4_3167 Depth=4
	s_or_b64 exec, exec, s[28:29]
	v_cmp_lt_u32_e32 vcc, s57, v10
	v_mov_b32_e32 v1, 0
	s_and_saveexec_b64 s[28:29], vcc
	s_cbranch_execz .LBB4_3491
; %bb.3484:                             ;   in Loop: Header=BB4_3167 Depth=4
	v_lshrrev_b32_e32 v0, 24, v10
	v_cmp_ne_u32_e32 vcc, s96, v0
	v_bfrev_b32_e32 v1, 1
	s_and_saveexec_b64 s[30:31], vcc
	s_cbranch_execz .LBB4_3490
; %bb.3485:                             ;   in Loop: Header=BB4_3167 Depth=4
	v_and_b32_e32 v1, 0x7c000000, v10
	v_bfe_u32 v2, v10, 24, 2
	v_cmp_ne_u32_e32 vcc, s45, v1
                                        ; implicit-def: $vgpr1
	s_and_saveexec_b64 s[34:35], vcc
	s_xor_b64 s[34:35], exec, s[34:35]
	s_cbranch_execz .LBB4_3487
; %bb.3486:                             ;   in Loop: Header=BB4_3167 Depth=4
	v_ffbh_u32_e32 v1, v2
	v_min_u32_e32 v7, 32, v1
	v_subrev_u32_e32 v1, 29, v7
	v_lshlrev_b64 v[0:1], v1, v[0:1]
	v_bfe_u32 v4, v10, 26, 5
	v_sub_u32_e32 v1, 30, v7
	v_and_b32_e32 v0, 3, v0
	v_cmp_eq_u32_e32 vcc, 0, v4
	v_cndmask_b32_e32 v1, v4, v1, vcc
	v_cndmask_b32_e32 v0, v2, v0, vcc
	v_and_b32_e32 v2, 0x80000000, v10
	v_lshl_add_u32 v1, v1, 23, v2
	v_lshl_or_b32 v0, v0, 21, v1
	v_add_u32_e32 v1, 0x38000000, v0
                                        ; implicit-def: $vgpr2
.LBB4_3487:                             ;   in Loop: Header=BB4_3167 Depth=4
	s_andn2_saveexec_b64 s[34:35], s[34:35]
; %bb.3488:                             ;   in Loop: Header=BB4_3167 Depth=4
	v_cmp_lt_i32_e32 vcc, -1, v10
	v_mov_b32_e32 v0, 0xff800000
	v_mov_b32_e32 v1, 0x7f800000
	v_cndmask_b32_e32 v0, v0, v1, vcc
	v_cmp_eq_u32_e32 vcc, 0, v2
	v_mov_b32_e32 v1, 0x7f800001
	v_cndmask_b32_e32 v1, v1, v0, vcc
; %bb.3489:                             ;   in Loop: Header=BB4_3167 Depth=4
	s_or_b64 exec, exec, s[34:35]
.LBB4_3490:                             ;   in Loop: Header=BB4_3167 Depth=4
	s_or_b64 exec, exec, s[30:31]
.LBB4_3491:                             ;   in Loop: Header=BB4_3167 Depth=4
	s_or_b64 exec, exec, s[28:29]
	v_mul_f32_e32 v0, v12, v1
	v_and_b32_e32 v1, 0x7f800000, v0
	v_mov_b32_e32 v2, v17
	v_cmp_ne_u64_e32 vcc, s[76:77], v[1:2]
	v_and_b32_e32 v16, 0x7fffff, v0
                                        ; implicit-def: $vgpr60
	s_and_saveexec_b64 s[28:29], vcc
	s_xor_b64 s[30:31], exec, s[28:29]
	s_cbranch_execz .LBB4_3505
; %bb.3492:                             ;   in Loop: Header=BB4_3167 Depth=4
	v_and_b32_e32 v1, 0x7fffffff, v0
	v_mov_b32_e32 v2, v17
	v_cmp_gt_u64_e32 vcc, s[78:79], v[1:2]
	v_and_b32_sdwa v7, v0, s96 dst_sel:DWORD dst_unused:UNUSED_PAD src0_sel:BYTE_3 src1_sel:DWORD
                                        ; implicit-def: $vgpr60
	s_and_saveexec_b64 s[28:29], vcc
	s_xor_b64 s[34:35], exec, s[28:29]
	s_cbranch_execz .LBB4_3502
; %bb.3493:                             ;   in Loop: Header=BB4_3167 Depth=4
	v_mov_b32_e32 v60, 0
	v_cmp_ne_u32_e32 vcc, 0, v0
	s_and_saveexec_b64 s[36:37], vcc
	s_cbranch_execz .LBB4_3501
; %bb.3494:                             ;   in Loop: Header=BB4_3167 Depth=4
	v_bfe_u32 v4, v0, 23, 8
	v_cmp_gt_u32_e64 s[28:29], s46, v4
	v_sub_u32_e32 v0, 0x71, v4
	v_cmp_eq_u32_e32 vcc, 0, v4
	v_cndmask_b32_e64 v0, 0, v0, s[28:29]
	v_mov_b32_e32 v2, 0x70
	v_cndmask_b32_e32 v8, v0, v2, vcc
	v_add_u32_e32 v2, 21, v8
	v_or_b32_e32 v1, 0x800000, v16
	v_lshlrev_b64 v[13:14], v2, -1
	v_cndmask_b32_e32 v0, v1, v16, vcc
	v_mov_b32_e32 v1, v17
	v_add_u32_e32 v2, 20, v8
	v_bfi_b32 v13, v13, 0, v0
	v_lshlrev_b64 v[15:16], v2, 1
	v_lshrrev_b64 v[0:1], v8, v[0:1]
	v_bfi_b32 v14, v14, 0, 0
	v_cmp_eq_u64_e64 s[28:29], v[13:14], v[15:16]
	v_mov_b32_e32 v2, v1
	v_mov_b32_e32 v1, v0
	s_and_saveexec_b64 s[38:39], s[28:29]
; %bb.3495:                             ;   in Loop: Header=BB4_3167 Depth=4
	v_bfe_u32 v1, v0, 21, 1
	v_add_co_u32_e64 v1, s[28:29], v0, v1
	v_add_co_u32_e64 v1, s[28:29], -1, v1
; %bb.3496:                             ;   in Loop: Header=BB4_3167 Depth=4
	s_or_b64 exec, exec, s[38:39]
	v_add_u32_e32 v2, 0xffffff81, v4
	v_mov_b32_e32 v4, 0xffffff82
	v_cndmask_b32_e32 v2, v2, v4, vcc
	v_lshrrev_b32_e32 v4, 23, v0
	v_add3_u32 v8, v8, v2, v4
	v_add_u32_e32 v4, 14, v8
	v_and_b32_e32 v1, 0x1fffff, v1
	v_add_u32_e32 v16, v1, v0
	v_cmp_ne_u32_e32 vcc, 0, v4
                                        ; implicit-def: $vgpr0_vgpr1
                                        ; implicit-def: $vgpr2
	s_and_saveexec_b64 s[28:29], vcc
	s_xor_b64 s[28:29], exec, s[28:29]
; %bb.3497:                             ;   in Loop: Header=BB4_3167 Depth=4
	v_cmp_lt_u64_e32 vcc, s[88:89], v[16:17]
	v_add_u32_e32 v0, 15, v8
	v_cndmask_b32_e32 v2, v4, v0, vcc
	v_cndmask_b32_e64 v0, 0, 1, vcc
	v_lshrrev_b64 v[0:1], v0, v[16:17]
; %bb.3498:                             ;   in Loop: Header=BB4_3167 Depth=4
	s_andn2_saveexec_b64 s[28:29], s[28:29]
; %bb.3499:                             ;   in Loop: Header=BB4_3167 Depth=4
	v_mov_b32_e32 v0, v16
	v_mov_b32_e32 v1, v17
	v_bfe_u32 v2, v16, 23, 1
; %bb.3500:                             ;   in Loop: Header=BB4_3167 Depth=4
	s_or_b64 exec, exec, s[28:29]
	v_lshrrev_b64 v[0:1], 21, v[0:1]
	v_cmp_gt_i32_e32 vcc, 32, v2
	v_cndmask_b32_e32 v1, 0, v1, vcc
	v_cndmask_b32_e32 v0, 3, v0, vcc
	v_cmp_eq_u64_e64 s[28:29], 0, v[0:1]
	v_min_i32_e32 v1, 31, v2
	v_lshlrev_b32_e32 v1, 2, v1
	v_cmp_eq_u32_e32 vcc, 0, v2
	v_and_b32_e32 v1, 0xfc, v1
	v_and_or_b32 v0, v0, 3, v1
	s_and_b64 s[28:29], vcc, s[28:29]
	v_cndmask_b32_e64 v0, v0, 0, s[28:29]
	v_or_b32_e32 v60, v0, v7
.LBB4_3501:                             ;   in Loop: Header=BB4_3167 Depth=4
	s_or_b64 exec, exec, s[36:37]
                                        ; implicit-def: $vgpr7
.LBB4_3502:                             ;   in Loop: Header=BB4_3167 Depth=4
	s_andn2_saveexec_b64 s[28:29], s[34:35]
; %bb.3503:                             ;   in Loop: Header=BB4_3167 Depth=4
	v_or_b32_e32 v60, 0x7b, v7
; %bb.3504:                             ;   in Loop: Header=BB4_3167 Depth=4
	s_or_b64 exec, exec, s[28:29]
                                        ; implicit-def: $vgpr0
.LBB4_3505:                             ;   in Loop: Header=BB4_3167 Depth=4
	s_andn2_saveexec_b64 s[28:29], s[30:31]
	s_cbranch_execz .LBB4_3511
; %bb.3506:                             ;   in Loop: Header=BB4_3167 Depth=4
	v_cmp_ne_u64_e32 vcc, 0, v[16:17]
                                        ; implicit-def: $vgpr60
	s_and_saveexec_b64 s[30:31], vcc
	s_xor_b64 vcc, exec, s[30:31]
; %bb.3507:                             ;   in Loop: Header=BB4_3167 Depth=4
	v_or_b32_sdwa v60, v0, s47 dst_sel:DWORD dst_unused:UNUSED_PAD src0_sel:BYTE_3 src1_sel:DWORD
                                        ; implicit-def: $vgpr0
; %bb.3508:                             ;   in Loop: Header=BB4_3167 Depth=4
	s_andn2_saveexec_b64 s[30:31], vcc
; %bb.3509:                             ;   in Loop: Header=BB4_3167 Depth=4
	v_cmp_lt_i32_e32 vcc, -1, v0
	v_bfrev_b32_e32 v0, 0.5
	v_cndmask_b32_e32 v60, v0, v52, vcc
; %bb.3510:                             ;   in Loop: Header=BB4_3167 Depth=4
	s_or_b64 exec, exec, s[30:31]
.LBB4_3511:                             ;   in Loop: Header=BB4_3167 Depth=4
	s_or_b64 exec, exec, s[28:29]
	v_mov_b32_e32 v16, v11
	v_cmp_ne_u16_sdwa vcc, v11, v17 src0_sel:BYTE_0 src1_sel:DWORD
	v_mov_b32_e32 v0, 0
	s_and_saveexec_b64 s[28:29], vcc
	s_cbranch_execz .LBB4_3519
; %bb.3512:                             ;   in Loop: Header=BB4_3167 Depth=4
	v_cmp_ne_u16_sdwa vcc, v11, s96 src0_sel:BYTE_0 src1_sel:DWORD
	v_bfrev_b32_e32 v0, 1
	s_and_saveexec_b64 s[30:31], vcc
	s_cbranch_execz .LBB4_3518
; %bb.3513:                             ;   in Loop: Header=BB4_3167 Depth=4
	v_and_b32_e32 v0, 0x7c, v11
	v_and_b32_e32 v1, 3, v11
	v_cmp_ne_u32_e32 vcc, s85, v0
                                        ; implicit-def: $vgpr0
	s_and_saveexec_b64 s[34:35], vcc
	s_xor_b64 s[34:35], exec, s[34:35]
	s_cbranch_execz .LBB4_3515
; %bb.3514:                             ;   in Loop: Header=BB4_3167 Depth=4
	v_ffbh_u32_e32 v2, v1
	v_min_u32_e32 v2, 32, v2
	v_bfe_u32 v0, v11, 2, 5
	v_subrev_u32_e32 v4, 29, v2
	v_lshlrev_b64 v[7:8], v4, v[16:17]
	v_sub_u32_e32 v2, 30, v2
	v_cmp_eq_u32_e32 vcc, 0, v0
	v_cndmask_b32_e32 v0, v0, v2, vcc
	v_lshlrev_b32_e32 v2, 24, v11
	v_and_b32_e32 v4, 3, v7
	v_and_b32_e32 v2, 0x80000000, v2
	v_cndmask_b32_e32 v1, v1, v4, vcc
	v_lshl_add_u32 v0, v0, 23, v2
	v_lshl_or_b32 v0, v1, 21, v0
	v_add_u32_e32 v0, 0x38000000, v0
                                        ; implicit-def: $vgpr1
.LBB4_3515:                             ;   in Loop: Header=BB4_3167 Depth=4
	s_andn2_saveexec_b64 s[34:35], s[34:35]
; %bb.3516:                             ;   in Loop: Header=BB4_3167 Depth=4
	v_mov_b32_e32 v0, -1
	v_cmp_gt_i16_sdwa vcc, sext(v11), v0 src0_sel:BYTE_0 src1_sel:DWORD
	v_mov_b32_e32 v0, 0xff800000
	v_mov_b32_e32 v2, 0x7f800000
	v_cndmask_b32_e32 v0, v0, v2, vcc
	v_cmp_eq_u32_e32 vcc, 0, v1
	v_mov_b32_e32 v1, 0x7f800001
	v_cndmask_b32_e32 v0, v1, v0, vcc
; %bb.3517:                             ;   in Loop: Header=BB4_3167 Depth=4
	s_or_b64 exec, exec, s[34:35]
.LBB4_3518:                             ;   in Loop: Header=BB4_3167 Depth=4
	s_or_b64 exec, exec, s[30:31]
.LBB4_3519:                             ;   in Loop: Header=BB4_3167 Depth=4
	s_or_b64 exec, exec, s[28:29]
	v_mul_f32_e32 v2, v12, v0
	v_and_b32_e32 v7, 0x7f800000, v2
	v_mov_b32_e32 v8, v17
	v_cmp_ne_u64_e32 vcc, s[76:77], v[7:8]
	v_and_b32_e32 v0, 0x7fffff, v2
	v_mov_b32_e32 v1, v17
                                        ; implicit-def: $vgpr33
	s_and_saveexec_b64 s[28:29], vcc
	s_xor_b64 s[30:31], exec, s[28:29]
	s_cbranch_execz .LBB4_3533
; %bb.3520:                             ;   in Loop: Header=BB4_3167 Depth=4
	v_and_b32_e32 v7, 0x7fffffff, v2
	v_mov_b32_e32 v8, v17
	v_cmp_gt_u64_e32 vcc, s[78:79], v[7:8]
	v_and_b32_sdwa v7, v2, s96 dst_sel:DWORD dst_unused:UNUSED_PAD src0_sel:BYTE_3 src1_sel:DWORD
                                        ; implicit-def: $vgpr33
	s_and_saveexec_b64 s[28:29], vcc
	s_xor_b64 s[34:35], exec, s[28:29]
	s_cbranch_execz .LBB4_3530
; %bb.3521:                             ;   in Loop: Header=BB4_3167 Depth=4
	v_mov_b32_e32 v33, 0
	v_cmp_ne_u32_e32 vcc, 0, v2
	s_and_saveexec_b64 s[36:37], vcc
	s_cbranch_execz .LBB4_3529
; %bb.3522:                             ;   in Loop: Header=BB4_3167 Depth=4
	v_bfe_u32 v4, v2, 23, 8
	v_cmp_gt_u32_e64 s[28:29], s46, v4
	v_sub_u32_e32 v2, 0x71, v4
	v_cmp_eq_u32_e32 vcc, 0, v4
	v_cndmask_b32_e64 v2, 0, v2, s[28:29]
	v_mov_b32_e32 v8, 0x70
	v_cndmask_b32_e32 v8, v2, v8, vcc
	v_add_u32_e32 v2, 21, v8
	v_or_b32_e32 v9, 0x800000, v0
	v_lshlrev_b64 v[13:14], v2, -1
	v_cndmask_b32_e32 v0, v9, v0, vcc
	v_add_u32_e32 v2, 20, v8
	v_bfi_b32 v13, v13, 0, v0
	v_lshlrev_b64 v[19:20], v2, 1
	v_lshrrev_b64 v[0:1], v8, v[0:1]
	v_bfi_b32 v14, v14, 0, 0
	v_cmp_eq_u64_e64 s[28:29], v[13:14], v[19:20]
	v_mov_b32_e32 v2, v1
	v_mov_b32_e32 v1, v0
	s_and_saveexec_b64 s[38:39], s[28:29]
; %bb.3523:                             ;   in Loop: Header=BB4_3167 Depth=4
	v_bfe_u32 v1, v0, 21, 1
	v_add_co_u32_e64 v1, s[28:29], v0, v1
	v_add_co_u32_e64 v1, s[28:29], -1, v1
; %bb.3524:                             ;   in Loop: Header=BB4_3167 Depth=4
	s_or_b64 exec, exec, s[38:39]
	v_add_u32_e32 v2, 0xffffff81, v4
	v_mov_b32_e32 v4, 0xffffff82
	v_cndmask_b32_e32 v2, v2, v4, vcc
	v_lshrrev_b32_e32 v4, 23, v0
	v_add3_u32 v8, v8, v2, v4
	v_add_u32_e32 v4, 14, v8
	v_and_b32_e32 v1, 0x1fffff, v1
	v_add_u32_e32 v0, v1, v0
	v_mov_b32_e32 v1, v17
	v_cmp_ne_u32_e32 vcc, 0, v4
                                        ; implicit-def: $vgpr2
	s_and_saveexec_b64 s[28:29], vcc
	s_xor_b64 s[28:29], exec, s[28:29]
; %bb.3525:                             ;   in Loop: Header=BB4_3167 Depth=4
	v_cmp_lt_u64_e32 vcc, s[88:89], v[0:1]
	v_add_u32_e32 v2, 15, v8
	v_cndmask_b32_e32 v2, v4, v2, vcc
	v_cndmask_b32_e64 v4, 0, 1, vcc
	v_lshrrev_b64 v[0:1], v4, v[0:1]
; %bb.3526:                             ;   in Loop: Header=BB4_3167 Depth=4
	s_andn2_saveexec_b64 s[28:29], s[28:29]
; %bb.3527:                             ;   in Loop: Header=BB4_3167 Depth=4
	v_bfe_u32 v2, v0, 23, 1
; %bb.3528:                             ;   in Loop: Header=BB4_3167 Depth=4
	s_or_b64 exec, exec, s[28:29]
	v_lshrrev_b64 v[0:1], 21, v[0:1]
	v_cmp_gt_i32_e32 vcc, 32, v2
	v_cndmask_b32_e32 v1, 0, v1, vcc
	v_cndmask_b32_e32 v0, 3, v0, vcc
	v_cmp_eq_u64_e64 s[28:29], 0, v[0:1]
	v_min_i32_e32 v1, 31, v2
	v_lshlrev_b32_e32 v1, 2, v1
	v_cmp_eq_u32_e32 vcc, 0, v2
	v_and_b32_e32 v1, 0xfc, v1
	v_and_or_b32 v0, v0, 3, v1
	s_and_b64 s[28:29], vcc, s[28:29]
	v_cndmask_b32_e64 v0, v0, 0, s[28:29]
	v_or_b32_e32 v33, v0, v7
.LBB4_3529:                             ;   in Loop: Header=BB4_3167 Depth=4
	s_or_b64 exec, exec, s[36:37]
                                        ; implicit-def: $vgpr7
.LBB4_3530:                             ;   in Loop: Header=BB4_3167 Depth=4
	s_andn2_saveexec_b64 s[28:29], s[34:35]
; %bb.3531:                             ;   in Loop: Header=BB4_3167 Depth=4
	v_or_b32_e32 v33, 0x7b, v7
; %bb.3532:                             ;   in Loop: Header=BB4_3167 Depth=4
	s_or_b64 exec, exec, s[28:29]
                                        ; implicit-def: $vgpr2
                                        ; implicit-def: $vgpr0_vgpr1
.LBB4_3533:                             ;   in Loop: Header=BB4_3167 Depth=4
	s_andn2_saveexec_b64 s[28:29], s[30:31]
	s_cbranch_execz .LBB4_3539
; %bb.3534:                             ;   in Loop: Header=BB4_3167 Depth=4
	v_cmp_ne_u64_e32 vcc, 0, v[0:1]
                                        ; implicit-def: $vgpr33
	s_and_saveexec_b64 s[30:31], vcc
	s_xor_b64 vcc, exec, s[30:31]
; %bb.3535:                             ;   in Loop: Header=BB4_3167 Depth=4
	v_or_b32_sdwa v33, v2, s47 dst_sel:DWORD dst_unused:UNUSED_PAD src0_sel:BYTE_3 src1_sel:DWORD
                                        ; implicit-def: $vgpr2
; %bb.3536:                             ;   in Loop: Header=BB4_3167 Depth=4
	s_andn2_saveexec_b64 s[30:31], vcc
; %bb.3537:                             ;   in Loop: Header=BB4_3167 Depth=4
	v_cmp_lt_i32_e32 vcc, -1, v2
	v_bfrev_b32_e32 v0, 0.5
	v_cndmask_b32_e32 v33, v0, v52, vcc
; %bb.3538:                             ;   in Loop: Header=BB4_3167 Depth=4
	s_or_b64 exec, exec, s[30:31]
.LBB4_3539:                             ;   in Loop: Header=BB4_3167 Depth=4
	s_or_b64 exec, exec, s[28:29]
	v_lshrrev_b16_e32 v0, 8, v16
	v_cmp_ne_u16_e32 vcc, 0, v0
	v_mov_b32_e32 v1, 0
	s_and_saveexec_b64 s[28:29], vcc
	s_cbranch_execz .LBB4_3547
; %bb.3540:                             ;   in Loop: Header=BB4_3167 Depth=4
	v_cmp_ne_u16_e32 vcc, s96, v0
	v_bfrev_b32_e32 v1, 1
	s_and_saveexec_b64 s[30:31], vcc
	s_cbranch_execz .LBB4_3546
; %bb.3541:                             ;   in Loop: Header=BB4_3167 Depth=4
	v_and_b32_e32 v1, 0x7c, v0
	v_and_b32_e32 v2, 3, v0
	v_cmp_ne_u32_e32 vcc, s85, v1
                                        ; implicit-def: $vgpr1
	s_and_saveexec_b64 s[34:35], vcc
	s_xor_b64 s[34:35], exec, s[34:35]
	s_cbranch_execz .LBB4_3543
; %bb.3542:                             ;   in Loop: Header=BB4_3167 Depth=4
	v_ffbh_u32_e32 v7, v2
	v_min_u32_e32 v7, 32, v7
	v_mov_b32_e32 v1, v17
	v_subrev_u32_e32 v8, 29, v7
	v_bfe_u32 v4, v0, 2, 5
	v_lshlrev_b64 v[0:1], v8, v[0:1]
	v_cmp_eq_u32_e32 vcc, 0, v4
	v_and_b32_e32 v0, 3, v0
	v_sub_u32_e32 v1, 30, v7
	v_cndmask_b32_e32 v0, v2, v0, vcc
	v_lshlrev_b32_e32 v2, 16, v16
	v_cndmask_b32_e32 v1, v4, v1, vcc
	v_and_b32_e32 v2, 0x80000000, v2
	v_lshl_add_u32 v1, v1, 23, v2
	v_lshl_or_b32 v0, v0, 21, v1
	v_add_u32_e32 v1, 0x38000000, v0
                                        ; implicit-def: $vgpr2
.LBB4_3543:                             ;   in Loop: Header=BB4_3167 Depth=4
	s_andn2_saveexec_b64 s[34:35], s[34:35]
; %bb.3544:                             ;   in Loop: Header=BB4_3167 Depth=4
	v_cmp_lt_i16_e32 vcc, -1, v16
	v_mov_b32_e32 v0, 0xff800000
	v_mov_b32_e32 v1, 0x7f800000
	v_cndmask_b32_e32 v0, v0, v1, vcc
	v_cmp_eq_u32_e32 vcc, 0, v2
	v_mov_b32_e32 v1, 0x7f800001
	v_cndmask_b32_e32 v1, v1, v0, vcc
; %bb.3545:                             ;   in Loop: Header=BB4_3167 Depth=4
	s_or_b64 exec, exec, s[34:35]
.LBB4_3546:                             ;   in Loop: Header=BB4_3167 Depth=4
	s_or_b64 exec, exec, s[30:31]
.LBB4_3547:                             ;   in Loop: Header=BB4_3167 Depth=4
	s_or_b64 exec, exec, s[28:29]
	v_mul_f32_e32 v0, v12, v1
	v_and_b32_e32 v1, 0x7f800000, v0
	v_mov_b32_e32 v2, v17
	v_cmp_ne_u64_e32 vcc, s[76:77], v[1:2]
	v_and_b32_e32 v16, 0x7fffff, v0
                                        ; implicit-def: $vgpr49
	s_and_saveexec_b64 s[28:29], vcc
	s_xor_b64 s[30:31], exec, s[28:29]
	s_cbranch_execz .LBB4_3561
; %bb.3548:                             ;   in Loop: Header=BB4_3167 Depth=4
	v_and_b32_e32 v1, 0x7fffffff, v0
	v_mov_b32_e32 v2, v17
	v_cmp_gt_u64_e32 vcc, s[78:79], v[1:2]
	v_and_b32_sdwa v7, v0, s96 dst_sel:DWORD dst_unused:UNUSED_PAD src0_sel:BYTE_3 src1_sel:DWORD
                                        ; implicit-def: $vgpr49
	s_and_saveexec_b64 s[28:29], vcc
	s_xor_b64 s[34:35], exec, s[28:29]
	s_cbranch_execz .LBB4_3558
; %bb.3549:                             ;   in Loop: Header=BB4_3167 Depth=4
	v_mov_b32_e32 v49, 0
	v_cmp_ne_u32_e32 vcc, 0, v0
	s_and_saveexec_b64 s[36:37], vcc
	s_cbranch_execz .LBB4_3557
; %bb.3550:                             ;   in Loop: Header=BB4_3167 Depth=4
	v_bfe_u32 v4, v0, 23, 8
	v_cmp_gt_u32_e64 s[28:29], s46, v4
	v_sub_u32_e32 v0, 0x71, v4
	v_cmp_eq_u32_e32 vcc, 0, v4
	v_cndmask_b32_e64 v0, 0, v0, s[28:29]
	v_mov_b32_e32 v2, 0x70
	v_cndmask_b32_e32 v8, v0, v2, vcc
	v_add_u32_e32 v2, 21, v8
	v_or_b32_e32 v1, 0x800000, v16
	v_lshlrev_b64 v[13:14], v2, -1
	v_cndmask_b32_e32 v0, v1, v16, vcc
	v_mov_b32_e32 v1, v17
	v_add_u32_e32 v2, 20, v8
	v_bfi_b32 v13, v13, 0, v0
	v_lshlrev_b64 v[15:16], v2, 1
	v_lshrrev_b64 v[0:1], v8, v[0:1]
	v_bfi_b32 v14, v14, 0, 0
	v_cmp_eq_u64_e64 s[28:29], v[13:14], v[15:16]
	v_mov_b32_e32 v2, v1
	v_mov_b32_e32 v1, v0
	s_and_saveexec_b64 s[38:39], s[28:29]
; %bb.3551:                             ;   in Loop: Header=BB4_3167 Depth=4
	v_bfe_u32 v1, v0, 21, 1
	v_add_co_u32_e64 v1, s[28:29], v0, v1
	v_add_co_u32_e64 v1, s[28:29], -1, v1
; %bb.3552:                             ;   in Loop: Header=BB4_3167 Depth=4
	s_or_b64 exec, exec, s[38:39]
	v_add_u32_e32 v2, 0xffffff81, v4
	v_mov_b32_e32 v4, 0xffffff82
	v_cndmask_b32_e32 v2, v2, v4, vcc
	v_lshrrev_b32_e32 v4, 23, v0
	v_add3_u32 v8, v8, v2, v4
	v_add_u32_e32 v4, 14, v8
	v_and_b32_e32 v1, 0x1fffff, v1
	v_add_u32_e32 v16, v1, v0
	v_cmp_ne_u32_e32 vcc, 0, v4
                                        ; implicit-def: $vgpr0_vgpr1
                                        ; implicit-def: $vgpr2
	s_and_saveexec_b64 s[28:29], vcc
	s_xor_b64 s[28:29], exec, s[28:29]
; %bb.3553:                             ;   in Loop: Header=BB4_3167 Depth=4
	v_cmp_lt_u64_e32 vcc, s[88:89], v[16:17]
	v_add_u32_e32 v0, 15, v8
	v_cndmask_b32_e32 v2, v4, v0, vcc
	v_cndmask_b32_e64 v0, 0, 1, vcc
	v_lshrrev_b64 v[0:1], v0, v[16:17]
; %bb.3554:                             ;   in Loop: Header=BB4_3167 Depth=4
	s_andn2_saveexec_b64 s[28:29], s[28:29]
; %bb.3555:                             ;   in Loop: Header=BB4_3167 Depth=4
	v_mov_b32_e32 v0, v16
	v_mov_b32_e32 v1, v17
	v_bfe_u32 v2, v16, 23, 1
; %bb.3556:                             ;   in Loop: Header=BB4_3167 Depth=4
	s_or_b64 exec, exec, s[28:29]
	v_lshrrev_b64 v[0:1], 21, v[0:1]
	v_cmp_gt_i32_e32 vcc, 32, v2
	v_cndmask_b32_e32 v1, 0, v1, vcc
	v_cndmask_b32_e32 v0, 3, v0, vcc
	v_cmp_eq_u64_e64 s[28:29], 0, v[0:1]
	v_min_i32_e32 v1, 31, v2
	v_lshlrev_b32_e32 v1, 2, v1
	v_cmp_eq_u32_e32 vcc, 0, v2
	v_and_b32_e32 v1, 0xfc, v1
	v_and_or_b32 v0, v0, 3, v1
	s_and_b64 s[28:29], vcc, s[28:29]
	v_cndmask_b32_e64 v0, v0, 0, s[28:29]
	v_or_b32_e32 v49, v0, v7
.LBB4_3557:                             ;   in Loop: Header=BB4_3167 Depth=4
	s_or_b64 exec, exec, s[36:37]
                                        ; implicit-def: $vgpr7
.LBB4_3558:                             ;   in Loop: Header=BB4_3167 Depth=4
	s_andn2_saveexec_b64 s[28:29], s[34:35]
; %bb.3559:                             ;   in Loop: Header=BB4_3167 Depth=4
	v_or_b32_e32 v49, 0x7b, v7
; %bb.3560:                             ;   in Loop: Header=BB4_3167 Depth=4
	s_or_b64 exec, exec, s[28:29]
                                        ; implicit-def: $vgpr0
.LBB4_3561:                             ;   in Loop: Header=BB4_3167 Depth=4
	s_andn2_saveexec_b64 s[28:29], s[30:31]
	s_cbranch_execz .LBB4_3567
; %bb.3562:                             ;   in Loop: Header=BB4_3167 Depth=4
	v_cmp_ne_u64_e32 vcc, 0, v[16:17]
                                        ; implicit-def: $vgpr49
	s_and_saveexec_b64 s[30:31], vcc
	s_xor_b64 vcc, exec, s[30:31]
; %bb.3563:                             ;   in Loop: Header=BB4_3167 Depth=4
	v_or_b32_sdwa v49, v0, s47 dst_sel:DWORD dst_unused:UNUSED_PAD src0_sel:BYTE_3 src1_sel:DWORD
                                        ; implicit-def: $vgpr0
; %bb.3564:                             ;   in Loop: Header=BB4_3167 Depth=4
	s_andn2_saveexec_b64 s[30:31], vcc
; %bb.3565:                             ;   in Loop: Header=BB4_3167 Depth=4
	v_cmp_lt_i32_e32 vcc, -1, v0
	v_bfrev_b32_e32 v0, 0.5
	v_cndmask_b32_e32 v49, v0, v52, vcc
; %bb.3566:                             ;   in Loop: Header=BB4_3167 Depth=4
	s_or_b64 exec, exec, s[30:31]
.LBB4_3567:                             ;   in Loop: Header=BB4_3167 Depth=4
	s_or_b64 exec, exec, s[28:29]
	v_lshrrev_b32_e32 v0, 16, v11
	v_cmp_ne_u16_sdwa vcc, v0, v17 src0_sel:BYTE_0 src1_sel:DWORD
	v_mov_b32_e32 v1, 0
	s_and_saveexec_b64 s[28:29], vcc
	s_cbranch_execz .LBB4_3575
; %bb.3568:                             ;   in Loop: Header=BB4_3167 Depth=4
	v_cmp_ne_u16_sdwa vcc, v0, s96 src0_sel:BYTE_0 src1_sel:DWORD
	v_bfrev_b32_e32 v1, 1
	s_and_saveexec_b64 s[30:31], vcc
	s_cbranch_execz .LBB4_3574
; %bb.3569:                             ;   in Loop: Header=BB4_3167 Depth=4
	v_and_b32_e32 v1, 0x7c0000, v11
	v_bfe_u32 v2, v11, 16, 2
	v_cmp_ne_u32_e32 vcc, s44, v1
                                        ; implicit-def: $vgpr1
	s_and_saveexec_b64 s[34:35], vcc
	s_xor_b64 s[34:35], exec, s[34:35]
	s_cbranch_execz .LBB4_3571
; %bb.3570:                             ;   in Loop: Header=BB4_3167 Depth=4
	v_ffbh_u32_e32 v1, v2
	v_min_u32_e32 v7, 32, v1
	v_subrev_u32_e32 v1, 29, v7
	v_lshlrev_b64 v[0:1], v1, v[0:1]
	v_bfe_u32 v4, v11, 18, 5
	v_and_b32_e32 v0, 3, v0
	v_cmp_eq_u32_e32 vcc, 0, v4
	v_sub_u32_e32 v1, 30, v7
	v_cndmask_b32_e32 v0, v2, v0, vcc
	v_lshlrev_b32_e32 v2, 8, v11
	v_cndmask_b32_e32 v1, v4, v1, vcc
	v_and_b32_e32 v2, 0x80000000, v2
	v_lshl_add_u32 v1, v1, 23, v2
	v_lshl_or_b32 v0, v0, 21, v1
	v_add_u32_e32 v1, 0x38000000, v0
                                        ; implicit-def: $vgpr2
                                        ; implicit-def: $vgpr0
.LBB4_3571:                             ;   in Loop: Header=BB4_3167 Depth=4
	s_andn2_saveexec_b64 s[34:35], s[34:35]
; %bb.3572:                             ;   in Loop: Header=BB4_3167 Depth=4
	v_mov_b32_e32 v1, -1
	v_cmp_gt_i16_sdwa vcc, sext(v0), v1 src0_sel:BYTE_0 src1_sel:DWORD
	v_mov_b32_e32 v0, 0xff800000
	v_mov_b32_e32 v1, 0x7f800000
	v_cndmask_b32_e32 v0, v0, v1, vcc
	v_cmp_eq_u32_e32 vcc, 0, v2
	v_mov_b32_e32 v1, 0x7f800001
	v_cndmask_b32_e32 v1, v1, v0, vcc
; %bb.3573:                             ;   in Loop: Header=BB4_3167 Depth=4
	s_or_b64 exec, exec, s[34:35]
.LBB4_3574:                             ;   in Loop: Header=BB4_3167 Depth=4
	s_or_b64 exec, exec, s[30:31]
.LBB4_3575:                             ;   in Loop: Header=BB4_3167 Depth=4
	s_or_b64 exec, exec, s[28:29]
	v_mul_f32_e32 v0, v12, v1
	v_and_b32_e32 v1, 0x7f800000, v0
	v_mov_b32_e32 v2, v17
	v_cmp_ne_u64_e32 vcc, s[76:77], v[1:2]
	v_and_b32_e32 v16, 0x7fffff, v0
                                        ; implicit-def: $vgpr53
	s_and_saveexec_b64 s[28:29], vcc
	s_xor_b64 s[30:31], exec, s[28:29]
	s_cbranch_execz .LBB4_3589
; %bb.3576:                             ;   in Loop: Header=BB4_3167 Depth=4
	v_and_b32_e32 v1, 0x7fffffff, v0
	v_mov_b32_e32 v2, v17
	v_cmp_gt_u64_e32 vcc, s[78:79], v[1:2]
	v_and_b32_sdwa v7, v0, s96 dst_sel:DWORD dst_unused:UNUSED_PAD src0_sel:BYTE_3 src1_sel:DWORD
                                        ; implicit-def: $vgpr53
	s_and_saveexec_b64 s[28:29], vcc
	s_xor_b64 s[34:35], exec, s[28:29]
	s_cbranch_execz .LBB4_3586
; %bb.3577:                             ;   in Loop: Header=BB4_3167 Depth=4
	v_mov_b32_e32 v53, 0
	v_cmp_ne_u32_e32 vcc, 0, v0
	s_and_saveexec_b64 s[36:37], vcc
	s_cbranch_execz .LBB4_3585
; %bb.3578:                             ;   in Loop: Header=BB4_3167 Depth=4
	v_bfe_u32 v4, v0, 23, 8
	v_cmp_gt_u32_e64 s[28:29], s46, v4
	v_sub_u32_e32 v0, 0x71, v4
	v_cmp_eq_u32_e32 vcc, 0, v4
	v_cndmask_b32_e64 v0, 0, v0, s[28:29]
	v_mov_b32_e32 v2, 0x70
	v_cndmask_b32_e32 v8, v0, v2, vcc
	v_add_u32_e32 v2, 21, v8
	v_or_b32_e32 v1, 0x800000, v16
	v_lshlrev_b64 v[13:14], v2, -1
	v_cndmask_b32_e32 v0, v1, v16, vcc
	v_mov_b32_e32 v1, v17
	v_add_u32_e32 v2, 20, v8
	v_bfi_b32 v13, v13, 0, v0
	v_lshlrev_b64 v[15:16], v2, 1
	v_lshrrev_b64 v[0:1], v8, v[0:1]
	v_bfi_b32 v14, v14, 0, 0
	v_cmp_eq_u64_e64 s[28:29], v[13:14], v[15:16]
	v_mov_b32_e32 v2, v1
	v_mov_b32_e32 v1, v0
	s_and_saveexec_b64 s[38:39], s[28:29]
; %bb.3579:                             ;   in Loop: Header=BB4_3167 Depth=4
	v_bfe_u32 v1, v0, 21, 1
	v_add_co_u32_e64 v1, s[28:29], v0, v1
	v_add_co_u32_e64 v1, s[28:29], -1, v1
; %bb.3580:                             ;   in Loop: Header=BB4_3167 Depth=4
	s_or_b64 exec, exec, s[38:39]
	v_add_u32_e32 v2, 0xffffff81, v4
	v_mov_b32_e32 v4, 0xffffff82
	v_cndmask_b32_e32 v2, v2, v4, vcc
	v_lshrrev_b32_e32 v4, 23, v0
	v_add3_u32 v8, v8, v2, v4
	v_add_u32_e32 v4, 14, v8
	v_and_b32_e32 v1, 0x1fffff, v1
	v_add_u32_e32 v16, v1, v0
	v_cmp_ne_u32_e32 vcc, 0, v4
                                        ; implicit-def: $vgpr0_vgpr1
                                        ; implicit-def: $vgpr2
	s_and_saveexec_b64 s[28:29], vcc
	s_xor_b64 s[28:29], exec, s[28:29]
; %bb.3581:                             ;   in Loop: Header=BB4_3167 Depth=4
	v_cmp_lt_u64_e32 vcc, s[88:89], v[16:17]
	v_add_u32_e32 v0, 15, v8
	v_cndmask_b32_e32 v2, v4, v0, vcc
	v_cndmask_b32_e64 v0, 0, 1, vcc
	v_lshrrev_b64 v[0:1], v0, v[16:17]
; %bb.3582:                             ;   in Loop: Header=BB4_3167 Depth=4
	s_andn2_saveexec_b64 s[28:29], s[28:29]
; %bb.3583:                             ;   in Loop: Header=BB4_3167 Depth=4
	v_mov_b32_e32 v0, v16
	v_mov_b32_e32 v1, v17
	v_bfe_u32 v2, v16, 23, 1
; %bb.3584:                             ;   in Loop: Header=BB4_3167 Depth=4
	s_or_b64 exec, exec, s[28:29]
	v_lshrrev_b64 v[0:1], 21, v[0:1]
	v_cmp_gt_i32_e32 vcc, 32, v2
	v_cndmask_b32_e32 v1, 0, v1, vcc
	v_cndmask_b32_e32 v0, 3, v0, vcc
	v_cmp_eq_u64_e64 s[28:29], 0, v[0:1]
	v_min_i32_e32 v1, 31, v2
	v_lshlrev_b32_e32 v1, 2, v1
	v_cmp_eq_u32_e32 vcc, 0, v2
	v_and_b32_e32 v1, 0xfc, v1
	v_and_or_b32 v0, v0, 3, v1
	s_and_b64 s[28:29], vcc, s[28:29]
	v_cndmask_b32_e64 v0, v0, 0, s[28:29]
	v_or_b32_e32 v53, v0, v7
.LBB4_3585:                             ;   in Loop: Header=BB4_3167 Depth=4
	s_or_b64 exec, exec, s[36:37]
                                        ; implicit-def: $vgpr7
.LBB4_3586:                             ;   in Loop: Header=BB4_3167 Depth=4
	s_andn2_saveexec_b64 s[28:29], s[34:35]
; %bb.3587:                             ;   in Loop: Header=BB4_3167 Depth=4
	v_or_b32_e32 v53, 0x7b, v7
; %bb.3588:                             ;   in Loop: Header=BB4_3167 Depth=4
	s_or_b64 exec, exec, s[28:29]
                                        ; implicit-def: $vgpr0
.LBB4_3589:                             ;   in Loop: Header=BB4_3167 Depth=4
	s_andn2_saveexec_b64 s[28:29], s[30:31]
	s_cbranch_execz .LBB4_3595
; %bb.3590:                             ;   in Loop: Header=BB4_3167 Depth=4
	v_cmp_ne_u64_e32 vcc, 0, v[16:17]
                                        ; implicit-def: $vgpr53
	s_and_saveexec_b64 s[30:31], vcc
	s_xor_b64 vcc, exec, s[30:31]
; %bb.3591:                             ;   in Loop: Header=BB4_3167 Depth=4
	v_or_b32_sdwa v53, v0, s47 dst_sel:DWORD dst_unused:UNUSED_PAD src0_sel:BYTE_3 src1_sel:DWORD
                                        ; implicit-def: $vgpr0
; %bb.3592:                             ;   in Loop: Header=BB4_3167 Depth=4
	s_andn2_saveexec_b64 s[30:31], vcc
; %bb.3593:                             ;   in Loop: Header=BB4_3167 Depth=4
	v_cmp_lt_i32_e32 vcc, -1, v0
	v_bfrev_b32_e32 v0, 0.5
	v_cndmask_b32_e32 v53, v0, v52, vcc
; %bb.3594:                             ;   in Loop: Header=BB4_3167 Depth=4
	s_or_b64 exec, exec, s[30:31]
.LBB4_3595:                             ;   in Loop: Header=BB4_3167 Depth=4
	s_or_b64 exec, exec, s[28:29]
	v_cmp_lt_u64_e32 vcc, s[56:57], v[10:11]
	v_mov_b32_e32 v1, 0
	s_and_saveexec_b64 s[28:29], vcc
	s_cbranch_execz .LBB4_3603
; %bb.3596:                             ;   in Loop: Header=BB4_3167 Depth=4
	v_lshrrev_b32_e32 v0, 24, v11
	v_cmp_ne_u32_e32 vcc, s96, v0
	v_bfrev_b32_e32 v1, 1
	s_and_saveexec_b64 s[30:31], vcc
	s_cbranch_execz .LBB4_3602
; %bb.3597:                             ;   in Loop: Header=BB4_3167 Depth=4
	v_and_b32_e32 v1, 0x7c000000, v11
	v_bfe_u32 v2, v11, 24, 2
	v_cmp_ne_u32_e32 vcc, s45, v1
                                        ; implicit-def: $vgpr1
	s_and_saveexec_b64 s[34:35], vcc
	s_xor_b64 s[34:35], exec, s[34:35]
	s_cbranch_execz .LBB4_3599
; %bb.3598:                             ;   in Loop: Header=BB4_3167 Depth=4
	v_ffbh_u32_e32 v1, v2
	v_min_u32_e32 v7, 32, v1
	v_subrev_u32_e32 v1, 29, v7
	v_lshlrev_b64 v[0:1], v1, v[0:1]
	v_bfe_u32 v4, v11, 26, 5
	v_sub_u32_e32 v1, 30, v7
	v_and_b32_e32 v0, 3, v0
	v_cmp_eq_u32_e32 vcc, 0, v4
	v_cndmask_b32_e32 v1, v4, v1, vcc
	v_cndmask_b32_e32 v0, v2, v0, vcc
	v_and_b32_e32 v2, 0x80000000, v11
	v_lshl_add_u32 v1, v1, 23, v2
	v_lshl_or_b32 v0, v0, 21, v1
	v_add_u32_e32 v1, 0x38000000, v0
                                        ; implicit-def: $vgpr2
                                        ; implicit-def: $vgpr10_vgpr11
.LBB4_3599:                             ;   in Loop: Header=BB4_3167 Depth=4
	s_andn2_saveexec_b64 s[34:35], s[34:35]
; %bb.3600:                             ;   in Loop: Header=BB4_3167 Depth=4
	v_cmp_lt_i64_e32 vcc, -1, v[10:11]
	v_mov_b32_e32 v0, 0xff800000
	v_mov_b32_e32 v1, 0x7f800000
	v_cndmask_b32_e32 v0, v0, v1, vcc
	v_cmp_eq_u32_e32 vcc, 0, v2
	v_mov_b32_e32 v1, 0x7f800001
	v_cndmask_b32_e32 v1, v1, v0, vcc
; %bb.3601:                             ;   in Loop: Header=BB4_3167 Depth=4
	s_or_b64 exec, exec, s[34:35]
.LBB4_3602:                             ;   in Loop: Header=BB4_3167 Depth=4
	s_or_b64 exec, exec, s[30:31]
.LBB4_3603:                             ;   in Loop: Header=BB4_3167 Depth=4
	s_or_b64 exec, exec, s[28:29]
	v_mul_f32_e32 v0, v12, v1
	v_and_b32_e32 v1, 0x7f800000, v0
	v_mov_b32_e32 v2, v17
	v_cmp_ne_u64_e32 vcc, s[76:77], v[1:2]
	v_and_b32_e32 v16, 0x7fffff, v0
                                        ; implicit-def: $vgpr58
	s_and_saveexec_b64 s[28:29], vcc
	s_xor_b64 s[30:31], exec, s[28:29]
	s_cbranch_execz .LBB4_3617
; %bb.3604:                             ;   in Loop: Header=BB4_3167 Depth=4
	v_and_b32_e32 v1, 0x7fffffff, v0
	v_mov_b32_e32 v2, v17
	v_cmp_gt_u64_e32 vcc, s[78:79], v[1:2]
	v_and_b32_sdwa v7, v0, s96 dst_sel:DWORD dst_unused:UNUSED_PAD src0_sel:BYTE_3 src1_sel:DWORD
                                        ; implicit-def: $vgpr58
	s_and_saveexec_b64 s[28:29], vcc
	s_xor_b64 s[34:35], exec, s[28:29]
	s_cbranch_execz .LBB4_3614
; %bb.3605:                             ;   in Loop: Header=BB4_3167 Depth=4
	v_mov_b32_e32 v58, 0
	v_cmp_ne_u32_e32 vcc, 0, v0
	s_and_saveexec_b64 s[36:37], vcc
	s_cbranch_execz .LBB4_3613
; %bb.3606:                             ;   in Loop: Header=BB4_3167 Depth=4
	v_bfe_u32 v4, v0, 23, 8
	v_cmp_gt_u32_e64 s[28:29], s46, v4
	v_sub_u32_e32 v0, 0x71, v4
	v_cmp_eq_u32_e32 vcc, 0, v4
	v_cndmask_b32_e64 v0, 0, v0, s[28:29]
	v_mov_b32_e32 v2, 0x70
	v_cndmask_b32_e32 v8, v0, v2, vcc
	v_add_u32_e32 v2, 21, v8
	v_or_b32_e32 v1, 0x800000, v16
	v_lshlrev_b64 v[9:10], v2, -1
	v_cndmask_b32_e32 v0, v1, v16, vcc
	v_mov_b32_e32 v1, v17
	v_add_u32_e32 v2, 20, v8
	v_bfi_b32 v9, v9, 0, v0
	v_lshlrev_b64 v[13:14], v2, 1
	v_lshrrev_b64 v[0:1], v8, v[0:1]
	v_bfi_b32 v10, v10, 0, 0
	v_cmp_eq_u64_e64 s[28:29], v[9:10], v[13:14]
	v_mov_b32_e32 v2, v1
	v_mov_b32_e32 v1, v0
	s_and_saveexec_b64 s[38:39], s[28:29]
; %bb.3607:                             ;   in Loop: Header=BB4_3167 Depth=4
	v_bfe_u32 v1, v0, 21, 1
	v_add_co_u32_e64 v1, s[28:29], v0, v1
	v_add_co_u32_e64 v1, s[28:29], -1, v1
; %bb.3608:                             ;   in Loop: Header=BB4_3167 Depth=4
	s_or_b64 exec, exec, s[38:39]
	v_add_u32_e32 v2, 0xffffff81, v4
	v_mov_b32_e32 v4, 0xffffff82
	v_cndmask_b32_e32 v2, v2, v4, vcc
	v_lshrrev_b32_e32 v4, 23, v0
	v_add3_u32 v8, v8, v2, v4
	v_add_u32_e32 v4, 14, v8
	v_and_b32_e32 v1, 0x1fffff, v1
	v_add_u32_e32 v16, v1, v0
	v_cmp_ne_u32_e32 vcc, 0, v4
                                        ; implicit-def: $vgpr0_vgpr1
                                        ; implicit-def: $vgpr2
	s_and_saveexec_b64 s[28:29], vcc
	s_xor_b64 s[28:29], exec, s[28:29]
; %bb.3609:                             ;   in Loop: Header=BB4_3167 Depth=4
	v_cmp_lt_u64_e32 vcc, s[88:89], v[16:17]
	v_add_u32_e32 v0, 15, v8
	v_cndmask_b32_e32 v2, v4, v0, vcc
	v_cndmask_b32_e64 v0, 0, 1, vcc
	v_lshrrev_b64 v[0:1], v0, v[16:17]
; %bb.3610:                             ;   in Loop: Header=BB4_3167 Depth=4
	s_andn2_saveexec_b64 s[28:29], s[28:29]
; %bb.3611:                             ;   in Loop: Header=BB4_3167 Depth=4
	v_mov_b32_e32 v0, v16
	v_mov_b32_e32 v1, v17
	v_bfe_u32 v2, v16, 23, 1
; %bb.3612:                             ;   in Loop: Header=BB4_3167 Depth=4
	s_or_b64 exec, exec, s[28:29]
	v_lshrrev_b64 v[0:1], 21, v[0:1]
	v_cmp_gt_i32_e32 vcc, 32, v2
	v_cndmask_b32_e32 v1, 0, v1, vcc
	v_cndmask_b32_e32 v0, 3, v0, vcc
	v_cmp_eq_u64_e64 s[28:29], 0, v[0:1]
	v_min_i32_e32 v1, 31, v2
	v_lshlrev_b32_e32 v1, 2, v1
	v_cmp_eq_u32_e32 vcc, 0, v2
	v_and_b32_e32 v1, 0xfc, v1
	v_and_or_b32 v0, v0, 3, v1
	s_and_b64 s[28:29], vcc, s[28:29]
	v_cndmask_b32_e64 v0, v0, 0, s[28:29]
	v_or_b32_e32 v58, v0, v7
.LBB4_3613:                             ;   in Loop: Header=BB4_3167 Depth=4
	s_or_b64 exec, exec, s[36:37]
                                        ; implicit-def: $vgpr7
.LBB4_3614:                             ;   in Loop: Header=BB4_3167 Depth=4
	s_andn2_saveexec_b64 s[28:29], s[34:35]
; %bb.3615:                             ;   in Loop: Header=BB4_3167 Depth=4
	v_or_b32_e32 v58, 0x7b, v7
; %bb.3616:                             ;   in Loop: Header=BB4_3167 Depth=4
	s_or_b64 exec, exec, s[28:29]
                                        ; implicit-def: $vgpr0
.LBB4_3617:                             ;   in Loop: Header=BB4_3167 Depth=4
	s_andn2_saveexec_b64 s[28:29], s[30:31]
	s_cbranch_execz .LBB4_3623
; %bb.3618:                             ;   in Loop: Header=BB4_3167 Depth=4
	v_cmp_ne_u64_e32 vcc, 0, v[16:17]
                                        ; implicit-def: $vgpr58
	s_and_saveexec_b64 s[30:31], vcc
	s_xor_b64 vcc, exec, s[30:31]
; %bb.3619:                             ;   in Loop: Header=BB4_3167 Depth=4
	v_or_b32_sdwa v58, v0, s47 dst_sel:DWORD dst_unused:UNUSED_PAD src0_sel:BYTE_3 src1_sel:DWORD
                                        ; implicit-def: $vgpr0
; %bb.3620:                             ;   in Loop: Header=BB4_3167 Depth=4
	s_andn2_saveexec_b64 s[30:31], vcc
; %bb.3621:                             ;   in Loop: Header=BB4_3167 Depth=4
	v_cmp_lt_i32_e32 vcc, -1, v0
	v_bfrev_b32_e32 v0, 0.5
	v_cndmask_b32_e32 v58, v0, v52, vcc
; %bb.3622:                             ;   in Loop: Header=BB4_3167 Depth=4
	s_or_b64 exec, exec, s[30:31]
.LBB4_3623:                             ;   in Loop: Header=BB4_3167 Depth=4
	s_or_b64 exec, exec, s[28:29]
	global_load_dwordx4 v[8:11], v[44:45], off offset:1024 glc slc
	v_mov_b32_e32 v0, 0
	s_waitcnt vmcnt(0)
	v_cmp_ne_u16_sdwa vcc, v8, v17 src0_sel:BYTE_0 src1_sel:DWORD
	s_and_saveexec_b64 s[28:29], vcc
	s_cbranch_execz .LBB4_3631
; %bb.3624:                             ;   in Loop: Header=BB4_3167 Depth=4
	v_cmp_ne_u16_sdwa vcc, sext(v8), s97 src0_sel:BYTE_0 src1_sel:DWORD
	v_bfrev_b32_e32 v0, 1
	s_and_saveexec_b64 s[30:31], vcc
	s_cbranch_execz .LBB4_3630
; %bb.3625:                             ;   in Loop: Header=BB4_3167 Depth=4
	v_and_b32_e32 v0, 0x7c, v8
	v_and_b32_e32 v1, 3, v8
	v_cmp_ne_u32_e32 vcc, s85, v0
                                        ; implicit-def: $vgpr0
	s_and_saveexec_b64 s[34:35], vcc
	s_xor_b64 s[34:35], exec, s[34:35]
	s_cbranch_execz .LBB4_3627
; %bb.3626:                             ;   in Loop: Header=BB4_3167 Depth=4
	v_ffbh_u32_e32 v2, v1
	v_min_u32_e32 v2, 32, v2
	v_bfe_u32 v0, v8, 2, 5
	v_subrev_u32_e32 v4, 29, v2
	v_lshlrev_b64 v[13:14], v4, v[8:9]
	v_sub_u32_e32 v2, 30, v2
	v_cmp_eq_u32_e32 vcc, 0, v0
	v_cndmask_b32_e32 v0, v0, v2, vcc
	v_lshlrev_b32_e32 v2, 24, v8
	v_and_b32_e32 v4, 3, v13
	v_and_b32_e32 v2, 0x80000000, v2
	v_cndmask_b32_e32 v1, v1, v4, vcc
	v_lshl_add_u32 v0, v0, 23, v2
	v_lshl_or_b32 v0, v1, 21, v0
	v_add_u32_e32 v0, 0x38000000, v0
                                        ; implicit-def: $vgpr1
.LBB4_3627:                             ;   in Loop: Header=BB4_3167 Depth=4
	s_andn2_saveexec_b64 s[34:35], s[34:35]
; %bb.3628:                             ;   in Loop: Header=BB4_3167 Depth=4
	v_mov_b32_e32 v0, -1
	v_cmp_gt_i16_sdwa vcc, sext(v8), v0 src0_sel:BYTE_0 src1_sel:DWORD
	v_mov_b32_e32 v0, 0xff800000
	v_mov_b32_e32 v2, 0x7f800000
	v_cndmask_b32_e32 v0, v0, v2, vcc
	v_cmp_eq_u32_e32 vcc, 0, v1
	v_mov_b32_e32 v1, 0x7f800001
	v_cndmask_b32_e32 v0, v1, v0, vcc
; %bb.3629:                             ;   in Loop: Header=BB4_3167 Depth=4
	s_or_b64 exec, exec, s[34:35]
.LBB4_3630:                             ;   in Loop: Header=BB4_3167 Depth=4
	s_or_b64 exec, exec, s[30:31]
.LBB4_3631:                             ;   in Loop: Header=BB4_3167 Depth=4
	s_or_b64 exec, exec, s[28:29]
	v_mul_f32_e32 v0, v12, v0
	v_and_b32_e32 v1, 0x7f800000, v0
	v_mov_b32_e32 v2, v17
	v_cmp_ne_u64_e32 vcc, s[76:77], v[1:2]
	v_and_b32_e32 v16, 0x7fffff, v0
                                        ; implicit-def: $vgpr26
	s_and_saveexec_b64 s[28:29], vcc
	s_xor_b64 s[30:31], exec, s[28:29]
	s_cbranch_execz .LBB4_3645
; %bb.3632:                             ;   in Loop: Header=BB4_3167 Depth=4
	v_and_b32_e32 v1, 0x7fffffff, v0
	v_mov_b32_e32 v2, v17
	v_cmp_gt_u64_e32 vcc, s[78:79], v[1:2]
	v_and_b32_sdwa v4, v0, s96 dst_sel:DWORD dst_unused:UNUSED_PAD src0_sel:BYTE_3 src1_sel:DWORD
                                        ; implicit-def: $vgpr26
	s_and_saveexec_b64 s[28:29], vcc
	s_xor_b64 s[34:35], exec, s[28:29]
	s_cbranch_execz .LBB4_3642
; %bb.3633:                             ;   in Loop: Header=BB4_3167 Depth=4
	v_mov_b32_e32 v26, 0
	v_cmp_ne_u32_e32 vcc, 0, v0
	s_and_saveexec_b64 s[36:37], vcc
	s_cbranch_execz .LBB4_3641
; %bb.3634:                             ;   in Loop: Header=BB4_3167 Depth=4
	v_bfe_u32 v7, v0, 23, 8
	v_cmp_gt_u32_e64 s[28:29], s46, v7
	v_sub_u32_e32 v0, 0x71, v7
	v_cmp_eq_u32_e32 vcc, 0, v7
	v_cndmask_b32_e64 v0, 0, v0, s[28:29]
	v_mov_b32_e32 v2, 0x70
	v_cndmask_b32_e32 v13, v0, v2, vcc
	v_add_u32_e32 v2, 21, v13
	v_or_b32_e32 v1, 0x800000, v16
	v_lshlrev_b64 v[14:15], v2, -1
	v_cndmask_b32_e32 v0, v1, v16, vcc
	v_mov_b32_e32 v1, v17
	v_add_u32_e32 v2, 20, v13
	v_bfi_b32 v14, v14, 0, v0
	v_lshlrev_b64 v[19:20], v2, 1
	v_lshrrev_b64 v[0:1], v13, v[0:1]
	v_bfi_b32 v15, v15, 0, 0
	v_cmp_eq_u64_e64 s[28:29], v[14:15], v[19:20]
	v_mov_b32_e32 v2, v1
	v_mov_b32_e32 v1, v0
	s_and_saveexec_b64 s[38:39], s[28:29]
; %bb.3635:                             ;   in Loop: Header=BB4_3167 Depth=4
	v_bfe_u32 v1, v0, 21, 1
	v_add_co_u32_e64 v1, s[28:29], v0, v1
	v_add_co_u32_e64 v1, s[28:29], -1, v1
; %bb.3636:                             ;   in Loop: Header=BB4_3167 Depth=4
	s_or_b64 exec, exec, s[38:39]
	v_add_u32_e32 v2, 0xffffff81, v7
	v_mov_b32_e32 v7, 0xffffff82
	v_cndmask_b32_e32 v2, v2, v7, vcc
	v_lshrrev_b32_e32 v7, 23, v0
	v_add3_u32 v13, v13, v2, v7
	v_add_u32_e32 v7, 14, v13
	v_and_b32_e32 v1, 0x1fffff, v1
	v_add_u32_e32 v16, v1, v0
	v_cmp_ne_u32_e32 vcc, 0, v7
                                        ; implicit-def: $vgpr0_vgpr1
                                        ; implicit-def: $vgpr2
	s_and_saveexec_b64 s[28:29], vcc
	s_xor_b64 s[28:29], exec, s[28:29]
; %bb.3637:                             ;   in Loop: Header=BB4_3167 Depth=4
	v_cmp_lt_u64_e32 vcc, s[88:89], v[16:17]
	v_add_u32_e32 v0, 15, v13
	v_cndmask_b32_e32 v2, v7, v0, vcc
	v_cndmask_b32_e64 v0, 0, 1, vcc
	v_lshrrev_b64 v[0:1], v0, v[16:17]
; %bb.3638:                             ;   in Loop: Header=BB4_3167 Depth=4
	s_andn2_saveexec_b64 s[28:29], s[28:29]
; %bb.3639:                             ;   in Loop: Header=BB4_3167 Depth=4
	v_mov_b32_e32 v0, v16
	v_mov_b32_e32 v1, v17
	v_bfe_u32 v2, v16, 23, 1
; %bb.3640:                             ;   in Loop: Header=BB4_3167 Depth=4
	s_or_b64 exec, exec, s[28:29]
	v_lshrrev_b64 v[0:1], 21, v[0:1]
	v_cmp_gt_i32_e32 vcc, 32, v2
	v_cndmask_b32_e32 v1, 0, v1, vcc
	v_cndmask_b32_e32 v0, 3, v0, vcc
	v_cmp_eq_u64_e64 s[28:29], 0, v[0:1]
	v_min_i32_e32 v1, 31, v2
	v_lshlrev_b32_e32 v1, 2, v1
	v_cmp_eq_u32_e32 vcc, 0, v2
	v_and_b32_e32 v1, 0xfc, v1
	v_and_or_b32 v0, v0, 3, v1
	s_and_b64 s[28:29], vcc, s[28:29]
	v_cndmask_b32_e64 v0, v0, 0, s[28:29]
	v_or_b32_e32 v26, v0, v4
.LBB4_3641:                             ;   in Loop: Header=BB4_3167 Depth=4
	s_or_b64 exec, exec, s[36:37]
                                        ; implicit-def: $vgpr4
.LBB4_3642:                             ;   in Loop: Header=BB4_3167 Depth=4
	s_andn2_saveexec_b64 s[28:29], s[34:35]
; %bb.3643:                             ;   in Loop: Header=BB4_3167 Depth=4
	v_or_b32_e32 v26, 0x7b, v4
; %bb.3644:                             ;   in Loop: Header=BB4_3167 Depth=4
	s_or_b64 exec, exec, s[28:29]
                                        ; implicit-def: $vgpr0
.LBB4_3645:                             ;   in Loop: Header=BB4_3167 Depth=4
	s_andn2_saveexec_b64 s[28:29], s[30:31]
	s_cbranch_execz .LBB4_3651
; %bb.3646:                             ;   in Loop: Header=BB4_3167 Depth=4
	v_cmp_ne_u64_e32 vcc, 0, v[16:17]
                                        ; implicit-def: $vgpr26
	s_and_saveexec_b64 s[30:31], vcc
	s_xor_b64 vcc, exec, s[30:31]
; %bb.3647:                             ;   in Loop: Header=BB4_3167 Depth=4
	v_or_b32_sdwa v26, v0, s47 dst_sel:DWORD dst_unused:UNUSED_PAD src0_sel:BYTE_3 src1_sel:DWORD
                                        ; implicit-def: $vgpr0
; %bb.3648:                             ;   in Loop: Header=BB4_3167 Depth=4
	s_andn2_saveexec_b64 s[30:31], vcc
; %bb.3649:                             ;   in Loop: Header=BB4_3167 Depth=4
	v_cmp_lt_i32_e32 vcc, -1, v0
	v_bfrev_b32_e32 v0, 0.5
	v_cndmask_b32_e32 v26, v0, v52, vcc
; %bb.3650:                             ;   in Loop: Header=BB4_3167 Depth=4
	s_or_b64 exec, exec, s[30:31]
.LBB4_3651:                             ;   in Loop: Header=BB4_3167 Depth=4
	s_or_b64 exec, exec, s[28:29]
	v_lshrrev_b16_e32 v0, 8, v8
	v_cmp_ne_u16_e32 vcc, 0, v0
	v_mov_b32_e32 v1, 0
	s_and_saveexec_b64 s[28:29], vcc
	s_cbranch_execz .LBB4_3659
; %bb.3652:                             ;   in Loop: Header=BB4_3167 Depth=4
	v_cmp_ne_u16_e32 vcc, s96, v0
	v_bfrev_b32_e32 v1, 1
	s_and_saveexec_b64 s[30:31], vcc
	s_cbranch_execz .LBB4_3658
; %bb.3653:                             ;   in Loop: Header=BB4_3167 Depth=4
	v_and_b32_e32 v1, 0x7c, v0
	v_and_b32_e32 v2, 3, v0
	v_cmp_ne_u32_e32 vcc, s85, v1
                                        ; implicit-def: $vgpr1
	s_and_saveexec_b64 s[34:35], vcc
	s_xor_b64 s[34:35], exec, s[34:35]
	s_cbranch_execz .LBB4_3655
; %bb.3654:                             ;   in Loop: Header=BB4_3167 Depth=4
	v_ffbh_u32_e32 v7, v2
	v_min_u32_e32 v7, 32, v7
	v_mov_b32_e32 v1, v17
	v_subrev_u32_e32 v13, 29, v7
	v_bfe_u32 v4, v0, 2, 5
	v_lshlrev_b64 v[0:1], v13, v[0:1]
	v_cmp_eq_u32_e32 vcc, 0, v4
	v_and_b32_e32 v0, 3, v0
	v_sub_u32_e32 v1, 30, v7
	v_cndmask_b32_e32 v0, v2, v0, vcc
	v_lshlrev_b32_e32 v2, 16, v8
	v_cndmask_b32_e32 v1, v4, v1, vcc
	v_and_b32_e32 v2, 0x80000000, v2
	v_lshl_add_u32 v1, v1, 23, v2
	v_lshl_or_b32 v0, v0, 21, v1
	v_add_u32_e32 v1, 0x38000000, v0
                                        ; implicit-def: $vgpr2
.LBB4_3655:                             ;   in Loop: Header=BB4_3167 Depth=4
	s_andn2_saveexec_b64 s[34:35], s[34:35]
; %bb.3656:                             ;   in Loop: Header=BB4_3167 Depth=4
	v_cmp_lt_i16_e32 vcc, -1, v8
	v_mov_b32_e32 v0, 0xff800000
	v_mov_b32_e32 v1, 0x7f800000
	v_cndmask_b32_e32 v0, v0, v1, vcc
	v_cmp_eq_u32_e32 vcc, 0, v2
	v_mov_b32_e32 v1, 0x7f800001
	v_cndmask_b32_e32 v1, v1, v0, vcc
; %bb.3657:                             ;   in Loop: Header=BB4_3167 Depth=4
	s_or_b64 exec, exec, s[34:35]
.LBB4_3658:                             ;   in Loop: Header=BB4_3167 Depth=4
	s_or_b64 exec, exec, s[30:31]
.LBB4_3659:                             ;   in Loop: Header=BB4_3167 Depth=4
	s_or_b64 exec, exec, s[28:29]
	v_mul_f32_e32 v0, v12, v1
	v_and_b32_e32 v1, 0x7f800000, v0
	v_mov_b32_e32 v2, v17
	v_cmp_ne_u64_e32 vcc, s[76:77], v[1:2]
	v_and_b32_e32 v16, 0x7fffff, v0
                                        ; implicit-def: $vgpr36
	s_and_saveexec_b64 s[28:29], vcc
	s_xor_b64 s[30:31], exec, s[28:29]
	s_cbranch_execz .LBB4_3673
; %bb.3660:                             ;   in Loop: Header=BB4_3167 Depth=4
	v_and_b32_e32 v1, 0x7fffffff, v0
	v_mov_b32_e32 v2, v17
	v_cmp_gt_u64_e32 vcc, s[78:79], v[1:2]
	v_and_b32_sdwa v4, v0, s96 dst_sel:DWORD dst_unused:UNUSED_PAD src0_sel:BYTE_3 src1_sel:DWORD
                                        ; implicit-def: $vgpr36
	s_and_saveexec_b64 s[28:29], vcc
	s_xor_b64 s[34:35], exec, s[28:29]
	s_cbranch_execz .LBB4_3670
; %bb.3661:                             ;   in Loop: Header=BB4_3167 Depth=4
	v_mov_b32_e32 v36, 0
	v_cmp_ne_u32_e32 vcc, 0, v0
	s_and_saveexec_b64 s[36:37], vcc
	s_cbranch_execz .LBB4_3669
; %bb.3662:                             ;   in Loop: Header=BB4_3167 Depth=4
	v_bfe_u32 v7, v0, 23, 8
	v_cmp_gt_u32_e64 s[28:29], s46, v7
	v_sub_u32_e32 v0, 0x71, v7
	v_cmp_eq_u32_e32 vcc, 0, v7
	v_cndmask_b32_e64 v0, 0, v0, s[28:29]
	v_mov_b32_e32 v2, 0x70
	v_cndmask_b32_e32 v13, v0, v2, vcc
	v_add_u32_e32 v2, 21, v13
	v_or_b32_e32 v1, 0x800000, v16
	v_lshlrev_b64 v[14:15], v2, -1
	v_cndmask_b32_e32 v0, v1, v16, vcc
	v_mov_b32_e32 v1, v17
	v_add_u32_e32 v2, 20, v13
	v_bfi_b32 v14, v14, 0, v0
	v_lshlrev_b64 v[19:20], v2, 1
	v_lshrrev_b64 v[0:1], v13, v[0:1]
	v_bfi_b32 v15, v15, 0, 0
	v_cmp_eq_u64_e64 s[28:29], v[14:15], v[19:20]
	v_mov_b32_e32 v2, v1
	v_mov_b32_e32 v1, v0
	s_and_saveexec_b64 s[38:39], s[28:29]
; %bb.3663:                             ;   in Loop: Header=BB4_3167 Depth=4
	v_bfe_u32 v1, v0, 21, 1
	v_add_co_u32_e64 v1, s[28:29], v0, v1
	v_add_co_u32_e64 v1, s[28:29], -1, v1
; %bb.3664:                             ;   in Loop: Header=BB4_3167 Depth=4
	s_or_b64 exec, exec, s[38:39]
	v_add_u32_e32 v2, 0xffffff81, v7
	v_mov_b32_e32 v7, 0xffffff82
	v_cndmask_b32_e32 v2, v2, v7, vcc
	v_lshrrev_b32_e32 v7, 23, v0
	v_add3_u32 v13, v13, v2, v7
	v_add_u32_e32 v7, 14, v13
	v_and_b32_e32 v1, 0x1fffff, v1
	v_add_u32_e32 v16, v1, v0
	v_cmp_ne_u32_e32 vcc, 0, v7
                                        ; implicit-def: $vgpr0_vgpr1
                                        ; implicit-def: $vgpr2
	s_and_saveexec_b64 s[28:29], vcc
	s_xor_b64 s[28:29], exec, s[28:29]
; %bb.3665:                             ;   in Loop: Header=BB4_3167 Depth=4
	v_cmp_lt_u64_e32 vcc, s[88:89], v[16:17]
	v_add_u32_e32 v0, 15, v13
	v_cndmask_b32_e32 v2, v7, v0, vcc
	v_cndmask_b32_e64 v0, 0, 1, vcc
	v_lshrrev_b64 v[0:1], v0, v[16:17]
; %bb.3666:                             ;   in Loop: Header=BB4_3167 Depth=4
	s_andn2_saveexec_b64 s[28:29], s[28:29]
; %bb.3667:                             ;   in Loop: Header=BB4_3167 Depth=4
	v_mov_b32_e32 v0, v16
	v_mov_b32_e32 v1, v17
	v_bfe_u32 v2, v16, 23, 1
; %bb.3668:                             ;   in Loop: Header=BB4_3167 Depth=4
	s_or_b64 exec, exec, s[28:29]
	v_lshrrev_b64 v[0:1], 21, v[0:1]
	v_cmp_gt_i32_e32 vcc, 32, v2
	v_cndmask_b32_e32 v1, 0, v1, vcc
	v_cndmask_b32_e32 v0, 3, v0, vcc
	v_cmp_eq_u64_e64 s[28:29], 0, v[0:1]
	v_min_i32_e32 v1, 31, v2
	v_lshlrev_b32_e32 v1, 2, v1
	v_cmp_eq_u32_e32 vcc, 0, v2
	v_and_b32_e32 v1, 0xfc, v1
	v_and_or_b32 v0, v0, 3, v1
	s_and_b64 s[28:29], vcc, s[28:29]
	v_cndmask_b32_e64 v0, v0, 0, s[28:29]
	v_or_b32_e32 v36, v0, v4
.LBB4_3669:                             ;   in Loop: Header=BB4_3167 Depth=4
	s_or_b64 exec, exec, s[36:37]
                                        ; implicit-def: $vgpr4
.LBB4_3670:                             ;   in Loop: Header=BB4_3167 Depth=4
	s_andn2_saveexec_b64 s[28:29], s[34:35]
; %bb.3671:                             ;   in Loop: Header=BB4_3167 Depth=4
	v_or_b32_e32 v36, 0x7b, v4
; %bb.3672:                             ;   in Loop: Header=BB4_3167 Depth=4
	s_or_b64 exec, exec, s[28:29]
                                        ; implicit-def: $vgpr0
.LBB4_3673:                             ;   in Loop: Header=BB4_3167 Depth=4
	s_andn2_saveexec_b64 s[28:29], s[30:31]
	s_cbranch_execz .LBB4_3679
; %bb.3674:                             ;   in Loop: Header=BB4_3167 Depth=4
	v_cmp_ne_u64_e32 vcc, 0, v[16:17]
                                        ; implicit-def: $vgpr36
	s_and_saveexec_b64 s[30:31], vcc
	s_xor_b64 vcc, exec, s[30:31]
; %bb.3675:                             ;   in Loop: Header=BB4_3167 Depth=4
	v_or_b32_sdwa v36, v0, s47 dst_sel:DWORD dst_unused:UNUSED_PAD src0_sel:BYTE_3 src1_sel:DWORD
                                        ; implicit-def: $vgpr0
; %bb.3676:                             ;   in Loop: Header=BB4_3167 Depth=4
	s_andn2_saveexec_b64 s[30:31], vcc
; %bb.3677:                             ;   in Loop: Header=BB4_3167 Depth=4
	v_cmp_lt_i32_e32 vcc, -1, v0
	v_bfrev_b32_e32 v0, 0.5
	v_cndmask_b32_e32 v36, v0, v52, vcc
; %bb.3678:                             ;   in Loop: Header=BB4_3167 Depth=4
	s_or_b64 exec, exec, s[30:31]
.LBB4_3679:                             ;   in Loop: Header=BB4_3167 Depth=4
	s_or_b64 exec, exec, s[28:29]
	v_lshrrev_b32_e32 v0, 16, v8
	v_cmp_ne_u16_sdwa vcc, v0, v17 src0_sel:BYTE_0 src1_sel:DWORD
	v_mov_b32_e32 v1, 0
	s_and_saveexec_b64 s[28:29], vcc
	s_cbranch_execz .LBB4_3687
; %bb.3680:                             ;   in Loop: Header=BB4_3167 Depth=4
	v_cmp_ne_u16_sdwa vcc, v0, s96 src0_sel:BYTE_0 src1_sel:DWORD
	v_bfrev_b32_e32 v1, 1
	s_and_saveexec_b64 s[30:31], vcc
	s_cbranch_execz .LBB4_3686
; %bb.3681:                             ;   in Loop: Header=BB4_3167 Depth=4
	v_and_b32_e32 v1, 0x7c0000, v8
	v_bfe_u32 v2, v8, 16, 2
	v_cmp_ne_u32_e32 vcc, s44, v1
                                        ; implicit-def: $vgpr1
	s_and_saveexec_b64 s[34:35], vcc
	s_xor_b64 s[34:35], exec, s[34:35]
	s_cbranch_execz .LBB4_3683
; %bb.3682:                             ;   in Loop: Header=BB4_3167 Depth=4
	v_ffbh_u32_e32 v1, v2
	v_min_u32_e32 v7, 32, v1
	v_subrev_u32_e32 v1, 29, v7
	v_lshlrev_b64 v[0:1], v1, v[0:1]
	v_bfe_u32 v4, v8, 18, 5
	v_and_b32_e32 v0, 3, v0
	v_cmp_eq_u32_e32 vcc, 0, v4
	v_sub_u32_e32 v1, 30, v7
	v_cndmask_b32_e32 v0, v2, v0, vcc
	v_lshlrev_b32_e32 v2, 8, v8
	v_cndmask_b32_e32 v1, v4, v1, vcc
	v_and_b32_e32 v2, 0x80000000, v2
	v_lshl_add_u32 v1, v1, 23, v2
	v_lshl_or_b32 v0, v0, 21, v1
	v_add_u32_e32 v1, 0x38000000, v0
                                        ; implicit-def: $vgpr2
                                        ; implicit-def: $vgpr0
.LBB4_3683:                             ;   in Loop: Header=BB4_3167 Depth=4
	s_andn2_saveexec_b64 s[34:35], s[34:35]
; %bb.3684:                             ;   in Loop: Header=BB4_3167 Depth=4
	v_mov_b32_e32 v1, -1
	v_cmp_gt_i16_sdwa vcc, sext(v0), v1 src0_sel:BYTE_0 src1_sel:DWORD
	v_mov_b32_e32 v0, 0xff800000
	v_mov_b32_e32 v1, 0x7f800000
	v_cndmask_b32_e32 v0, v0, v1, vcc
	v_cmp_eq_u32_e32 vcc, 0, v2
	v_mov_b32_e32 v1, 0x7f800001
	v_cndmask_b32_e32 v1, v1, v0, vcc
; %bb.3685:                             ;   in Loop: Header=BB4_3167 Depth=4
	s_or_b64 exec, exec, s[34:35]
.LBB4_3686:                             ;   in Loop: Header=BB4_3167 Depth=4
	s_or_b64 exec, exec, s[30:31]
.LBB4_3687:                             ;   in Loop: Header=BB4_3167 Depth=4
	s_or_b64 exec, exec, s[28:29]
	v_mul_f32_e32 v0, v12, v1
	v_and_b32_e32 v1, 0x7f800000, v0
	v_mov_b32_e32 v2, v17
	v_cmp_ne_u64_e32 vcc, s[76:77], v[1:2]
	v_and_b32_e32 v16, 0x7fffff, v0
                                        ; implicit-def: $vgpr48
	s_and_saveexec_b64 s[28:29], vcc
	s_xor_b64 s[30:31], exec, s[28:29]
	s_cbranch_execz .LBB4_3701
; %bb.3688:                             ;   in Loop: Header=BB4_3167 Depth=4
	v_and_b32_e32 v1, 0x7fffffff, v0
	v_mov_b32_e32 v2, v17
	v_cmp_gt_u64_e32 vcc, s[78:79], v[1:2]
	v_and_b32_sdwa v4, v0, s96 dst_sel:DWORD dst_unused:UNUSED_PAD src0_sel:BYTE_3 src1_sel:DWORD
                                        ; implicit-def: $vgpr48
	s_and_saveexec_b64 s[28:29], vcc
	s_xor_b64 s[34:35], exec, s[28:29]
	s_cbranch_execz .LBB4_3698
; %bb.3689:                             ;   in Loop: Header=BB4_3167 Depth=4
	v_mov_b32_e32 v48, 0
	v_cmp_ne_u32_e32 vcc, 0, v0
	s_and_saveexec_b64 s[36:37], vcc
	s_cbranch_execz .LBB4_3697
; %bb.3690:                             ;   in Loop: Header=BB4_3167 Depth=4
	v_bfe_u32 v7, v0, 23, 8
	v_cmp_gt_u32_e64 s[28:29], s46, v7
	v_sub_u32_e32 v0, 0x71, v7
	v_cmp_eq_u32_e32 vcc, 0, v7
	v_cndmask_b32_e64 v0, 0, v0, s[28:29]
	v_mov_b32_e32 v2, 0x70
	v_cndmask_b32_e32 v13, v0, v2, vcc
	v_add_u32_e32 v2, 21, v13
	v_or_b32_e32 v1, 0x800000, v16
	v_lshlrev_b64 v[14:15], v2, -1
	v_cndmask_b32_e32 v0, v1, v16, vcc
	v_mov_b32_e32 v1, v17
	v_add_u32_e32 v2, 20, v13
	v_bfi_b32 v14, v14, 0, v0
	v_lshlrev_b64 v[19:20], v2, 1
	v_lshrrev_b64 v[0:1], v13, v[0:1]
	v_bfi_b32 v15, v15, 0, 0
	v_cmp_eq_u64_e64 s[28:29], v[14:15], v[19:20]
	v_mov_b32_e32 v2, v1
	v_mov_b32_e32 v1, v0
	s_and_saveexec_b64 s[38:39], s[28:29]
; %bb.3691:                             ;   in Loop: Header=BB4_3167 Depth=4
	v_bfe_u32 v1, v0, 21, 1
	v_add_co_u32_e64 v1, s[28:29], v0, v1
	v_add_co_u32_e64 v1, s[28:29], -1, v1
; %bb.3692:                             ;   in Loop: Header=BB4_3167 Depth=4
	s_or_b64 exec, exec, s[38:39]
	v_add_u32_e32 v2, 0xffffff81, v7
	v_mov_b32_e32 v7, 0xffffff82
	v_cndmask_b32_e32 v2, v2, v7, vcc
	v_lshrrev_b32_e32 v7, 23, v0
	v_add3_u32 v13, v13, v2, v7
	v_add_u32_e32 v7, 14, v13
	v_and_b32_e32 v1, 0x1fffff, v1
	v_add_u32_e32 v16, v1, v0
	v_cmp_ne_u32_e32 vcc, 0, v7
                                        ; implicit-def: $vgpr0_vgpr1
                                        ; implicit-def: $vgpr2
	s_and_saveexec_b64 s[28:29], vcc
	s_xor_b64 s[28:29], exec, s[28:29]
; %bb.3693:                             ;   in Loop: Header=BB4_3167 Depth=4
	v_cmp_lt_u64_e32 vcc, s[88:89], v[16:17]
	v_add_u32_e32 v0, 15, v13
	v_cndmask_b32_e32 v2, v7, v0, vcc
	v_cndmask_b32_e64 v0, 0, 1, vcc
	v_lshrrev_b64 v[0:1], v0, v[16:17]
; %bb.3694:                             ;   in Loop: Header=BB4_3167 Depth=4
	s_andn2_saveexec_b64 s[28:29], s[28:29]
; %bb.3695:                             ;   in Loop: Header=BB4_3167 Depth=4
	v_mov_b32_e32 v0, v16
	v_mov_b32_e32 v1, v17
	v_bfe_u32 v2, v16, 23, 1
; %bb.3696:                             ;   in Loop: Header=BB4_3167 Depth=4
	s_or_b64 exec, exec, s[28:29]
	v_lshrrev_b64 v[0:1], 21, v[0:1]
	v_cmp_gt_i32_e32 vcc, 32, v2
	v_cndmask_b32_e32 v1, 0, v1, vcc
	v_cndmask_b32_e32 v0, 3, v0, vcc
	v_cmp_eq_u64_e64 s[28:29], 0, v[0:1]
	v_min_i32_e32 v1, 31, v2
	v_lshlrev_b32_e32 v1, 2, v1
	v_cmp_eq_u32_e32 vcc, 0, v2
	v_and_b32_e32 v1, 0xfc, v1
	v_and_or_b32 v0, v0, 3, v1
	s_and_b64 s[28:29], vcc, s[28:29]
	v_cndmask_b32_e64 v0, v0, 0, s[28:29]
	v_or_b32_e32 v48, v0, v4
.LBB4_3697:                             ;   in Loop: Header=BB4_3167 Depth=4
	s_or_b64 exec, exec, s[36:37]
                                        ; implicit-def: $vgpr4
.LBB4_3698:                             ;   in Loop: Header=BB4_3167 Depth=4
	s_andn2_saveexec_b64 s[28:29], s[34:35]
; %bb.3699:                             ;   in Loop: Header=BB4_3167 Depth=4
	v_or_b32_e32 v48, 0x7b, v4
; %bb.3700:                             ;   in Loop: Header=BB4_3167 Depth=4
	s_or_b64 exec, exec, s[28:29]
                                        ; implicit-def: $vgpr0
.LBB4_3701:                             ;   in Loop: Header=BB4_3167 Depth=4
	s_andn2_saveexec_b64 s[28:29], s[30:31]
	s_cbranch_execz .LBB4_3707
; %bb.3702:                             ;   in Loop: Header=BB4_3167 Depth=4
	v_cmp_ne_u64_e32 vcc, 0, v[16:17]
                                        ; implicit-def: $vgpr48
	s_and_saveexec_b64 s[30:31], vcc
	s_xor_b64 vcc, exec, s[30:31]
; %bb.3703:                             ;   in Loop: Header=BB4_3167 Depth=4
	v_or_b32_sdwa v48, v0, s47 dst_sel:DWORD dst_unused:UNUSED_PAD src0_sel:BYTE_3 src1_sel:DWORD
                                        ; implicit-def: $vgpr0
; %bb.3704:                             ;   in Loop: Header=BB4_3167 Depth=4
	s_andn2_saveexec_b64 s[30:31], vcc
; %bb.3705:                             ;   in Loop: Header=BB4_3167 Depth=4
	v_cmp_lt_i32_e32 vcc, -1, v0
	v_bfrev_b32_e32 v0, 0.5
	v_cndmask_b32_e32 v48, v0, v52, vcc
; %bb.3706:                             ;   in Loop: Header=BB4_3167 Depth=4
	s_or_b64 exec, exec, s[30:31]
.LBB4_3707:                             ;   in Loop: Header=BB4_3167 Depth=4
	s_or_b64 exec, exec, s[28:29]
	v_cmp_lt_u32_e32 vcc, s57, v8
	v_mov_b32_e32 v1, 0
	s_and_saveexec_b64 s[28:29], vcc
	s_cbranch_execz .LBB4_3715
; %bb.3708:                             ;   in Loop: Header=BB4_3167 Depth=4
	v_lshrrev_b32_e32 v0, 24, v8
	v_cmp_ne_u32_e32 vcc, s96, v0
	v_bfrev_b32_e32 v1, 1
	s_and_saveexec_b64 s[30:31], vcc
	s_cbranch_execz .LBB4_3714
; %bb.3709:                             ;   in Loop: Header=BB4_3167 Depth=4
	v_and_b32_e32 v1, 0x7c000000, v8
	v_bfe_u32 v2, v8, 24, 2
	v_cmp_ne_u32_e32 vcc, s45, v1
                                        ; implicit-def: $vgpr1
	s_and_saveexec_b64 s[34:35], vcc
	s_xor_b64 s[34:35], exec, s[34:35]
	s_cbranch_execz .LBB4_3711
; %bb.3710:                             ;   in Loop: Header=BB4_3167 Depth=4
	v_ffbh_u32_e32 v1, v2
	v_min_u32_e32 v7, 32, v1
	v_subrev_u32_e32 v1, 29, v7
	v_lshlrev_b64 v[0:1], v1, v[0:1]
	v_bfe_u32 v4, v8, 26, 5
	v_sub_u32_e32 v1, 30, v7
	v_and_b32_e32 v0, 3, v0
	v_cmp_eq_u32_e32 vcc, 0, v4
	v_cndmask_b32_e32 v1, v4, v1, vcc
	v_cndmask_b32_e32 v0, v2, v0, vcc
	v_and_b32_e32 v2, 0x80000000, v8
	v_lshl_add_u32 v1, v1, 23, v2
	v_lshl_or_b32 v0, v0, 21, v1
	v_add_u32_e32 v1, 0x38000000, v0
                                        ; implicit-def: $vgpr2
.LBB4_3711:                             ;   in Loop: Header=BB4_3167 Depth=4
	s_andn2_saveexec_b64 s[34:35], s[34:35]
; %bb.3712:                             ;   in Loop: Header=BB4_3167 Depth=4
	v_cmp_lt_i32_e32 vcc, -1, v8
	v_mov_b32_e32 v0, 0xff800000
	v_mov_b32_e32 v1, 0x7f800000
	v_cndmask_b32_e32 v0, v0, v1, vcc
	v_cmp_eq_u32_e32 vcc, 0, v2
	v_mov_b32_e32 v1, 0x7f800001
	v_cndmask_b32_e32 v1, v1, v0, vcc
; %bb.3713:                             ;   in Loop: Header=BB4_3167 Depth=4
	s_or_b64 exec, exec, s[34:35]
.LBB4_3714:                             ;   in Loop: Header=BB4_3167 Depth=4
	s_or_b64 exec, exec, s[30:31]
.LBB4_3715:                             ;   in Loop: Header=BB4_3167 Depth=4
	s_or_b64 exec, exec, s[28:29]
	v_mul_f32_e32 v0, v12, v1
	v_and_b32_e32 v1, 0x7f800000, v0
	v_mov_b32_e32 v2, v17
	v_cmp_ne_u64_e32 vcc, s[76:77], v[1:2]
	v_and_b32_e32 v16, 0x7fffff, v0
                                        ; implicit-def: $vgpr51
	s_and_saveexec_b64 s[28:29], vcc
	s_xor_b64 s[30:31], exec, s[28:29]
	s_cbranch_execz .LBB4_3729
; %bb.3716:                             ;   in Loop: Header=BB4_3167 Depth=4
	v_and_b32_e32 v1, 0x7fffffff, v0
	v_mov_b32_e32 v2, v17
	v_cmp_gt_u64_e32 vcc, s[78:79], v[1:2]
	v_and_b32_sdwa v4, v0, s96 dst_sel:DWORD dst_unused:UNUSED_PAD src0_sel:BYTE_3 src1_sel:DWORD
                                        ; implicit-def: $vgpr51
	s_and_saveexec_b64 s[28:29], vcc
	s_xor_b64 s[34:35], exec, s[28:29]
	s_cbranch_execz .LBB4_3726
; %bb.3717:                             ;   in Loop: Header=BB4_3167 Depth=4
	v_mov_b32_e32 v51, 0
	v_cmp_ne_u32_e32 vcc, 0, v0
	s_and_saveexec_b64 s[36:37], vcc
	s_cbranch_execz .LBB4_3725
; %bb.3718:                             ;   in Loop: Header=BB4_3167 Depth=4
	v_bfe_u32 v7, v0, 23, 8
	v_cmp_gt_u32_e64 s[28:29], s46, v7
	v_sub_u32_e32 v0, 0x71, v7
	v_cmp_eq_u32_e32 vcc, 0, v7
	v_cndmask_b32_e64 v0, 0, v0, s[28:29]
	v_mov_b32_e32 v2, 0x70
	v_cndmask_b32_e32 v13, v0, v2, vcc
	v_add_u32_e32 v2, 21, v13
	v_or_b32_e32 v1, 0x800000, v16
	v_lshlrev_b64 v[14:15], v2, -1
	v_cndmask_b32_e32 v0, v1, v16, vcc
	v_mov_b32_e32 v1, v17
	v_add_u32_e32 v2, 20, v13
	v_bfi_b32 v14, v14, 0, v0
	v_lshlrev_b64 v[19:20], v2, 1
	v_lshrrev_b64 v[0:1], v13, v[0:1]
	v_bfi_b32 v15, v15, 0, 0
	v_cmp_eq_u64_e64 s[28:29], v[14:15], v[19:20]
	v_mov_b32_e32 v2, v1
	v_mov_b32_e32 v1, v0
	s_and_saveexec_b64 s[38:39], s[28:29]
; %bb.3719:                             ;   in Loop: Header=BB4_3167 Depth=4
	v_bfe_u32 v1, v0, 21, 1
	v_add_co_u32_e64 v1, s[28:29], v0, v1
	v_add_co_u32_e64 v1, s[28:29], -1, v1
; %bb.3720:                             ;   in Loop: Header=BB4_3167 Depth=4
	s_or_b64 exec, exec, s[38:39]
	v_add_u32_e32 v2, 0xffffff81, v7
	v_mov_b32_e32 v7, 0xffffff82
	v_cndmask_b32_e32 v2, v2, v7, vcc
	v_lshrrev_b32_e32 v7, 23, v0
	v_add3_u32 v13, v13, v2, v7
	v_add_u32_e32 v7, 14, v13
	v_and_b32_e32 v1, 0x1fffff, v1
	v_add_u32_e32 v16, v1, v0
	v_cmp_ne_u32_e32 vcc, 0, v7
                                        ; implicit-def: $vgpr0_vgpr1
                                        ; implicit-def: $vgpr2
	s_and_saveexec_b64 s[28:29], vcc
	s_xor_b64 s[28:29], exec, s[28:29]
; %bb.3721:                             ;   in Loop: Header=BB4_3167 Depth=4
	v_cmp_lt_u64_e32 vcc, s[88:89], v[16:17]
	v_add_u32_e32 v0, 15, v13
	v_cndmask_b32_e32 v2, v7, v0, vcc
	v_cndmask_b32_e64 v0, 0, 1, vcc
	v_lshrrev_b64 v[0:1], v0, v[16:17]
; %bb.3722:                             ;   in Loop: Header=BB4_3167 Depth=4
	s_andn2_saveexec_b64 s[28:29], s[28:29]
; %bb.3723:                             ;   in Loop: Header=BB4_3167 Depth=4
	v_mov_b32_e32 v0, v16
	v_mov_b32_e32 v1, v17
	v_bfe_u32 v2, v16, 23, 1
; %bb.3724:                             ;   in Loop: Header=BB4_3167 Depth=4
	s_or_b64 exec, exec, s[28:29]
	v_lshrrev_b64 v[0:1], 21, v[0:1]
	v_cmp_gt_i32_e32 vcc, 32, v2
	v_cndmask_b32_e32 v1, 0, v1, vcc
	v_cndmask_b32_e32 v0, 3, v0, vcc
	v_cmp_eq_u64_e64 s[28:29], 0, v[0:1]
	v_min_i32_e32 v1, 31, v2
	v_lshlrev_b32_e32 v1, 2, v1
	v_cmp_eq_u32_e32 vcc, 0, v2
	v_and_b32_e32 v1, 0xfc, v1
	v_and_or_b32 v0, v0, 3, v1
	s_and_b64 s[28:29], vcc, s[28:29]
	v_cndmask_b32_e64 v0, v0, 0, s[28:29]
	v_or_b32_e32 v51, v0, v4
.LBB4_3725:                             ;   in Loop: Header=BB4_3167 Depth=4
	s_or_b64 exec, exec, s[36:37]
                                        ; implicit-def: $vgpr4
.LBB4_3726:                             ;   in Loop: Header=BB4_3167 Depth=4
	s_andn2_saveexec_b64 s[28:29], s[34:35]
; %bb.3727:                             ;   in Loop: Header=BB4_3167 Depth=4
	v_or_b32_e32 v51, 0x7b, v4
; %bb.3728:                             ;   in Loop: Header=BB4_3167 Depth=4
	s_or_b64 exec, exec, s[28:29]
                                        ; implicit-def: $vgpr0
.LBB4_3729:                             ;   in Loop: Header=BB4_3167 Depth=4
	s_andn2_saveexec_b64 s[28:29], s[30:31]
	s_cbranch_execz .LBB4_3735
; %bb.3730:                             ;   in Loop: Header=BB4_3167 Depth=4
	v_cmp_ne_u64_e32 vcc, 0, v[16:17]
                                        ; implicit-def: $vgpr51
	s_and_saveexec_b64 s[30:31], vcc
	s_xor_b64 vcc, exec, s[30:31]
; %bb.3731:                             ;   in Loop: Header=BB4_3167 Depth=4
	v_or_b32_sdwa v51, v0, s47 dst_sel:DWORD dst_unused:UNUSED_PAD src0_sel:BYTE_3 src1_sel:DWORD
                                        ; implicit-def: $vgpr0
; %bb.3732:                             ;   in Loop: Header=BB4_3167 Depth=4
	s_andn2_saveexec_b64 s[30:31], vcc
; %bb.3733:                             ;   in Loop: Header=BB4_3167 Depth=4
	v_cmp_lt_i32_e32 vcc, -1, v0
	v_bfrev_b32_e32 v0, 0.5
	v_cndmask_b32_e32 v51, v0, v52, vcc
; %bb.3734:                             ;   in Loop: Header=BB4_3167 Depth=4
	s_or_b64 exec, exec, s[30:31]
.LBB4_3735:                             ;   in Loop: Header=BB4_3167 Depth=4
	s_or_b64 exec, exec, s[28:29]
	v_mov_b32_e32 v16, v9
	v_cmp_ne_u16_sdwa vcc, v9, v17 src0_sel:BYTE_0 src1_sel:DWORD
	v_mov_b32_e32 v0, 0
	s_and_saveexec_b64 s[28:29], vcc
	s_cbranch_execz .LBB4_3743
; %bb.3736:                             ;   in Loop: Header=BB4_3167 Depth=4
	v_cmp_ne_u16_sdwa vcc, v9, s96 src0_sel:BYTE_0 src1_sel:DWORD
	v_bfrev_b32_e32 v0, 1
	s_and_saveexec_b64 s[30:31], vcc
	s_cbranch_execz .LBB4_3742
; %bb.3737:                             ;   in Loop: Header=BB4_3167 Depth=4
	v_and_b32_e32 v0, 0x7c, v9
	v_and_b32_e32 v1, 3, v9
	v_cmp_ne_u32_e32 vcc, s85, v0
                                        ; implicit-def: $vgpr0
	s_and_saveexec_b64 s[34:35], vcc
	s_xor_b64 s[34:35], exec, s[34:35]
	s_cbranch_execz .LBB4_3739
; %bb.3738:                             ;   in Loop: Header=BB4_3167 Depth=4
	v_ffbh_u32_e32 v2, v1
	v_min_u32_e32 v2, 32, v2
	v_bfe_u32 v0, v9, 2, 5
	v_subrev_u32_e32 v4, 29, v2
	v_lshlrev_b64 v[13:14], v4, v[16:17]
	v_sub_u32_e32 v2, 30, v2
	v_cmp_eq_u32_e32 vcc, 0, v0
	v_cndmask_b32_e32 v0, v0, v2, vcc
	v_lshlrev_b32_e32 v2, 24, v9
	v_and_b32_e32 v4, 3, v13
	v_and_b32_e32 v2, 0x80000000, v2
	v_cndmask_b32_e32 v1, v1, v4, vcc
	v_lshl_add_u32 v0, v0, 23, v2
	v_lshl_or_b32 v0, v1, 21, v0
	v_add_u32_e32 v0, 0x38000000, v0
                                        ; implicit-def: $vgpr1
.LBB4_3739:                             ;   in Loop: Header=BB4_3167 Depth=4
	s_andn2_saveexec_b64 s[34:35], s[34:35]
; %bb.3740:                             ;   in Loop: Header=BB4_3167 Depth=4
	v_mov_b32_e32 v0, -1
	v_cmp_gt_i16_sdwa vcc, sext(v9), v0 src0_sel:BYTE_0 src1_sel:DWORD
	v_mov_b32_e32 v0, 0xff800000
	v_mov_b32_e32 v2, 0x7f800000
	v_cndmask_b32_e32 v0, v0, v2, vcc
	v_cmp_eq_u32_e32 vcc, 0, v1
	v_mov_b32_e32 v1, 0x7f800001
	v_cndmask_b32_e32 v0, v1, v0, vcc
; %bb.3741:                             ;   in Loop: Header=BB4_3167 Depth=4
	s_or_b64 exec, exec, s[34:35]
.LBB4_3742:                             ;   in Loop: Header=BB4_3167 Depth=4
	s_or_b64 exec, exec, s[30:31]
.LBB4_3743:                             ;   in Loop: Header=BB4_3167 Depth=4
	s_or_b64 exec, exec, s[28:29]
	v_mul_f32_e32 v2, v12, v0
	v_and_b32_e32 v13, 0x7f800000, v2
	v_mov_b32_e32 v14, v17
	v_cmp_ne_u64_e32 vcc, s[76:77], v[13:14]
	v_and_b32_e32 v0, 0x7fffff, v2
	v_mov_b32_e32 v1, v17
                                        ; implicit-def: $vgpr23
	s_and_saveexec_b64 s[28:29], vcc
	s_xor_b64 s[30:31], exec, s[28:29]
	s_cbranch_execz .LBB4_3757
; %bb.3744:                             ;   in Loop: Header=BB4_3167 Depth=4
	v_and_b32_e32 v13, 0x7fffffff, v2
	v_mov_b32_e32 v14, v17
	v_cmp_gt_u64_e32 vcc, s[78:79], v[13:14]
	v_and_b32_sdwa v4, v2, s96 dst_sel:DWORD dst_unused:UNUSED_PAD src0_sel:BYTE_3 src1_sel:DWORD
                                        ; implicit-def: $vgpr23
	s_and_saveexec_b64 s[28:29], vcc
	s_xor_b64 s[34:35], exec, s[28:29]
	s_cbranch_execz .LBB4_3754
; %bb.3745:                             ;   in Loop: Header=BB4_3167 Depth=4
	v_mov_b32_e32 v23, 0
	v_cmp_ne_u32_e32 vcc, 0, v2
	s_and_saveexec_b64 s[36:37], vcc
	s_cbranch_execz .LBB4_3753
; %bb.3746:                             ;   in Loop: Header=BB4_3167 Depth=4
	v_bfe_u32 v7, v2, 23, 8
	v_cmp_gt_u32_e64 s[28:29], s46, v7
	v_sub_u32_e32 v2, 0x71, v7
	v_cmp_eq_u32_e32 vcc, 0, v7
	v_cndmask_b32_e64 v2, 0, v2, s[28:29]
	v_mov_b32_e32 v13, 0x70
	v_cndmask_b32_e32 v13, v2, v13, vcc
	v_or_b32_e32 v14, 0x800000, v0
	v_add_u32_e32 v2, 21, v13
	v_cndmask_b32_e32 v0, v14, v0, vcc
	v_lshlrev_b64 v[14:15], v2, -1
	v_add_u32_e32 v2, 20, v13
	v_bfi_b32 v14, v14, 0, v0
	v_lshlrev_b64 v[19:20], v2, 1
	v_lshrrev_b64 v[0:1], v13, v[0:1]
	v_bfi_b32 v15, v15, 0, 0
	v_cmp_eq_u64_e64 s[28:29], v[14:15], v[19:20]
	v_mov_b32_e32 v2, v1
	v_mov_b32_e32 v1, v0
	s_and_saveexec_b64 s[38:39], s[28:29]
; %bb.3747:                             ;   in Loop: Header=BB4_3167 Depth=4
	v_bfe_u32 v1, v0, 21, 1
	v_add_co_u32_e64 v1, s[28:29], v0, v1
	v_add_co_u32_e64 v1, s[28:29], -1, v1
; %bb.3748:                             ;   in Loop: Header=BB4_3167 Depth=4
	s_or_b64 exec, exec, s[38:39]
	v_add_u32_e32 v2, 0xffffff81, v7
	v_mov_b32_e32 v7, 0xffffff82
	v_cndmask_b32_e32 v2, v2, v7, vcc
	v_lshrrev_b32_e32 v7, 23, v0
	v_add3_u32 v13, v13, v2, v7
	v_add_u32_e32 v7, 14, v13
	v_and_b32_e32 v1, 0x1fffff, v1
	v_add_u32_e32 v0, v1, v0
	v_mov_b32_e32 v1, v17
	v_cmp_ne_u32_e32 vcc, 0, v7
                                        ; implicit-def: $vgpr2
	s_and_saveexec_b64 s[28:29], vcc
	s_xor_b64 s[28:29], exec, s[28:29]
; %bb.3749:                             ;   in Loop: Header=BB4_3167 Depth=4
	v_cmp_lt_u64_e32 vcc, s[88:89], v[0:1]
	v_add_u32_e32 v2, 15, v13
	v_cndmask_b32_e32 v2, v7, v2, vcc
	v_cndmask_b32_e64 v7, 0, 1, vcc
	v_lshrrev_b64 v[0:1], v7, v[0:1]
; %bb.3750:                             ;   in Loop: Header=BB4_3167 Depth=4
	s_andn2_saveexec_b64 s[28:29], s[28:29]
; %bb.3751:                             ;   in Loop: Header=BB4_3167 Depth=4
	v_bfe_u32 v2, v0, 23, 1
; %bb.3752:                             ;   in Loop: Header=BB4_3167 Depth=4
	s_or_b64 exec, exec, s[28:29]
	v_lshrrev_b64 v[0:1], 21, v[0:1]
	v_cmp_gt_i32_e32 vcc, 32, v2
	v_cndmask_b32_e32 v1, 0, v1, vcc
	v_cndmask_b32_e32 v0, 3, v0, vcc
	v_cmp_eq_u64_e64 s[28:29], 0, v[0:1]
	v_min_i32_e32 v1, 31, v2
	v_lshlrev_b32_e32 v1, 2, v1
	v_cmp_eq_u32_e32 vcc, 0, v2
	v_and_b32_e32 v1, 0xfc, v1
	v_and_or_b32 v0, v0, 3, v1
	s_and_b64 s[28:29], vcc, s[28:29]
	v_cndmask_b32_e64 v0, v0, 0, s[28:29]
	v_or_b32_e32 v23, v0, v4
.LBB4_3753:                             ;   in Loop: Header=BB4_3167 Depth=4
	s_or_b64 exec, exec, s[36:37]
                                        ; implicit-def: $vgpr4
.LBB4_3754:                             ;   in Loop: Header=BB4_3167 Depth=4
	s_andn2_saveexec_b64 s[28:29], s[34:35]
; %bb.3755:                             ;   in Loop: Header=BB4_3167 Depth=4
	v_or_b32_e32 v23, 0x7b, v4
; %bb.3756:                             ;   in Loop: Header=BB4_3167 Depth=4
	s_or_b64 exec, exec, s[28:29]
                                        ; implicit-def: $vgpr2
                                        ; implicit-def: $vgpr0_vgpr1
.LBB4_3757:                             ;   in Loop: Header=BB4_3167 Depth=4
	s_andn2_saveexec_b64 s[28:29], s[30:31]
	s_cbranch_execz .LBB4_3763
; %bb.3758:                             ;   in Loop: Header=BB4_3167 Depth=4
	v_cmp_ne_u64_e32 vcc, 0, v[0:1]
                                        ; implicit-def: $vgpr23
	s_and_saveexec_b64 s[30:31], vcc
	s_xor_b64 vcc, exec, s[30:31]
; %bb.3759:                             ;   in Loop: Header=BB4_3167 Depth=4
	v_or_b32_sdwa v23, v2, s47 dst_sel:DWORD dst_unused:UNUSED_PAD src0_sel:BYTE_3 src1_sel:DWORD
                                        ; implicit-def: $vgpr2
; %bb.3760:                             ;   in Loop: Header=BB4_3167 Depth=4
	s_andn2_saveexec_b64 s[30:31], vcc
; %bb.3761:                             ;   in Loop: Header=BB4_3167 Depth=4
	v_cmp_lt_i32_e32 vcc, -1, v2
	v_bfrev_b32_e32 v0, 0.5
	v_cndmask_b32_e32 v23, v0, v52, vcc
; %bb.3762:                             ;   in Loop: Header=BB4_3167 Depth=4
	s_or_b64 exec, exec, s[30:31]
.LBB4_3763:                             ;   in Loop: Header=BB4_3167 Depth=4
	s_or_b64 exec, exec, s[28:29]
	v_lshrrev_b16_e32 v0, 8, v16
	v_cmp_ne_u16_e32 vcc, 0, v0
	v_mov_b32_e32 v1, 0
	s_and_saveexec_b64 s[28:29], vcc
	s_cbranch_execz .LBB4_3771
; %bb.3764:                             ;   in Loop: Header=BB4_3167 Depth=4
	v_cmp_ne_u16_e32 vcc, s96, v0
	v_bfrev_b32_e32 v1, 1
	s_and_saveexec_b64 s[30:31], vcc
	s_cbranch_execz .LBB4_3770
; %bb.3765:                             ;   in Loop: Header=BB4_3167 Depth=4
	v_and_b32_e32 v1, 0x7c, v0
	v_and_b32_e32 v2, 3, v0
	v_cmp_ne_u32_e32 vcc, s85, v1
                                        ; implicit-def: $vgpr1
	s_and_saveexec_b64 s[34:35], vcc
	s_xor_b64 s[34:35], exec, s[34:35]
	s_cbranch_execz .LBB4_3767
; %bb.3766:                             ;   in Loop: Header=BB4_3167 Depth=4
	v_ffbh_u32_e32 v7, v2
	v_min_u32_e32 v7, 32, v7
	v_mov_b32_e32 v1, v17
	v_subrev_u32_e32 v13, 29, v7
	v_bfe_u32 v4, v0, 2, 5
	v_lshlrev_b64 v[0:1], v13, v[0:1]
	v_cmp_eq_u32_e32 vcc, 0, v4
	v_and_b32_e32 v0, 3, v0
	v_sub_u32_e32 v1, 30, v7
	v_cndmask_b32_e32 v0, v2, v0, vcc
	v_lshlrev_b32_e32 v2, 16, v16
	v_cndmask_b32_e32 v1, v4, v1, vcc
	v_and_b32_e32 v2, 0x80000000, v2
	v_lshl_add_u32 v1, v1, 23, v2
	v_lshl_or_b32 v0, v0, 21, v1
	v_add_u32_e32 v1, 0x38000000, v0
                                        ; implicit-def: $vgpr2
.LBB4_3767:                             ;   in Loop: Header=BB4_3167 Depth=4
	s_andn2_saveexec_b64 s[34:35], s[34:35]
; %bb.3768:                             ;   in Loop: Header=BB4_3167 Depth=4
	v_cmp_lt_i16_e32 vcc, -1, v16
	v_mov_b32_e32 v0, 0xff800000
	v_mov_b32_e32 v1, 0x7f800000
	v_cndmask_b32_e32 v0, v0, v1, vcc
	v_cmp_eq_u32_e32 vcc, 0, v2
	v_mov_b32_e32 v1, 0x7f800001
	v_cndmask_b32_e32 v1, v1, v0, vcc
; %bb.3769:                             ;   in Loop: Header=BB4_3167 Depth=4
	s_or_b64 exec, exec, s[34:35]
.LBB4_3770:                             ;   in Loop: Header=BB4_3167 Depth=4
	s_or_b64 exec, exec, s[30:31]
.LBB4_3771:                             ;   in Loop: Header=BB4_3167 Depth=4
	s_or_b64 exec, exec, s[28:29]
	v_mul_f32_e32 v0, v12, v1
	v_and_b32_e32 v1, 0x7f800000, v0
	v_mov_b32_e32 v2, v17
	v_cmp_ne_u64_e32 vcc, s[76:77], v[1:2]
	v_and_b32_e32 v16, 0x7fffff, v0
                                        ; implicit-def: $vgpr31
	s_and_saveexec_b64 s[28:29], vcc
	s_xor_b64 s[30:31], exec, s[28:29]
	s_cbranch_execz .LBB4_3785
; %bb.3772:                             ;   in Loop: Header=BB4_3167 Depth=4
	v_and_b32_e32 v1, 0x7fffffff, v0
	v_mov_b32_e32 v2, v17
	v_cmp_gt_u64_e32 vcc, s[78:79], v[1:2]
	v_and_b32_sdwa v4, v0, s96 dst_sel:DWORD dst_unused:UNUSED_PAD src0_sel:BYTE_3 src1_sel:DWORD
                                        ; implicit-def: $vgpr31
	s_and_saveexec_b64 s[28:29], vcc
	s_xor_b64 s[34:35], exec, s[28:29]
	s_cbranch_execz .LBB4_3782
; %bb.3773:                             ;   in Loop: Header=BB4_3167 Depth=4
	v_mov_b32_e32 v31, 0
	v_cmp_ne_u32_e32 vcc, 0, v0
	s_and_saveexec_b64 s[36:37], vcc
	s_cbranch_execz .LBB4_3781
; %bb.3774:                             ;   in Loop: Header=BB4_3167 Depth=4
	v_bfe_u32 v7, v0, 23, 8
	v_cmp_gt_u32_e64 s[28:29], s46, v7
	v_sub_u32_e32 v0, 0x71, v7
	v_cmp_eq_u32_e32 vcc, 0, v7
	v_cndmask_b32_e64 v0, 0, v0, s[28:29]
	v_mov_b32_e32 v2, 0x70
	v_cndmask_b32_e32 v13, v0, v2, vcc
	v_add_u32_e32 v2, 21, v13
	v_or_b32_e32 v1, 0x800000, v16
	v_lshlrev_b64 v[14:15], v2, -1
	v_cndmask_b32_e32 v0, v1, v16, vcc
	v_mov_b32_e32 v1, v17
	v_add_u32_e32 v2, 20, v13
	v_bfi_b32 v14, v14, 0, v0
	v_lshlrev_b64 v[19:20], v2, 1
	v_lshrrev_b64 v[0:1], v13, v[0:1]
	v_bfi_b32 v15, v15, 0, 0
	v_cmp_eq_u64_e64 s[28:29], v[14:15], v[19:20]
	v_mov_b32_e32 v2, v1
	v_mov_b32_e32 v1, v0
	s_and_saveexec_b64 s[38:39], s[28:29]
; %bb.3775:                             ;   in Loop: Header=BB4_3167 Depth=4
	v_bfe_u32 v1, v0, 21, 1
	v_add_co_u32_e64 v1, s[28:29], v0, v1
	v_add_co_u32_e64 v1, s[28:29], -1, v1
; %bb.3776:                             ;   in Loop: Header=BB4_3167 Depth=4
	s_or_b64 exec, exec, s[38:39]
	v_add_u32_e32 v2, 0xffffff81, v7
	v_mov_b32_e32 v7, 0xffffff82
	v_cndmask_b32_e32 v2, v2, v7, vcc
	v_lshrrev_b32_e32 v7, 23, v0
	v_add3_u32 v13, v13, v2, v7
	v_add_u32_e32 v7, 14, v13
	v_and_b32_e32 v1, 0x1fffff, v1
	v_add_u32_e32 v16, v1, v0
	v_cmp_ne_u32_e32 vcc, 0, v7
                                        ; implicit-def: $vgpr0_vgpr1
                                        ; implicit-def: $vgpr2
	s_and_saveexec_b64 s[28:29], vcc
	s_xor_b64 s[28:29], exec, s[28:29]
; %bb.3777:                             ;   in Loop: Header=BB4_3167 Depth=4
	v_cmp_lt_u64_e32 vcc, s[88:89], v[16:17]
	v_add_u32_e32 v0, 15, v13
	v_cndmask_b32_e32 v2, v7, v0, vcc
	v_cndmask_b32_e64 v0, 0, 1, vcc
	v_lshrrev_b64 v[0:1], v0, v[16:17]
; %bb.3778:                             ;   in Loop: Header=BB4_3167 Depth=4
	s_andn2_saveexec_b64 s[28:29], s[28:29]
; %bb.3779:                             ;   in Loop: Header=BB4_3167 Depth=4
	v_mov_b32_e32 v0, v16
	v_mov_b32_e32 v1, v17
	v_bfe_u32 v2, v16, 23, 1
; %bb.3780:                             ;   in Loop: Header=BB4_3167 Depth=4
	s_or_b64 exec, exec, s[28:29]
	v_lshrrev_b64 v[0:1], 21, v[0:1]
	v_cmp_gt_i32_e32 vcc, 32, v2
	v_cndmask_b32_e32 v1, 0, v1, vcc
	v_cndmask_b32_e32 v0, 3, v0, vcc
	v_cmp_eq_u64_e64 s[28:29], 0, v[0:1]
	v_min_i32_e32 v1, 31, v2
	v_lshlrev_b32_e32 v1, 2, v1
	v_cmp_eq_u32_e32 vcc, 0, v2
	v_and_b32_e32 v1, 0xfc, v1
	v_and_or_b32 v0, v0, 3, v1
	s_and_b64 s[28:29], vcc, s[28:29]
	v_cndmask_b32_e64 v0, v0, 0, s[28:29]
	v_or_b32_e32 v31, v0, v4
.LBB4_3781:                             ;   in Loop: Header=BB4_3167 Depth=4
	s_or_b64 exec, exec, s[36:37]
                                        ; implicit-def: $vgpr4
.LBB4_3782:                             ;   in Loop: Header=BB4_3167 Depth=4
	s_andn2_saveexec_b64 s[28:29], s[34:35]
; %bb.3783:                             ;   in Loop: Header=BB4_3167 Depth=4
	v_or_b32_e32 v31, 0x7b, v4
; %bb.3784:                             ;   in Loop: Header=BB4_3167 Depth=4
	s_or_b64 exec, exec, s[28:29]
                                        ; implicit-def: $vgpr0
.LBB4_3785:                             ;   in Loop: Header=BB4_3167 Depth=4
	s_andn2_saveexec_b64 s[28:29], s[30:31]
	s_cbranch_execz .LBB4_3791
; %bb.3786:                             ;   in Loop: Header=BB4_3167 Depth=4
	v_cmp_ne_u64_e32 vcc, 0, v[16:17]
                                        ; implicit-def: $vgpr31
	s_and_saveexec_b64 s[30:31], vcc
	s_xor_b64 vcc, exec, s[30:31]
; %bb.3787:                             ;   in Loop: Header=BB4_3167 Depth=4
	v_or_b32_sdwa v31, v0, s47 dst_sel:DWORD dst_unused:UNUSED_PAD src0_sel:BYTE_3 src1_sel:DWORD
                                        ; implicit-def: $vgpr0
; %bb.3788:                             ;   in Loop: Header=BB4_3167 Depth=4
	s_andn2_saveexec_b64 s[30:31], vcc
; %bb.3789:                             ;   in Loop: Header=BB4_3167 Depth=4
	v_cmp_lt_i32_e32 vcc, -1, v0
	v_bfrev_b32_e32 v0, 0.5
	v_cndmask_b32_e32 v31, v0, v52, vcc
; %bb.3790:                             ;   in Loop: Header=BB4_3167 Depth=4
	s_or_b64 exec, exec, s[30:31]
.LBB4_3791:                             ;   in Loop: Header=BB4_3167 Depth=4
	s_or_b64 exec, exec, s[28:29]
	v_lshrrev_b32_e32 v0, 16, v9
	v_cmp_ne_u16_sdwa vcc, v0, v17 src0_sel:BYTE_0 src1_sel:DWORD
	v_mov_b32_e32 v1, 0
	s_and_saveexec_b64 s[28:29], vcc
	s_cbranch_execz .LBB4_3799
; %bb.3792:                             ;   in Loop: Header=BB4_3167 Depth=4
	v_cmp_ne_u16_sdwa vcc, v0, s96 src0_sel:BYTE_0 src1_sel:DWORD
	v_bfrev_b32_e32 v1, 1
	s_and_saveexec_b64 s[30:31], vcc
	s_cbranch_execz .LBB4_3798
; %bb.3793:                             ;   in Loop: Header=BB4_3167 Depth=4
	v_and_b32_e32 v1, 0x7c0000, v9
	v_bfe_u32 v2, v9, 16, 2
	v_cmp_ne_u32_e32 vcc, s44, v1
                                        ; implicit-def: $vgpr1
	s_and_saveexec_b64 s[34:35], vcc
	s_xor_b64 s[34:35], exec, s[34:35]
	s_cbranch_execz .LBB4_3795
; %bb.3794:                             ;   in Loop: Header=BB4_3167 Depth=4
	v_ffbh_u32_e32 v1, v2
	v_min_u32_e32 v7, 32, v1
	v_subrev_u32_e32 v1, 29, v7
	v_lshlrev_b64 v[0:1], v1, v[0:1]
	v_bfe_u32 v4, v9, 18, 5
	v_and_b32_e32 v0, 3, v0
	v_cmp_eq_u32_e32 vcc, 0, v4
	v_sub_u32_e32 v1, 30, v7
	v_cndmask_b32_e32 v0, v2, v0, vcc
	v_lshlrev_b32_e32 v2, 8, v9
	v_cndmask_b32_e32 v1, v4, v1, vcc
	v_and_b32_e32 v2, 0x80000000, v2
	v_lshl_add_u32 v1, v1, 23, v2
	v_lshl_or_b32 v0, v0, 21, v1
	v_add_u32_e32 v1, 0x38000000, v0
                                        ; implicit-def: $vgpr2
                                        ; implicit-def: $vgpr0
.LBB4_3795:                             ;   in Loop: Header=BB4_3167 Depth=4
	s_andn2_saveexec_b64 s[34:35], s[34:35]
; %bb.3796:                             ;   in Loop: Header=BB4_3167 Depth=4
	v_mov_b32_e32 v1, -1
	v_cmp_gt_i16_sdwa vcc, sext(v0), v1 src0_sel:BYTE_0 src1_sel:DWORD
	v_mov_b32_e32 v0, 0xff800000
	v_mov_b32_e32 v1, 0x7f800000
	v_cndmask_b32_e32 v0, v0, v1, vcc
	v_cmp_eq_u32_e32 vcc, 0, v2
	v_mov_b32_e32 v1, 0x7f800001
	v_cndmask_b32_e32 v1, v1, v0, vcc
; %bb.3797:                             ;   in Loop: Header=BB4_3167 Depth=4
	s_or_b64 exec, exec, s[34:35]
.LBB4_3798:                             ;   in Loop: Header=BB4_3167 Depth=4
	s_or_b64 exec, exec, s[30:31]
.LBB4_3799:                             ;   in Loop: Header=BB4_3167 Depth=4
	s_or_b64 exec, exec, s[28:29]
	v_mul_f32_e32 v0, v12, v1
	v_and_b32_e32 v1, 0x7f800000, v0
	v_mov_b32_e32 v2, v17
	v_cmp_ne_u64_e32 vcc, s[76:77], v[1:2]
	v_and_b32_e32 v16, 0x7fffff, v0
                                        ; implicit-def: $vgpr35
	s_and_saveexec_b64 s[28:29], vcc
	s_xor_b64 s[30:31], exec, s[28:29]
	s_cbranch_execz .LBB4_3813
; %bb.3800:                             ;   in Loop: Header=BB4_3167 Depth=4
	v_and_b32_e32 v1, 0x7fffffff, v0
	v_mov_b32_e32 v2, v17
	v_cmp_gt_u64_e32 vcc, s[78:79], v[1:2]
	v_and_b32_sdwa v4, v0, s96 dst_sel:DWORD dst_unused:UNUSED_PAD src0_sel:BYTE_3 src1_sel:DWORD
                                        ; implicit-def: $vgpr35
	s_and_saveexec_b64 s[28:29], vcc
	s_xor_b64 s[34:35], exec, s[28:29]
	s_cbranch_execz .LBB4_3810
; %bb.3801:                             ;   in Loop: Header=BB4_3167 Depth=4
	v_mov_b32_e32 v35, 0
	v_cmp_ne_u32_e32 vcc, 0, v0
	s_and_saveexec_b64 s[36:37], vcc
	s_cbranch_execz .LBB4_3809
; %bb.3802:                             ;   in Loop: Header=BB4_3167 Depth=4
	v_bfe_u32 v7, v0, 23, 8
	v_cmp_gt_u32_e64 s[28:29], s46, v7
	v_sub_u32_e32 v0, 0x71, v7
	v_cmp_eq_u32_e32 vcc, 0, v7
	v_cndmask_b32_e64 v0, 0, v0, s[28:29]
	v_mov_b32_e32 v2, 0x70
	v_cndmask_b32_e32 v13, v0, v2, vcc
	v_add_u32_e32 v2, 21, v13
	v_or_b32_e32 v1, 0x800000, v16
	v_lshlrev_b64 v[14:15], v2, -1
	v_cndmask_b32_e32 v0, v1, v16, vcc
	v_mov_b32_e32 v1, v17
	v_add_u32_e32 v2, 20, v13
	v_bfi_b32 v14, v14, 0, v0
	v_lshlrev_b64 v[19:20], v2, 1
	v_lshrrev_b64 v[0:1], v13, v[0:1]
	v_bfi_b32 v15, v15, 0, 0
	v_cmp_eq_u64_e64 s[28:29], v[14:15], v[19:20]
	v_mov_b32_e32 v2, v1
	v_mov_b32_e32 v1, v0
	s_and_saveexec_b64 s[38:39], s[28:29]
; %bb.3803:                             ;   in Loop: Header=BB4_3167 Depth=4
	v_bfe_u32 v1, v0, 21, 1
	v_add_co_u32_e64 v1, s[28:29], v0, v1
	v_add_co_u32_e64 v1, s[28:29], -1, v1
; %bb.3804:                             ;   in Loop: Header=BB4_3167 Depth=4
	s_or_b64 exec, exec, s[38:39]
	v_add_u32_e32 v2, 0xffffff81, v7
	v_mov_b32_e32 v7, 0xffffff82
	v_cndmask_b32_e32 v2, v2, v7, vcc
	v_lshrrev_b32_e32 v7, 23, v0
	v_add3_u32 v13, v13, v2, v7
	v_add_u32_e32 v7, 14, v13
	v_and_b32_e32 v1, 0x1fffff, v1
	v_add_u32_e32 v16, v1, v0
	v_cmp_ne_u32_e32 vcc, 0, v7
                                        ; implicit-def: $vgpr0_vgpr1
                                        ; implicit-def: $vgpr2
	s_and_saveexec_b64 s[28:29], vcc
	s_xor_b64 s[28:29], exec, s[28:29]
; %bb.3805:                             ;   in Loop: Header=BB4_3167 Depth=4
	v_cmp_lt_u64_e32 vcc, s[88:89], v[16:17]
	v_add_u32_e32 v0, 15, v13
	v_cndmask_b32_e32 v2, v7, v0, vcc
	v_cndmask_b32_e64 v0, 0, 1, vcc
	v_lshrrev_b64 v[0:1], v0, v[16:17]
; %bb.3806:                             ;   in Loop: Header=BB4_3167 Depth=4
	s_andn2_saveexec_b64 s[28:29], s[28:29]
; %bb.3807:                             ;   in Loop: Header=BB4_3167 Depth=4
	v_mov_b32_e32 v0, v16
	v_mov_b32_e32 v1, v17
	v_bfe_u32 v2, v16, 23, 1
; %bb.3808:                             ;   in Loop: Header=BB4_3167 Depth=4
	s_or_b64 exec, exec, s[28:29]
	v_lshrrev_b64 v[0:1], 21, v[0:1]
	v_cmp_gt_i32_e32 vcc, 32, v2
	v_cndmask_b32_e32 v1, 0, v1, vcc
	v_cndmask_b32_e32 v0, 3, v0, vcc
	v_cmp_eq_u64_e64 s[28:29], 0, v[0:1]
	v_min_i32_e32 v1, 31, v2
	v_lshlrev_b32_e32 v1, 2, v1
	v_cmp_eq_u32_e32 vcc, 0, v2
	v_and_b32_e32 v1, 0xfc, v1
	v_and_or_b32 v0, v0, 3, v1
	s_and_b64 s[28:29], vcc, s[28:29]
	v_cndmask_b32_e64 v0, v0, 0, s[28:29]
	v_or_b32_e32 v35, v0, v4
.LBB4_3809:                             ;   in Loop: Header=BB4_3167 Depth=4
	s_or_b64 exec, exec, s[36:37]
                                        ; implicit-def: $vgpr4
.LBB4_3810:                             ;   in Loop: Header=BB4_3167 Depth=4
	s_andn2_saveexec_b64 s[28:29], s[34:35]
; %bb.3811:                             ;   in Loop: Header=BB4_3167 Depth=4
	v_or_b32_e32 v35, 0x7b, v4
; %bb.3812:                             ;   in Loop: Header=BB4_3167 Depth=4
	s_or_b64 exec, exec, s[28:29]
                                        ; implicit-def: $vgpr0
.LBB4_3813:                             ;   in Loop: Header=BB4_3167 Depth=4
	s_andn2_saveexec_b64 s[28:29], s[30:31]
	s_cbranch_execz .LBB4_3819
; %bb.3814:                             ;   in Loop: Header=BB4_3167 Depth=4
	v_cmp_ne_u64_e32 vcc, 0, v[16:17]
                                        ; implicit-def: $vgpr35
	s_and_saveexec_b64 s[30:31], vcc
	s_xor_b64 vcc, exec, s[30:31]
; %bb.3815:                             ;   in Loop: Header=BB4_3167 Depth=4
	v_or_b32_sdwa v35, v0, s47 dst_sel:DWORD dst_unused:UNUSED_PAD src0_sel:BYTE_3 src1_sel:DWORD
                                        ; implicit-def: $vgpr0
; %bb.3816:                             ;   in Loop: Header=BB4_3167 Depth=4
	s_andn2_saveexec_b64 s[30:31], vcc
; %bb.3817:                             ;   in Loop: Header=BB4_3167 Depth=4
	v_cmp_lt_i32_e32 vcc, -1, v0
	v_bfrev_b32_e32 v0, 0.5
	v_cndmask_b32_e32 v35, v0, v52, vcc
; %bb.3818:                             ;   in Loop: Header=BB4_3167 Depth=4
	s_or_b64 exec, exec, s[30:31]
.LBB4_3819:                             ;   in Loop: Header=BB4_3167 Depth=4
	s_or_b64 exec, exec, s[28:29]
	v_cmp_lt_u64_e32 vcc, s[56:57], v[8:9]
	v_mov_b32_e32 v1, 0
	s_and_saveexec_b64 s[28:29], vcc
	s_cbranch_execz .LBB4_3827
; %bb.3820:                             ;   in Loop: Header=BB4_3167 Depth=4
	v_lshrrev_b32_e32 v0, 24, v9
	v_cmp_ne_u32_e32 vcc, s96, v0
	v_bfrev_b32_e32 v1, 1
	s_and_saveexec_b64 s[30:31], vcc
	s_cbranch_execz .LBB4_3826
; %bb.3821:                             ;   in Loop: Header=BB4_3167 Depth=4
	v_and_b32_e32 v1, 0x7c000000, v9
	v_bfe_u32 v2, v9, 24, 2
	v_cmp_ne_u32_e32 vcc, s45, v1
                                        ; implicit-def: $vgpr1
	s_and_saveexec_b64 s[34:35], vcc
	s_xor_b64 s[34:35], exec, s[34:35]
	s_cbranch_execz .LBB4_3823
; %bb.3822:                             ;   in Loop: Header=BB4_3167 Depth=4
	v_ffbh_u32_e32 v1, v2
	v_min_u32_e32 v7, 32, v1
	v_subrev_u32_e32 v1, 29, v7
	v_lshlrev_b64 v[0:1], v1, v[0:1]
	v_bfe_u32 v4, v9, 26, 5
	v_sub_u32_e32 v1, 30, v7
	v_and_b32_e32 v0, 3, v0
	v_cmp_eq_u32_e32 vcc, 0, v4
	v_cndmask_b32_e32 v1, v4, v1, vcc
	v_cndmask_b32_e32 v0, v2, v0, vcc
	v_and_b32_e32 v2, 0x80000000, v9
	v_lshl_add_u32 v1, v1, 23, v2
	v_lshl_or_b32 v0, v0, 21, v1
	v_add_u32_e32 v1, 0x38000000, v0
                                        ; implicit-def: $vgpr2
.LBB4_3823:                             ;   in Loop: Header=BB4_3167 Depth=4
	s_andn2_saveexec_b64 s[34:35], s[34:35]
; %bb.3824:                             ;   in Loop: Header=BB4_3167 Depth=4
	v_cmp_lt_i64_e32 vcc, -1, v[8:9]
	v_mov_b32_e32 v0, 0xff800000
	v_mov_b32_e32 v1, 0x7f800000
	v_cndmask_b32_e32 v0, v0, v1, vcc
	v_cmp_eq_u32_e32 vcc, 0, v2
	v_mov_b32_e32 v1, 0x7f800001
	v_cndmask_b32_e32 v1, v1, v0, vcc
; %bb.3825:                             ;   in Loop: Header=BB4_3167 Depth=4
	s_or_b64 exec, exec, s[34:35]
.LBB4_3826:                             ;   in Loop: Header=BB4_3167 Depth=4
	s_or_b64 exec, exec, s[30:31]
.LBB4_3827:                             ;   in Loop: Header=BB4_3167 Depth=4
	s_or_b64 exec, exec, s[28:29]
	v_mul_f32_e32 v0, v12, v1
	v_and_b32_e32 v1, 0x7f800000, v0
	v_mov_b32_e32 v2, v17
	v_cmp_ne_u64_e32 vcc, s[76:77], v[1:2]
	v_and_b32_e32 v16, 0x7fffff, v0
                                        ; implicit-def: $vgpr39
	s_and_saveexec_b64 s[28:29], vcc
	s_xor_b64 s[30:31], exec, s[28:29]
	s_cbranch_execz .LBB4_3841
; %bb.3828:                             ;   in Loop: Header=BB4_3167 Depth=4
	v_and_b32_e32 v1, 0x7fffffff, v0
	v_mov_b32_e32 v2, v17
	v_cmp_gt_u64_e32 vcc, s[78:79], v[1:2]
	v_and_b32_sdwa v4, v0, s96 dst_sel:DWORD dst_unused:UNUSED_PAD src0_sel:BYTE_3 src1_sel:DWORD
                                        ; implicit-def: $vgpr39
	s_and_saveexec_b64 s[28:29], vcc
	s_xor_b64 s[34:35], exec, s[28:29]
	s_cbranch_execz .LBB4_3838
; %bb.3829:                             ;   in Loop: Header=BB4_3167 Depth=4
	v_mov_b32_e32 v39, 0
	v_cmp_ne_u32_e32 vcc, 0, v0
	s_and_saveexec_b64 s[36:37], vcc
	s_cbranch_execz .LBB4_3837
; %bb.3830:                             ;   in Loop: Header=BB4_3167 Depth=4
	v_bfe_u32 v7, v0, 23, 8
	v_cmp_gt_u32_e64 s[28:29], s46, v7
	v_sub_u32_e32 v0, 0x71, v7
	v_cmp_eq_u32_e32 vcc, 0, v7
	v_cndmask_b32_e64 v0, 0, v0, s[28:29]
	v_mov_b32_e32 v2, 0x70
	v_cndmask_b32_e32 v8, v0, v2, vcc
	v_add_u32_e32 v2, 21, v8
	v_or_b32_e32 v1, 0x800000, v16
	v_lshlrev_b64 v[13:14], v2, -1
	v_cndmask_b32_e32 v0, v1, v16, vcc
	v_mov_b32_e32 v1, v17
	v_add_u32_e32 v2, 20, v8
	v_bfi_b32 v13, v13, 0, v0
	v_lshlrev_b64 v[15:16], v2, 1
	v_lshrrev_b64 v[0:1], v8, v[0:1]
	v_bfi_b32 v14, v14, 0, 0
	v_cmp_eq_u64_e64 s[28:29], v[13:14], v[15:16]
	v_mov_b32_e32 v2, v1
	v_mov_b32_e32 v1, v0
	s_and_saveexec_b64 s[38:39], s[28:29]
; %bb.3831:                             ;   in Loop: Header=BB4_3167 Depth=4
	v_bfe_u32 v1, v0, 21, 1
	v_add_co_u32_e64 v1, s[28:29], v0, v1
	v_add_co_u32_e64 v1, s[28:29], -1, v1
; %bb.3832:                             ;   in Loop: Header=BB4_3167 Depth=4
	s_or_b64 exec, exec, s[38:39]
	v_add_u32_e32 v2, 0xffffff81, v7
	v_mov_b32_e32 v7, 0xffffff82
	v_cndmask_b32_e32 v2, v2, v7, vcc
	v_lshrrev_b32_e32 v7, 23, v0
	v_add3_u32 v8, v8, v2, v7
	v_add_u32_e32 v7, 14, v8
	v_and_b32_e32 v1, 0x1fffff, v1
	v_add_u32_e32 v16, v1, v0
	v_cmp_ne_u32_e32 vcc, 0, v7
                                        ; implicit-def: $vgpr0_vgpr1
                                        ; implicit-def: $vgpr2
	s_and_saveexec_b64 s[28:29], vcc
	s_xor_b64 s[28:29], exec, s[28:29]
; %bb.3833:                             ;   in Loop: Header=BB4_3167 Depth=4
	v_cmp_lt_u64_e32 vcc, s[88:89], v[16:17]
	v_add_u32_e32 v0, 15, v8
	v_cndmask_b32_e32 v2, v7, v0, vcc
	v_cndmask_b32_e64 v0, 0, 1, vcc
	v_lshrrev_b64 v[0:1], v0, v[16:17]
; %bb.3834:                             ;   in Loop: Header=BB4_3167 Depth=4
	s_andn2_saveexec_b64 s[28:29], s[28:29]
; %bb.3835:                             ;   in Loop: Header=BB4_3167 Depth=4
	v_mov_b32_e32 v0, v16
	v_mov_b32_e32 v1, v17
	v_bfe_u32 v2, v16, 23, 1
; %bb.3836:                             ;   in Loop: Header=BB4_3167 Depth=4
	s_or_b64 exec, exec, s[28:29]
	v_lshrrev_b64 v[0:1], 21, v[0:1]
	v_cmp_gt_i32_e32 vcc, 32, v2
	v_cndmask_b32_e32 v1, 0, v1, vcc
	v_cndmask_b32_e32 v0, 3, v0, vcc
	v_cmp_eq_u64_e64 s[28:29], 0, v[0:1]
	v_min_i32_e32 v1, 31, v2
	v_lshlrev_b32_e32 v1, 2, v1
	v_cmp_eq_u32_e32 vcc, 0, v2
	v_and_b32_e32 v1, 0xfc, v1
	v_and_or_b32 v0, v0, 3, v1
	s_and_b64 s[28:29], vcc, s[28:29]
	v_cndmask_b32_e64 v0, v0, 0, s[28:29]
	v_or_b32_e32 v39, v0, v4
.LBB4_3837:                             ;   in Loop: Header=BB4_3167 Depth=4
	s_or_b64 exec, exec, s[36:37]
                                        ; implicit-def: $vgpr4
.LBB4_3838:                             ;   in Loop: Header=BB4_3167 Depth=4
	s_andn2_saveexec_b64 s[28:29], s[34:35]
; %bb.3839:                             ;   in Loop: Header=BB4_3167 Depth=4
	v_or_b32_e32 v39, 0x7b, v4
; %bb.3840:                             ;   in Loop: Header=BB4_3167 Depth=4
	s_or_b64 exec, exec, s[28:29]
                                        ; implicit-def: $vgpr0
.LBB4_3841:                             ;   in Loop: Header=BB4_3167 Depth=4
	s_andn2_saveexec_b64 s[28:29], s[30:31]
	s_cbranch_execz .LBB4_3847
; %bb.3842:                             ;   in Loop: Header=BB4_3167 Depth=4
	v_cmp_ne_u64_e32 vcc, 0, v[16:17]
                                        ; implicit-def: $vgpr39
	s_and_saveexec_b64 s[30:31], vcc
	s_xor_b64 vcc, exec, s[30:31]
; %bb.3843:                             ;   in Loop: Header=BB4_3167 Depth=4
	v_or_b32_sdwa v39, v0, s47 dst_sel:DWORD dst_unused:UNUSED_PAD src0_sel:BYTE_3 src1_sel:DWORD
                                        ; implicit-def: $vgpr0
; %bb.3844:                             ;   in Loop: Header=BB4_3167 Depth=4
	s_andn2_saveexec_b64 s[30:31], vcc
; %bb.3845:                             ;   in Loop: Header=BB4_3167 Depth=4
	v_cmp_lt_i32_e32 vcc, -1, v0
	v_bfrev_b32_e32 v0, 0.5
	v_cndmask_b32_e32 v39, v0, v52, vcc
; %bb.3846:                             ;   in Loop: Header=BB4_3167 Depth=4
	s_or_b64 exec, exec, s[30:31]
.LBB4_3847:                             ;   in Loop: Header=BB4_3167 Depth=4
	s_or_b64 exec, exec, s[28:29]
	v_cmp_ne_u16_sdwa vcc, v10, v17 src0_sel:BYTE_0 src1_sel:DWORD
	v_mov_b32_e32 v0, 0
	s_and_saveexec_b64 s[28:29], vcc
	s_cbranch_execz .LBB4_3855
; %bb.3848:                             ;   in Loop: Header=BB4_3167 Depth=4
	v_cmp_ne_u16_sdwa vcc, sext(v10), s97 src0_sel:BYTE_0 src1_sel:DWORD
	v_bfrev_b32_e32 v0, 1
	s_and_saveexec_b64 s[30:31], vcc
	s_cbranch_execz .LBB4_3854
; %bb.3849:                             ;   in Loop: Header=BB4_3167 Depth=4
	v_and_b32_e32 v0, 0x7c, v10
	v_and_b32_e32 v1, 3, v10
	v_cmp_ne_u32_e32 vcc, s85, v0
                                        ; implicit-def: $vgpr0
	s_and_saveexec_b64 s[34:35], vcc
	s_xor_b64 s[34:35], exec, s[34:35]
	s_cbranch_execz .LBB4_3851
; %bb.3850:                             ;   in Loop: Header=BB4_3167 Depth=4
	v_ffbh_u32_e32 v2, v1
	v_min_u32_e32 v2, 32, v2
	v_bfe_u32 v0, v10, 2, 5
	v_subrev_u32_e32 v4, 29, v2
	v_lshlrev_b64 v[7:8], v4, v[10:11]
	v_sub_u32_e32 v2, 30, v2
	v_cmp_eq_u32_e32 vcc, 0, v0
	v_cndmask_b32_e32 v0, v0, v2, vcc
	v_lshlrev_b32_e32 v2, 24, v10
	v_and_b32_e32 v4, 3, v7
	v_and_b32_e32 v2, 0x80000000, v2
	v_cndmask_b32_e32 v1, v1, v4, vcc
	v_lshl_add_u32 v0, v0, 23, v2
	v_lshl_or_b32 v0, v1, 21, v0
	v_add_u32_e32 v0, 0x38000000, v0
                                        ; implicit-def: $vgpr1
.LBB4_3851:                             ;   in Loop: Header=BB4_3167 Depth=4
	s_andn2_saveexec_b64 s[34:35], s[34:35]
; %bb.3852:                             ;   in Loop: Header=BB4_3167 Depth=4
	v_mov_b32_e32 v0, -1
	v_cmp_gt_i16_sdwa vcc, sext(v10), v0 src0_sel:BYTE_0 src1_sel:DWORD
	v_mov_b32_e32 v0, 0xff800000
	v_mov_b32_e32 v2, 0x7f800000
	v_cndmask_b32_e32 v0, v0, v2, vcc
	v_cmp_eq_u32_e32 vcc, 0, v1
	v_mov_b32_e32 v1, 0x7f800001
	v_cndmask_b32_e32 v0, v1, v0, vcc
; %bb.3853:                             ;   in Loop: Header=BB4_3167 Depth=4
	s_or_b64 exec, exec, s[34:35]
.LBB4_3854:                             ;   in Loop: Header=BB4_3167 Depth=4
	s_or_b64 exec, exec, s[30:31]
.LBB4_3855:                             ;   in Loop: Header=BB4_3167 Depth=4
	s_or_b64 exec, exec, s[28:29]
	v_mul_f32_e32 v0, v12, v0
	v_and_b32_e32 v1, 0x7f800000, v0
	v_mov_b32_e32 v2, v17
	v_cmp_ne_u64_e32 vcc, s[76:77], v[1:2]
	v_and_b32_e32 v16, 0x7fffff, v0
                                        ; implicit-def: $vgpr19
	s_and_saveexec_b64 s[28:29], vcc
	s_xor_b64 s[30:31], exec, s[28:29]
	s_cbranch_execz .LBB4_3869
; %bb.3856:                             ;   in Loop: Header=BB4_3167 Depth=4
	v_and_b32_e32 v1, 0x7fffffff, v0
	v_mov_b32_e32 v2, v17
	v_cmp_gt_u64_e32 vcc, s[78:79], v[1:2]
	v_and_b32_sdwa v4, v0, s96 dst_sel:DWORD dst_unused:UNUSED_PAD src0_sel:BYTE_3 src1_sel:DWORD
                                        ; implicit-def: $vgpr19
	s_and_saveexec_b64 s[28:29], vcc
	s_xor_b64 s[34:35], exec, s[28:29]
	s_cbranch_execz .LBB4_3866
; %bb.3857:                             ;   in Loop: Header=BB4_3167 Depth=4
	v_mov_b32_e32 v19, 0
	v_cmp_ne_u32_e32 vcc, 0, v0
	s_and_saveexec_b64 s[36:37], vcc
	s_cbranch_execz .LBB4_3865
; %bb.3858:                             ;   in Loop: Header=BB4_3167 Depth=4
	v_bfe_u32 v7, v0, 23, 8
	v_cmp_gt_u32_e64 s[28:29], s46, v7
	v_sub_u32_e32 v0, 0x71, v7
	v_cmp_eq_u32_e32 vcc, 0, v7
	v_cndmask_b32_e64 v0, 0, v0, s[28:29]
	v_mov_b32_e32 v2, 0x70
	v_cndmask_b32_e32 v8, v0, v2, vcc
	v_add_u32_e32 v2, 21, v8
	v_or_b32_e32 v1, 0x800000, v16
	v_lshlrev_b64 v[13:14], v2, -1
	v_cndmask_b32_e32 v0, v1, v16, vcc
	v_mov_b32_e32 v1, v17
	v_add_u32_e32 v2, 20, v8
	v_bfi_b32 v13, v13, 0, v0
	v_lshlrev_b64 v[15:16], v2, 1
	v_lshrrev_b64 v[0:1], v8, v[0:1]
	v_bfi_b32 v14, v14, 0, 0
	v_cmp_eq_u64_e64 s[28:29], v[13:14], v[15:16]
	v_mov_b32_e32 v2, v1
	v_mov_b32_e32 v1, v0
	s_and_saveexec_b64 s[38:39], s[28:29]
; %bb.3859:                             ;   in Loop: Header=BB4_3167 Depth=4
	v_bfe_u32 v1, v0, 21, 1
	v_add_co_u32_e64 v1, s[28:29], v0, v1
	v_add_co_u32_e64 v1, s[28:29], -1, v1
; %bb.3860:                             ;   in Loop: Header=BB4_3167 Depth=4
	s_or_b64 exec, exec, s[38:39]
	v_add_u32_e32 v2, 0xffffff81, v7
	v_mov_b32_e32 v7, 0xffffff82
	v_cndmask_b32_e32 v2, v2, v7, vcc
	v_lshrrev_b32_e32 v7, 23, v0
	v_add3_u32 v8, v8, v2, v7
	v_add_u32_e32 v7, 14, v8
	v_and_b32_e32 v1, 0x1fffff, v1
	v_add_u32_e32 v16, v1, v0
	v_cmp_ne_u32_e32 vcc, 0, v7
                                        ; implicit-def: $vgpr0_vgpr1
                                        ; implicit-def: $vgpr2
	s_and_saveexec_b64 s[28:29], vcc
	s_xor_b64 s[28:29], exec, s[28:29]
; %bb.3861:                             ;   in Loop: Header=BB4_3167 Depth=4
	v_cmp_lt_u64_e32 vcc, s[88:89], v[16:17]
	v_add_u32_e32 v0, 15, v8
	v_cndmask_b32_e32 v2, v7, v0, vcc
	v_cndmask_b32_e64 v0, 0, 1, vcc
	v_lshrrev_b64 v[0:1], v0, v[16:17]
; %bb.3862:                             ;   in Loop: Header=BB4_3167 Depth=4
	s_andn2_saveexec_b64 s[28:29], s[28:29]
; %bb.3863:                             ;   in Loop: Header=BB4_3167 Depth=4
	v_mov_b32_e32 v0, v16
	v_mov_b32_e32 v1, v17
	v_bfe_u32 v2, v16, 23, 1
; %bb.3864:                             ;   in Loop: Header=BB4_3167 Depth=4
	s_or_b64 exec, exec, s[28:29]
	v_lshrrev_b64 v[0:1], 21, v[0:1]
	v_cmp_gt_i32_e32 vcc, 32, v2
	v_cndmask_b32_e32 v1, 0, v1, vcc
	v_cndmask_b32_e32 v0, 3, v0, vcc
	v_cmp_eq_u64_e64 s[28:29], 0, v[0:1]
	v_min_i32_e32 v1, 31, v2
	v_lshlrev_b32_e32 v1, 2, v1
	v_cmp_eq_u32_e32 vcc, 0, v2
	v_and_b32_e32 v1, 0xfc, v1
	v_and_or_b32 v0, v0, 3, v1
	s_and_b64 s[28:29], vcc, s[28:29]
	v_cndmask_b32_e64 v0, v0, 0, s[28:29]
	v_or_b32_e32 v19, v0, v4
.LBB4_3865:                             ;   in Loop: Header=BB4_3167 Depth=4
	s_or_b64 exec, exec, s[36:37]
                                        ; implicit-def: $vgpr4
.LBB4_3866:                             ;   in Loop: Header=BB4_3167 Depth=4
	s_andn2_saveexec_b64 s[28:29], s[34:35]
; %bb.3867:                             ;   in Loop: Header=BB4_3167 Depth=4
	v_or_b32_e32 v19, 0x7b, v4
; %bb.3868:                             ;   in Loop: Header=BB4_3167 Depth=4
	s_or_b64 exec, exec, s[28:29]
                                        ; implicit-def: $vgpr0
.LBB4_3869:                             ;   in Loop: Header=BB4_3167 Depth=4
	s_andn2_saveexec_b64 s[28:29], s[30:31]
	s_cbranch_execz .LBB4_3875
; %bb.3870:                             ;   in Loop: Header=BB4_3167 Depth=4
	v_cmp_ne_u64_e32 vcc, 0, v[16:17]
                                        ; implicit-def: $vgpr19
	s_and_saveexec_b64 s[30:31], vcc
	s_xor_b64 vcc, exec, s[30:31]
; %bb.3871:                             ;   in Loop: Header=BB4_3167 Depth=4
	v_or_b32_sdwa v19, v0, s47 dst_sel:DWORD dst_unused:UNUSED_PAD src0_sel:BYTE_3 src1_sel:DWORD
                                        ; implicit-def: $vgpr0
; %bb.3872:                             ;   in Loop: Header=BB4_3167 Depth=4
	s_andn2_saveexec_b64 s[30:31], vcc
; %bb.3873:                             ;   in Loop: Header=BB4_3167 Depth=4
	v_cmp_lt_i32_e32 vcc, -1, v0
	v_bfrev_b32_e32 v0, 0.5
	v_cndmask_b32_e32 v19, v0, v52, vcc
; %bb.3874:                             ;   in Loop: Header=BB4_3167 Depth=4
	s_or_b64 exec, exec, s[30:31]
.LBB4_3875:                             ;   in Loop: Header=BB4_3167 Depth=4
	s_or_b64 exec, exec, s[28:29]
	v_lshrrev_b16_e32 v0, 8, v10
	v_cmp_ne_u16_e32 vcc, 0, v0
	v_mov_b32_e32 v1, 0
	s_and_saveexec_b64 s[28:29], vcc
	s_cbranch_execz .LBB4_3883
; %bb.3876:                             ;   in Loop: Header=BB4_3167 Depth=4
	v_cmp_ne_u16_e32 vcc, s96, v0
	v_bfrev_b32_e32 v1, 1
	s_and_saveexec_b64 s[30:31], vcc
	s_cbranch_execz .LBB4_3882
; %bb.3877:                             ;   in Loop: Header=BB4_3167 Depth=4
	v_and_b32_e32 v1, 0x7c, v0
	v_and_b32_e32 v2, 3, v0
	v_cmp_ne_u32_e32 vcc, s85, v1
                                        ; implicit-def: $vgpr1
	s_and_saveexec_b64 s[34:35], vcc
	s_xor_b64 s[34:35], exec, s[34:35]
	s_cbranch_execz .LBB4_3879
; %bb.3878:                             ;   in Loop: Header=BB4_3167 Depth=4
	v_ffbh_u32_e32 v7, v2
	v_min_u32_e32 v7, 32, v7
	v_mov_b32_e32 v1, v17
	v_subrev_u32_e32 v8, 29, v7
	v_bfe_u32 v4, v0, 2, 5
	v_lshlrev_b64 v[0:1], v8, v[0:1]
	v_cmp_eq_u32_e32 vcc, 0, v4
	v_and_b32_e32 v0, 3, v0
	v_sub_u32_e32 v1, 30, v7
	v_cndmask_b32_e32 v0, v2, v0, vcc
	v_lshlrev_b32_e32 v2, 16, v10
	v_cndmask_b32_e32 v1, v4, v1, vcc
	v_and_b32_e32 v2, 0x80000000, v2
	v_lshl_add_u32 v1, v1, 23, v2
	v_lshl_or_b32 v0, v0, 21, v1
	v_add_u32_e32 v1, 0x38000000, v0
                                        ; implicit-def: $vgpr2
.LBB4_3879:                             ;   in Loop: Header=BB4_3167 Depth=4
	s_andn2_saveexec_b64 s[34:35], s[34:35]
; %bb.3880:                             ;   in Loop: Header=BB4_3167 Depth=4
	v_cmp_lt_i16_e32 vcc, -1, v10
	v_mov_b32_e32 v0, 0xff800000
	v_mov_b32_e32 v1, 0x7f800000
	v_cndmask_b32_e32 v0, v0, v1, vcc
	v_cmp_eq_u32_e32 vcc, 0, v2
	v_mov_b32_e32 v1, 0x7f800001
	v_cndmask_b32_e32 v1, v1, v0, vcc
; %bb.3881:                             ;   in Loop: Header=BB4_3167 Depth=4
	s_or_b64 exec, exec, s[34:35]
.LBB4_3882:                             ;   in Loop: Header=BB4_3167 Depth=4
	s_or_b64 exec, exec, s[30:31]
.LBB4_3883:                             ;   in Loop: Header=BB4_3167 Depth=4
	s_or_b64 exec, exec, s[28:29]
	v_mul_f32_e32 v0, v12, v1
	v_and_b32_e32 v1, 0x7f800000, v0
	v_mov_b32_e32 v2, v17
	v_cmp_ne_u64_e32 vcc, s[76:77], v[1:2]
	v_and_b32_e32 v16, 0x7fffff, v0
                                        ; implicit-def: $vgpr25
	s_and_saveexec_b64 s[28:29], vcc
	s_xor_b64 s[30:31], exec, s[28:29]
	s_cbranch_execz .LBB4_3897
; %bb.3884:                             ;   in Loop: Header=BB4_3167 Depth=4
	v_and_b32_e32 v1, 0x7fffffff, v0
	v_mov_b32_e32 v2, v17
	v_cmp_gt_u64_e32 vcc, s[78:79], v[1:2]
	v_and_b32_sdwa v4, v0, s96 dst_sel:DWORD dst_unused:UNUSED_PAD src0_sel:BYTE_3 src1_sel:DWORD
                                        ; implicit-def: $vgpr25
	s_and_saveexec_b64 s[28:29], vcc
	s_xor_b64 s[34:35], exec, s[28:29]
	s_cbranch_execz .LBB4_3894
; %bb.3885:                             ;   in Loop: Header=BB4_3167 Depth=4
	v_mov_b32_e32 v25, 0
	v_cmp_ne_u32_e32 vcc, 0, v0
	s_and_saveexec_b64 s[36:37], vcc
	s_cbranch_execz .LBB4_3893
; %bb.3886:                             ;   in Loop: Header=BB4_3167 Depth=4
	v_bfe_u32 v7, v0, 23, 8
	v_cmp_gt_u32_e64 s[28:29], s46, v7
	v_sub_u32_e32 v0, 0x71, v7
	v_cmp_eq_u32_e32 vcc, 0, v7
	v_cndmask_b32_e64 v0, 0, v0, s[28:29]
	v_mov_b32_e32 v2, 0x70
	v_cndmask_b32_e32 v8, v0, v2, vcc
	v_add_u32_e32 v2, 21, v8
	v_or_b32_e32 v1, 0x800000, v16
	v_lshlrev_b64 v[13:14], v2, -1
	v_cndmask_b32_e32 v0, v1, v16, vcc
	v_mov_b32_e32 v1, v17
	v_add_u32_e32 v2, 20, v8
	v_bfi_b32 v13, v13, 0, v0
	v_lshlrev_b64 v[15:16], v2, 1
	v_lshrrev_b64 v[0:1], v8, v[0:1]
	v_bfi_b32 v14, v14, 0, 0
	v_cmp_eq_u64_e64 s[28:29], v[13:14], v[15:16]
	v_mov_b32_e32 v2, v1
	v_mov_b32_e32 v1, v0
	s_and_saveexec_b64 s[38:39], s[28:29]
; %bb.3887:                             ;   in Loop: Header=BB4_3167 Depth=4
	v_bfe_u32 v1, v0, 21, 1
	v_add_co_u32_e64 v1, s[28:29], v0, v1
	v_add_co_u32_e64 v1, s[28:29], -1, v1
; %bb.3888:                             ;   in Loop: Header=BB4_3167 Depth=4
	s_or_b64 exec, exec, s[38:39]
	v_add_u32_e32 v2, 0xffffff81, v7
	v_mov_b32_e32 v7, 0xffffff82
	v_cndmask_b32_e32 v2, v2, v7, vcc
	v_lshrrev_b32_e32 v7, 23, v0
	v_add3_u32 v8, v8, v2, v7
	v_add_u32_e32 v7, 14, v8
	v_and_b32_e32 v1, 0x1fffff, v1
	v_add_u32_e32 v16, v1, v0
	v_cmp_ne_u32_e32 vcc, 0, v7
                                        ; implicit-def: $vgpr0_vgpr1
                                        ; implicit-def: $vgpr2
	s_and_saveexec_b64 s[28:29], vcc
	s_xor_b64 s[28:29], exec, s[28:29]
; %bb.3889:                             ;   in Loop: Header=BB4_3167 Depth=4
	v_cmp_lt_u64_e32 vcc, s[88:89], v[16:17]
	v_add_u32_e32 v0, 15, v8
	v_cndmask_b32_e32 v2, v7, v0, vcc
	v_cndmask_b32_e64 v0, 0, 1, vcc
	v_lshrrev_b64 v[0:1], v0, v[16:17]
; %bb.3890:                             ;   in Loop: Header=BB4_3167 Depth=4
	s_andn2_saveexec_b64 s[28:29], s[28:29]
; %bb.3891:                             ;   in Loop: Header=BB4_3167 Depth=4
	v_mov_b32_e32 v0, v16
	v_mov_b32_e32 v1, v17
	v_bfe_u32 v2, v16, 23, 1
; %bb.3892:                             ;   in Loop: Header=BB4_3167 Depth=4
	s_or_b64 exec, exec, s[28:29]
	v_lshrrev_b64 v[0:1], 21, v[0:1]
	v_cmp_gt_i32_e32 vcc, 32, v2
	v_cndmask_b32_e32 v1, 0, v1, vcc
	v_cndmask_b32_e32 v0, 3, v0, vcc
	v_cmp_eq_u64_e64 s[28:29], 0, v[0:1]
	v_min_i32_e32 v1, 31, v2
	v_lshlrev_b32_e32 v1, 2, v1
	v_cmp_eq_u32_e32 vcc, 0, v2
	v_and_b32_e32 v1, 0xfc, v1
	v_and_or_b32 v0, v0, 3, v1
	s_and_b64 s[28:29], vcc, s[28:29]
	v_cndmask_b32_e64 v0, v0, 0, s[28:29]
	v_or_b32_e32 v25, v0, v4
.LBB4_3893:                             ;   in Loop: Header=BB4_3167 Depth=4
	s_or_b64 exec, exec, s[36:37]
                                        ; implicit-def: $vgpr4
.LBB4_3894:                             ;   in Loop: Header=BB4_3167 Depth=4
	s_andn2_saveexec_b64 s[28:29], s[34:35]
; %bb.3895:                             ;   in Loop: Header=BB4_3167 Depth=4
	v_or_b32_e32 v25, 0x7b, v4
; %bb.3896:                             ;   in Loop: Header=BB4_3167 Depth=4
	s_or_b64 exec, exec, s[28:29]
                                        ; implicit-def: $vgpr0
.LBB4_3897:                             ;   in Loop: Header=BB4_3167 Depth=4
	s_andn2_saveexec_b64 s[28:29], s[30:31]
	s_cbranch_execz .LBB4_3903
; %bb.3898:                             ;   in Loop: Header=BB4_3167 Depth=4
	v_cmp_ne_u64_e32 vcc, 0, v[16:17]
                                        ; implicit-def: $vgpr25
	s_and_saveexec_b64 s[30:31], vcc
	s_xor_b64 vcc, exec, s[30:31]
; %bb.3899:                             ;   in Loop: Header=BB4_3167 Depth=4
	v_or_b32_sdwa v25, v0, s47 dst_sel:DWORD dst_unused:UNUSED_PAD src0_sel:BYTE_3 src1_sel:DWORD
                                        ; implicit-def: $vgpr0
; %bb.3900:                             ;   in Loop: Header=BB4_3167 Depth=4
	s_andn2_saveexec_b64 s[30:31], vcc
; %bb.3901:                             ;   in Loop: Header=BB4_3167 Depth=4
	v_cmp_lt_i32_e32 vcc, -1, v0
	v_bfrev_b32_e32 v0, 0.5
	v_cndmask_b32_e32 v25, v0, v52, vcc
; %bb.3902:                             ;   in Loop: Header=BB4_3167 Depth=4
	s_or_b64 exec, exec, s[30:31]
.LBB4_3903:                             ;   in Loop: Header=BB4_3167 Depth=4
	s_or_b64 exec, exec, s[28:29]
	v_lshrrev_b32_e32 v0, 16, v10
	v_cmp_ne_u16_sdwa vcc, v0, v17 src0_sel:BYTE_0 src1_sel:DWORD
	v_mov_b32_e32 v1, 0
	s_and_saveexec_b64 s[28:29], vcc
	s_cbranch_execz .LBB4_3911
; %bb.3904:                             ;   in Loop: Header=BB4_3167 Depth=4
	v_cmp_ne_u16_sdwa vcc, v0, s96 src0_sel:BYTE_0 src1_sel:DWORD
	v_bfrev_b32_e32 v1, 1
	s_and_saveexec_b64 s[30:31], vcc
	s_cbranch_execz .LBB4_3910
; %bb.3905:                             ;   in Loop: Header=BB4_3167 Depth=4
	v_and_b32_e32 v1, 0x7c0000, v10
	v_bfe_u32 v2, v10, 16, 2
	v_cmp_ne_u32_e32 vcc, s44, v1
                                        ; implicit-def: $vgpr1
	s_and_saveexec_b64 s[34:35], vcc
	s_xor_b64 s[34:35], exec, s[34:35]
	s_cbranch_execz .LBB4_3907
; %bb.3906:                             ;   in Loop: Header=BB4_3167 Depth=4
	v_ffbh_u32_e32 v1, v2
	v_min_u32_e32 v7, 32, v1
	v_subrev_u32_e32 v1, 29, v7
	v_lshlrev_b64 v[0:1], v1, v[0:1]
	v_bfe_u32 v4, v10, 18, 5
	v_and_b32_e32 v0, 3, v0
	v_cmp_eq_u32_e32 vcc, 0, v4
	v_sub_u32_e32 v1, 30, v7
	v_cndmask_b32_e32 v0, v2, v0, vcc
	v_lshlrev_b32_e32 v2, 8, v10
	v_cndmask_b32_e32 v1, v4, v1, vcc
	v_and_b32_e32 v2, 0x80000000, v2
	v_lshl_add_u32 v1, v1, 23, v2
	v_lshl_or_b32 v0, v0, 21, v1
	v_add_u32_e32 v1, 0x38000000, v0
                                        ; implicit-def: $vgpr2
                                        ; implicit-def: $vgpr0
.LBB4_3907:                             ;   in Loop: Header=BB4_3167 Depth=4
	s_andn2_saveexec_b64 s[34:35], s[34:35]
; %bb.3908:                             ;   in Loop: Header=BB4_3167 Depth=4
	v_mov_b32_e32 v1, -1
	v_cmp_gt_i16_sdwa vcc, sext(v0), v1 src0_sel:BYTE_0 src1_sel:DWORD
	v_mov_b32_e32 v0, 0xff800000
	v_mov_b32_e32 v1, 0x7f800000
	v_cndmask_b32_e32 v0, v0, v1, vcc
	v_cmp_eq_u32_e32 vcc, 0, v2
	v_mov_b32_e32 v1, 0x7f800001
	v_cndmask_b32_e32 v1, v1, v0, vcc
; %bb.3909:                             ;   in Loop: Header=BB4_3167 Depth=4
	s_or_b64 exec, exec, s[34:35]
.LBB4_3910:                             ;   in Loop: Header=BB4_3167 Depth=4
	s_or_b64 exec, exec, s[30:31]
.LBB4_3911:                             ;   in Loop: Header=BB4_3167 Depth=4
	s_or_b64 exec, exec, s[28:29]
	v_mul_f32_e32 v0, v12, v1
	v_and_b32_e32 v1, 0x7f800000, v0
	v_mov_b32_e32 v2, v17
	v_cmp_ne_u64_e32 vcc, s[76:77], v[1:2]
	v_and_b32_e32 v16, 0x7fffff, v0
                                        ; implicit-def: $vgpr27
	s_and_saveexec_b64 s[28:29], vcc
	s_xor_b64 s[30:31], exec, s[28:29]
	s_cbranch_execz .LBB4_3925
; %bb.3912:                             ;   in Loop: Header=BB4_3167 Depth=4
	v_and_b32_e32 v1, 0x7fffffff, v0
	v_mov_b32_e32 v2, v17
	v_cmp_gt_u64_e32 vcc, s[78:79], v[1:2]
	v_and_b32_sdwa v4, v0, s96 dst_sel:DWORD dst_unused:UNUSED_PAD src0_sel:BYTE_3 src1_sel:DWORD
                                        ; implicit-def: $vgpr27
	s_and_saveexec_b64 s[28:29], vcc
	s_xor_b64 s[34:35], exec, s[28:29]
	s_cbranch_execz .LBB4_3922
; %bb.3913:                             ;   in Loop: Header=BB4_3167 Depth=4
	v_mov_b32_e32 v27, 0
	v_cmp_ne_u32_e32 vcc, 0, v0
	s_and_saveexec_b64 s[36:37], vcc
	s_cbranch_execz .LBB4_3921
; %bb.3914:                             ;   in Loop: Header=BB4_3167 Depth=4
	v_bfe_u32 v7, v0, 23, 8
	v_cmp_gt_u32_e64 s[28:29], s46, v7
	v_sub_u32_e32 v0, 0x71, v7
	v_cmp_eq_u32_e32 vcc, 0, v7
	v_cndmask_b32_e64 v0, 0, v0, s[28:29]
	v_mov_b32_e32 v2, 0x70
	v_cndmask_b32_e32 v8, v0, v2, vcc
	v_add_u32_e32 v2, 21, v8
	v_or_b32_e32 v1, 0x800000, v16
	v_lshlrev_b64 v[13:14], v2, -1
	v_cndmask_b32_e32 v0, v1, v16, vcc
	v_mov_b32_e32 v1, v17
	v_add_u32_e32 v2, 20, v8
	v_bfi_b32 v13, v13, 0, v0
	v_lshlrev_b64 v[15:16], v2, 1
	v_lshrrev_b64 v[0:1], v8, v[0:1]
	v_bfi_b32 v14, v14, 0, 0
	v_cmp_eq_u64_e64 s[28:29], v[13:14], v[15:16]
	v_mov_b32_e32 v2, v1
	v_mov_b32_e32 v1, v0
	s_and_saveexec_b64 s[38:39], s[28:29]
; %bb.3915:                             ;   in Loop: Header=BB4_3167 Depth=4
	v_bfe_u32 v1, v0, 21, 1
	v_add_co_u32_e64 v1, s[28:29], v0, v1
	v_add_co_u32_e64 v1, s[28:29], -1, v1
; %bb.3916:                             ;   in Loop: Header=BB4_3167 Depth=4
	s_or_b64 exec, exec, s[38:39]
	v_add_u32_e32 v2, 0xffffff81, v7
	v_mov_b32_e32 v7, 0xffffff82
	v_cndmask_b32_e32 v2, v2, v7, vcc
	v_lshrrev_b32_e32 v7, 23, v0
	v_add3_u32 v8, v8, v2, v7
	v_add_u32_e32 v7, 14, v8
	v_and_b32_e32 v1, 0x1fffff, v1
	v_add_u32_e32 v16, v1, v0
	v_cmp_ne_u32_e32 vcc, 0, v7
                                        ; implicit-def: $vgpr0_vgpr1
                                        ; implicit-def: $vgpr2
	s_and_saveexec_b64 s[28:29], vcc
	s_xor_b64 s[28:29], exec, s[28:29]
; %bb.3917:                             ;   in Loop: Header=BB4_3167 Depth=4
	v_cmp_lt_u64_e32 vcc, s[88:89], v[16:17]
	v_add_u32_e32 v0, 15, v8
	v_cndmask_b32_e32 v2, v7, v0, vcc
	v_cndmask_b32_e64 v0, 0, 1, vcc
	v_lshrrev_b64 v[0:1], v0, v[16:17]
; %bb.3918:                             ;   in Loop: Header=BB4_3167 Depth=4
	s_andn2_saveexec_b64 s[28:29], s[28:29]
; %bb.3919:                             ;   in Loop: Header=BB4_3167 Depth=4
	v_mov_b32_e32 v0, v16
	v_mov_b32_e32 v1, v17
	v_bfe_u32 v2, v16, 23, 1
; %bb.3920:                             ;   in Loop: Header=BB4_3167 Depth=4
	s_or_b64 exec, exec, s[28:29]
	v_lshrrev_b64 v[0:1], 21, v[0:1]
	v_cmp_gt_i32_e32 vcc, 32, v2
	v_cndmask_b32_e32 v1, 0, v1, vcc
	v_cndmask_b32_e32 v0, 3, v0, vcc
	v_cmp_eq_u64_e64 s[28:29], 0, v[0:1]
	v_min_i32_e32 v1, 31, v2
	v_lshlrev_b32_e32 v1, 2, v1
	v_cmp_eq_u32_e32 vcc, 0, v2
	v_and_b32_e32 v1, 0xfc, v1
	v_and_or_b32 v0, v0, 3, v1
	s_and_b64 s[28:29], vcc, s[28:29]
	v_cndmask_b32_e64 v0, v0, 0, s[28:29]
	v_or_b32_e32 v27, v0, v4
.LBB4_3921:                             ;   in Loop: Header=BB4_3167 Depth=4
	s_or_b64 exec, exec, s[36:37]
                                        ; implicit-def: $vgpr4
.LBB4_3922:                             ;   in Loop: Header=BB4_3167 Depth=4
	s_andn2_saveexec_b64 s[28:29], s[34:35]
; %bb.3923:                             ;   in Loop: Header=BB4_3167 Depth=4
	v_or_b32_e32 v27, 0x7b, v4
; %bb.3924:                             ;   in Loop: Header=BB4_3167 Depth=4
	s_or_b64 exec, exec, s[28:29]
                                        ; implicit-def: $vgpr0
.LBB4_3925:                             ;   in Loop: Header=BB4_3167 Depth=4
	s_andn2_saveexec_b64 s[28:29], s[30:31]
	s_cbranch_execz .LBB4_3931
; %bb.3926:                             ;   in Loop: Header=BB4_3167 Depth=4
	v_cmp_ne_u64_e32 vcc, 0, v[16:17]
                                        ; implicit-def: $vgpr27
	s_and_saveexec_b64 s[30:31], vcc
	s_xor_b64 vcc, exec, s[30:31]
; %bb.3927:                             ;   in Loop: Header=BB4_3167 Depth=4
	v_or_b32_sdwa v27, v0, s47 dst_sel:DWORD dst_unused:UNUSED_PAD src0_sel:BYTE_3 src1_sel:DWORD
                                        ; implicit-def: $vgpr0
; %bb.3928:                             ;   in Loop: Header=BB4_3167 Depth=4
	s_andn2_saveexec_b64 s[30:31], vcc
; %bb.3929:                             ;   in Loop: Header=BB4_3167 Depth=4
	v_cmp_lt_i32_e32 vcc, -1, v0
	v_bfrev_b32_e32 v0, 0.5
	v_cndmask_b32_e32 v27, v0, v52, vcc
; %bb.3930:                             ;   in Loop: Header=BB4_3167 Depth=4
	s_or_b64 exec, exec, s[30:31]
.LBB4_3931:                             ;   in Loop: Header=BB4_3167 Depth=4
	s_or_b64 exec, exec, s[28:29]
	v_cmp_lt_u32_e32 vcc, s57, v10
	v_mov_b32_e32 v1, 0
	s_and_saveexec_b64 s[28:29], vcc
	s_cbranch_execz .LBB4_3939
; %bb.3932:                             ;   in Loop: Header=BB4_3167 Depth=4
	v_lshrrev_b32_e32 v0, 24, v10
	v_cmp_ne_u32_e32 vcc, s96, v0
	v_bfrev_b32_e32 v1, 1
	s_and_saveexec_b64 s[30:31], vcc
	s_cbranch_execz .LBB4_3938
; %bb.3933:                             ;   in Loop: Header=BB4_3167 Depth=4
	v_and_b32_e32 v1, 0x7c000000, v10
	v_bfe_u32 v2, v10, 24, 2
	v_cmp_ne_u32_e32 vcc, s45, v1
                                        ; implicit-def: $vgpr1
	s_and_saveexec_b64 s[34:35], vcc
	s_xor_b64 s[34:35], exec, s[34:35]
	s_cbranch_execz .LBB4_3935
; %bb.3934:                             ;   in Loop: Header=BB4_3167 Depth=4
	v_ffbh_u32_e32 v1, v2
	v_min_u32_e32 v7, 32, v1
	v_subrev_u32_e32 v1, 29, v7
	v_lshlrev_b64 v[0:1], v1, v[0:1]
	v_bfe_u32 v4, v10, 26, 5
	v_sub_u32_e32 v1, 30, v7
	v_and_b32_e32 v0, 3, v0
	v_cmp_eq_u32_e32 vcc, 0, v4
	v_cndmask_b32_e32 v1, v4, v1, vcc
	v_cndmask_b32_e32 v0, v2, v0, vcc
	v_and_b32_e32 v2, 0x80000000, v10
	v_lshl_add_u32 v1, v1, 23, v2
	v_lshl_or_b32 v0, v0, 21, v1
	v_add_u32_e32 v1, 0x38000000, v0
                                        ; implicit-def: $vgpr2
.LBB4_3935:                             ;   in Loop: Header=BB4_3167 Depth=4
	s_andn2_saveexec_b64 s[34:35], s[34:35]
; %bb.3936:                             ;   in Loop: Header=BB4_3167 Depth=4
	v_cmp_lt_i32_e32 vcc, -1, v10
	v_mov_b32_e32 v0, 0xff800000
	v_mov_b32_e32 v1, 0x7f800000
	v_cndmask_b32_e32 v0, v0, v1, vcc
	v_cmp_eq_u32_e32 vcc, 0, v2
	v_mov_b32_e32 v1, 0x7f800001
	v_cndmask_b32_e32 v1, v1, v0, vcc
; %bb.3937:                             ;   in Loop: Header=BB4_3167 Depth=4
	s_or_b64 exec, exec, s[34:35]
.LBB4_3938:                             ;   in Loop: Header=BB4_3167 Depth=4
	s_or_b64 exec, exec, s[30:31]
.LBB4_3939:                             ;   in Loop: Header=BB4_3167 Depth=4
	s_or_b64 exec, exec, s[28:29]
	v_mul_f32_e32 v0, v12, v1
	v_and_b32_e32 v1, 0x7f800000, v0
	v_mov_b32_e32 v2, v17
	v_cmp_ne_u64_e32 vcc, s[76:77], v[1:2]
	v_and_b32_e32 v16, 0x7fffff, v0
                                        ; implicit-def: $vgpr34
	s_and_saveexec_b64 s[28:29], vcc
	s_xor_b64 s[30:31], exec, s[28:29]
	s_cbranch_execz .LBB4_3953
; %bb.3940:                             ;   in Loop: Header=BB4_3167 Depth=4
	v_and_b32_e32 v1, 0x7fffffff, v0
	v_mov_b32_e32 v2, v17
	v_cmp_gt_u64_e32 vcc, s[78:79], v[1:2]
	v_and_b32_sdwa v4, v0, s96 dst_sel:DWORD dst_unused:UNUSED_PAD src0_sel:BYTE_3 src1_sel:DWORD
                                        ; implicit-def: $vgpr34
	s_and_saveexec_b64 s[28:29], vcc
	s_xor_b64 s[34:35], exec, s[28:29]
	s_cbranch_execz .LBB4_3950
; %bb.3941:                             ;   in Loop: Header=BB4_3167 Depth=4
	v_mov_b32_e32 v34, 0
	v_cmp_ne_u32_e32 vcc, 0, v0
	s_and_saveexec_b64 s[36:37], vcc
	s_cbranch_execz .LBB4_3949
; %bb.3942:                             ;   in Loop: Header=BB4_3167 Depth=4
	v_bfe_u32 v7, v0, 23, 8
	v_cmp_gt_u32_e64 s[28:29], s46, v7
	v_sub_u32_e32 v0, 0x71, v7
	v_cmp_eq_u32_e32 vcc, 0, v7
	v_cndmask_b32_e64 v0, 0, v0, s[28:29]
	v_mov_b32_e32 v2, 0x70
	v_cndmask_b32_e32 v8, v0, v2, vcc
	v_add_u32_e32 v2, 21, v8
	v_or_b32_e32 v1, 0x800000, v16
	v_lshlrev_b64 v[13:14], v2, -1
	v_cndmask_b32_e32 v0, v1, v16, vcc
	v_mov_b32_e32 v1, v17
	v_add_u32_e32 v2, 20, v8
	v_bfi_b32 v13, v13, 0, v0
	v_lshlrev_b64 v[15:16], v2, 1
	v_lshrrev_b64 v[0:1], v8, v[0:1]
	v_bfi_b32 v14, v14, 0, 0
	v_cmp_eq_u64_e64 s[28:29], v[13:14], v[15:16]
	v_mov_b32_e32 v2, v1
	v_mov_b32_e32 v1, v0
	s_and_saveexec_b64 s[38:39], s[28:29]
; %bb.3943:                             ;   in Loop: Header=BB4_3167 Depth=4
	v_bfe_u32 v1, v0, 21, 1
	v_add_co_u32_e64 v1, s[28:29], v0, v1
	v_add_co_u32_e64 v1, s[28:29], -1, v1
; %bb.3944:                             ;   in Loop: Header=BB4_3167 Depth=4
	s_or_b64 exec, exec, s[38:39]
	v_add_u32_e32 v2, 0xffffff81, v7
	v_mov_b32_e32 v7, 0xffffff82
	v_cndmask_b32_e32 v2, v2, v7, vcc
	v_lshrrev_b32_e32 v7, 23, v0
	v_add3_u32 v8, v8, v2, v7
	v_add_u32_e32 v7, 14, v8
	v_and_b32_e32 v1, 0x1fffff, v1
	v_add_u32_e32 v16, v1, v0
	v_cmp_ne_u32_e32 vcc, 0, v7
                                        ; implicit-def: $vgpr0_vgpr1
                                        ; implicit-def: $vgpr2
	s_and_saveexec_b64 s[28:29], vcc
	s_xor_b64 s[28:29], exec, s[28:29]
; %bb.3945:                             ;   in Loop: Header=BB4_3167 Depth=4
	v_cmp_lt_u64_e32 vcc, s[88:89], v[16:17]
	v_add_u32_e32 v0, 15, v8
	v_cndmask_b32_e32 v2, v7, v0, vcc
	v_cndmask_b32_e64 v0, 0, 1, vcc
	v_lshrrev_b64 v[0:1], v0, v[16:17]
; %bb.3946:                             ;   in Loop: Header=BB4_3167 Depth=4
	s_andn2_saveexec_b64 s[28:29], s[28:29]
; %bb.3947:                             ;   in Loop: Header=BB4_3167 Depth=4
	v_mov_b32_e32 v0, v16
	v_mov_b32_e32 v1, v17
	v_bfe_u32 v2, v16, 23, 1
; %bb.3948:                             ;   in Loop: Header=BB4_3167 Depth=4
	s_or_b64 exec, exec, s[28:29]
	v_lshrrev_b64 v[0:1], 21, v[0:1]
	v_cmp_gt_i32_e32 vcc, 32, v2
	v_cndmask_b32_e32 v1, 0, v1, vcc
	v_cndmask_b32_e32 v0, 3, v0, vcc
	v_cmp_eq_u64_e64 s[28:29], 0, v[0:1]
	v_min_i32_e32 v1, 31, v2
	v_lshlrev_b32_e32 v1, 2, v1
	v_cmp_eq_u32_e32 vcc, 0, v2
	v_and_b32_e32 v1, 0xfc, v1
	v_and_or_b32 v0, v0, 3, v1
	s_and_b64 s[28:29], vcc, s[28:29]
	v_cndmask_b32_e64 v0, v0, 0, s[28:29]
	v_or_b32_e32 v34, v0, v4
.LBB4_3949:                             ;   in Loop: Header=BB4_3167 Depth=4
	s_or_b64 exec, exec, s[36:37]
                                        ; implicit-def: $vgpr4
.LBB4_3950:                             ;   in Loop: Header=BB4_3167 Depth=4
	s_andn2_saveexec_b64 s[28:29], s[34:35]
; %bb.3951:                             ;   in Loop: Header=BB4_3167 Depth=4
	v_or_b32_e32 v34, 0x7b, v4
; %bb.3952:                             ;   in Loop: Header=BB4_3167 Depth=4
	s_or_b64 exec, exec, s[28:29]
                                        ; implicit-def: $vgpr0
.LBB4_3953:                             ;   in Loop: Header=BB4_3167 Depth=4
	s_andn2_saveexec_b64 s[28:29], s[30:31]
	s_cbranch_execz .LBB4_3959
; %bb.3954:                             ;   in Loop: Header=BB4_3167 Depth=4
	v_cmp_ne_u64_e32 vcc, 0, v[16:17]
                                        ; implicit-def: $vgpr34
	s_and_saveexec_b64 s[30:31], vcc
	s_xor_b64 vcc, exec, s[30:31]
; %bb.3955:                             ;   in Loop: Header=BB4_3167 Depth=4
	v_or_b32_sdwa v34, v0, s47 dst_sel:DWORD dst_unused:UNUSED_PAD src0_sel:BYTE_3 src1_sel:DWORD
                                        ; implicit-def: $vgpr0
; %bb.3956:                             ;   in Loop: Header=BB4_3167 Depth=4
	s_andn2_saveexec_b64 s[30:31], vcc
; %bb.3957:                             ;   in Loop: Header=BB4_3167 Depth=4
	v_cmp_lt_i32_e32 vcc, -1, v0
	v_bfrev_b32_e32 v0, 0.5
	v_cndmask_b32_e32 v34, v0, v52, vcc
; %bb.3958:                             ;   in Loop: Header=BB4_3167 Depth=4
	s_or_b64 exec, exec, s[30:31]
.LBB4_3959:                             ;   in Loop: Header=BB4_3167 Depth=4
	s_or_b64 exec, exec, s[28:29]
	v_mov_b32_e32 v16, v11
	v_cmp_ne_u16_sdwa vcc, v11, v17 src0_sel:BYTE_0 src1_sel:DWORD
	v_mov_b32_e32 v0, 0
	s_and_saveexec_b64 s[28:29], vcc
	s_cbranch_execz .LBB4_3967
; %bb.3960:                             ;   in Loop: Header=BB4_3167 Depth=4
	v_cmp_ne_u16_sdwa vcc, v11, s96 src0_sel:BYTE_0 src1_sel:DWORD
	v_bfrev_b32_e32 v0, 1
	s_and_saveexec_b64 s[30:31], vcc
	s_cbranch_execz .LBB4_3966
; %bb.3961:                             ;   in Loop: Header=BB4_3167 Depth=4
	v_and_b32_e32 v0, 0x7c, v11
	v_and_b32_e32 v1, 3, v11
	v_cmp_ne_u32_e32 vcc, s85, v0
                                        ; implicit-def: $vgpr0
	s_and_saveexec_b64 s[34:35], vcc
	s_xor_b64 s[34:35], exec, s[34:35]
	s_cbranch_execz .LBB4_3963
; %bb.3962:                             ;   in Loop: Header=BB4_3167 Depth=4
	v_ffbh_u32_e32 v2, v1
	v_min_u32_e32 v2, 32, v2
	v_bfe_u32 v0, v11, 2, 5
	v_subrev_u32_e32 v4, 29, v2
	v_lshlrev_b64 v[7:8], v4, v[16:17]
	v_sub_u32_e32 v2, 30, v2
	v_cmp_eq_u32_e32 vcc, 0, v0
	v_cndmask_b32_e32 v0, v0, v2, vcc
	v_lshlrev_b32_e32 v2, 24, v11
	v_and_b32_e32 v4, 3, v7
	v_and_b32_e32 v2, 0x80000000, v2
	v_cndmask_b32_e32 v1, v1, v4, vcc
	v_lshl_add_u32 v0, v0, 23, v2
	v_lshl_or_b32 v0, v1, 21, v0
	v_add_u32_e32 v0, 0x38000000, v0
                                        ; implicit-def: $vgpr1
.LBB4_3963:                             ;   in Loop: Header=BB4_3167 Depth=4
	s_andn2_saveexec_b64 s[34:35], s[34:35]
; %bb.3964:                             ;   in Loop: Header=BB4_3167 Depth=4
	v_mov_b32_e32 v0, -1
	v_cmp_gt_i16_sdwa vcc, sext(v11), v0 src0_sel:BYTE_0 src1_sel:DWORD
	v_mov_b32_e32 v0, 0xff800000
	v_mov_b32_e32 v2, 0x7f800000
	v_cndmask_b32_e32 v0, v0, v2, vcc
	v_cmp_eq_u32_e32 vcc, 0, v1
	v_mov_b32_e32 v1, 0x7f800001
	v_cndmask_b32_e32 v0, v1, v0, vcc
; %bb.3965:                             ;   in Loop: Header=BB4_3167 Depth=4
	s_or_b64 exec, exec, s[34:35]
.LBB4_3966:                             ;   in Loop: Header=BB4_3167 Depth=4
	s_or_b64 exec, exec, s[30:31]
.LBB4_3967:                             ;   in Loop: Header=BB4_3167 Depth=4
	s_or_b64 exec, exec, s[28:29]
	v_mul_f32_e32 v2, v12, v0
	v_and_b32_e32 v7, 0x7f800000, v2
	v_mov_b32_e32 v8, v17
	v_cmp_ne_u64_e32 vcc, s[76:77], v[7:8]
	v_and_b32_e32 v0, 0x7fffff, v2
	v_mov_b32_e32 v1, v17
                                        ; implicit-def: $vgpr7
	s_and_saveexec_b64 s[28:29], vcc
	s_xor_b64 s[30:31], exec, s[28:29]
	s_cbranch_execz .LBB4_3981
; %bb.3968:                             ;   in Loop: Header=BB4_3167 Depth=4
	v_and_b32_e32 v7, 0x7fffffff, v2
	v_mov_b32_e32 v8, v17
	v_cmp_gt_u64_e32 vcc, s[78:79], v[7:8]
	v_and_b32_sdwa v4, v2, s96 dst_sel:DWORD dst_unused:UNUSED_PAD src0_sel:BYTE_3 src1_sel:DWORD
                                        ; implicit-def: $vgpr7
	s_and_saveexec_b64 s[28:29], vcc
	s_xor_b64 s[34:35], exec, s[28:29]
	s_cbranch_execz .LBB4_3978
; %bb.3969:                             ;   in Loop: Header=BB4_3167 Depth=4
	v_mov_b32_e32 v7, 0
	v_cmp_ne_u32_e32 vcc, 0, v2
	s_and_saveexec_b64 s[36:37], vcc
	s_cbranch_execz .LBB4_3977
; %bb.3970:                             ;   in Loop: Header=BB4_3167 Depth=4
	v_bfe_u32 v7, v2, 23, 8
	v_cmp_gt_u32_e64 s[28:29], s46, v7
	v_sub_u32_e32 v2, 0x71, v7
	v_cmp_eq_u32_e32 vcc, 0, v7
	v_cndmask_b32_e64 v2, 0, v2, s[28:29]
	v_mov_b32_e32 v8, 0x70
	v_cndmask_b32_e32 v8, v2, v8, vcc
	v_add_u32_e32 v2, 21, v8
	v_or_b32_e32 v9, 0x800000, v0
	v_lshlrev_b64 v[13:14], v2, -1
	v_cndmask_b32_e32 v0, v9, v0, vcc
	v_add_u32_e32 v2, 20, v8
	v_bfi_b32 v13, v13, 0, v0
	v_lshlrev_b64 v[40:41], v2, 1
	v_lshrrev_b64 v[0:1], v8, v[0:1]
	v_bfi_b32 v14, v14, 0, 0
	v_cmp_eq_u64_e64 s[28:29], v[13:14], v[40:41]
	v_mov_b32_e32 v2, v1
	v_mov_b32_e32 v1, v0
	s_and_saveexec_b64 s[38:39], s[28:29]
; %bb.3971:                             ;   in Loop: Header=BB4_3167 Depth=4
	v_bfe_u32 v1, v0, 21, 1
	v_add_co_u32_e64 v1, s[28:29], v0, v1
	v_add_co_u32_e64 v1, s[28:29], -1, v1
; %bb.3972:                             ;   in Loop: Header=BB4_3167 Depth=4
	s_or_b64 exec, exec, s[38:39]
	v_add_u32_e32 v2, 0xffffff81, v7
	v_mov_b32_e32 v7, 0xffffff82
	v_cndmask_b32_e32 v2, v2, v7, vcc
	v_lshrrev_b32_e32 v7, 23, v0
	v_add3_u32 v8, v8, v2, v7
	v_add_u32_e32 v7, 14, v8
	v_and_b32_e32 v1, 0x1fffff, v1
	v_add_u32_e32 v0, v1, v0
	v_mov_b32_e32 v1, v17
	v_cmp_ne_u32_e32 vcc, 0, v7
                                        ; implicit-def: $vgpr2
	s_and_saveexec_b64 s[28:29], vcc
	s_xor_b64 s[28:29], exec, s[28:29]
; %bb.3973:                             ;   in Loop: Header=BB4_3167 Depth=4
	v_cmp_lt_u64_e32 vcc, s[88:89], v[0:1]
	v_add_u32_e32 v2, 15, v8
	v_cndmask_b32_e32 v2, v7, v2, vcc
	v_cndmask_b32_e64 v7, 0, 1, vcc
	v_lshrrev_b64 v[0:1], v7, v[0:1]
; %bb.3974:                             ;   in Loop: Header=BB4_3167 Depth=4
	s_andn2_saveexec_b64 s[28:29], s[28:29]
; %bb.3975:                             ;   in Loop: Header=BB4_3167 Depth=4
	v_bfe_u32 v2, v0, 23, 1
; %bb.3976:                             ;   in Loop: Header=BB4_3167 Depth=4
	s_or_b64 exec, exec, s[28:29]
	v_lshrrev_b64 v[0:1], 21, v[0:1]
	v_cmp_gt_i32_e32 vcc, 32, v2
	v_cndmask_b32_e32 v1, 0, v1, vcc
	v_cndmask_b32_e32 v0, 3, v0, vcc
	v_cmp_eq_u64_e64 s[28:29], 0, v[0:1]
	v_min_i32_e32 v1, 31, v2
	v_lshlrev_b32_e32 v1, 2, v1
	v_cmp_eq_u32_e32 vcc, 0, v2
	v_and_b32_e32 v1, 0xfc, v1
	v_and_or_b32 v0, v0, 3, v1
	s_and_b64 s[28:29], vcc, s[28:29]
	v_cndmask_b32_e64 v0, v0, 0, s[28:29]
	v_or_b32_e32 v7, v0, v4
.LBB4_3977:                             ;   in Loop: Header=BB4_3167 Depth=4
	s_or_b64 exec, exec, s[36:37]
                                        ; implicit-def: $vgpr4
.LBB4_3978:                             ;   in Loop: Header=BB4_3167 Depth=4
	s_andn2_saveexec_b64 s[28:29], s[34:35]
; %bb.3979:                             ;   in Loop: Header=BB4_3167 Depth=4
	v_or_b32_e32 v7, 0x7b, v4
; %bb.3980:                             ;   in Loop: Header=BB4_3167 Depth=4
	s_or_b64 exec, exec, s[28:29]
                                        ; implicit-def: $vgpr2
                                        ; implicit-def: $vgpr0_vgpr1
.LBB4_3981:                             ;   in Loop: Header=BB4_3167 Depth=4
	s_andn2_saveexec_b64 s[28:29], s[30:31]
	s_cbranch_execz .LBB4_3987
; %bb.3982:                             ;   in Loop: Header=BB4_3167 Depth=4
	v_cmp_ne_u64_e32 vcc, 0, v[0:1]
                                        ; implicit-def: $vgpr7
	s_and_saveexec_b64 s[30:31], vcc
	s_xor_b64 vcc, exec, s[30:31]
; %bb.3983:                             ;   in Loop: Header=BB4_3167 Depth=4
	v_or_b32_sdwa v7, v2, s47 dst_sel:DWORD dst_unused:UNUSED_PAD src0_sel:BYTE_3 src1_sel:DWORD
                                        ; implicit-def: $vgpr2
; %bb.3984:                             ;   in Loop: Header=BB4_3167 Depth=4
	s_andn2_saveexec_b64 s[30:31], vcc
; %bb.3985:                             ;   in Loop: Header=BB4_3167 Depth=4
	v_cmp_lt_i32_e32 vcc, -1, v2
	v_bfrev_b32_e32 v0, 0.5
	v_cndmask_b32_e32 v7, v0, v52, vcc
; %bb.3986:                             ;   in Loop: Header=BB4_3167 Depth=4
	s_or_b64 exec, exec, s[30:31]
.LBB4_3987:                             ;   in Loop: Header=BB4_3167 Depth=4
	s_or_b64 exec, exec, s[28:29]
	v_lshrrev_b16_e32 v0, 8, v16
	v_cmp_ne_u16_e32 vcc, 0, v0
	v_mov_b32_e32 v1, 0
	s_and_saveexec_b64 s[28:29], vcc
	s_cbranch_execz .LBB4_3995
; %bb.3988:                             ;   in Loop: Header=BB4_3167 Depth=4
	v_cmp_ne_u16_e32 vcc, s96, v0
	v_bfrev_b32_e32 v1, 1
	s_and_saveexec_b64 s[30:31], vcc
	s_cbranch_execz .LBB4_3994
; %bb.3989:                             ;   in Loop: Header=BB4_3167 Depth=4
	v_and_b32_e32 v1, 0x7c, v0
	v_and_b32_e32 v2, 3, v0
	v_cmp_ne_u32_e32 vcc, s85, v1
                                        ; implicit-def: $vgpr1
	s_and_saveexec_b64 s[34:35], vcc
	s_xor_b64 s[34:35], exec, s[34:35]
	s_cbranch_execz .LBB4_3991
; %bb.3990:                             ;   in Loop: Header=BB4_3167 Depth=4
	v_ffbh_u32_e32 v8, v2
	v_min_u32_e32 v8, 32, v8
	v_mov_b32_e32 v1, v17
	v_subrev_u32_e32 v9, 29, v8
	v_bfe_u32 v4, v0, 2, 5
	v_lshlrev_b64 v[0:1], v9, v[0:1]
	v_cmp_eq_u32_e32 vcc, 0, v4
	v_and_b32_e32 v0, 3, v0
	v_sub_u32_e32 v1, 30, v8
	v_cndmask_b32_e32 v0, v2, v0, vcc
	v_lshlrev_b32_e32 v2, 16, v16
	v_cndmask_b32_e32 v1, v4, v1, vcc
	v_and_b32_e32 v2, 0x80000000, v2
	v_lshl_add_u32 v1, v1, 23, v2
	v_lshl_or_b32 v0, v0, 21, v1
	v_add_u32_e32 v1, 0x38000000, v0
                                        ; implicit-def: $vgpr2
.LBB4_3991:                             ;   in Loop: Header=BB4_3167 Depth=4
	s_andn2_saveexec_b64 s[34:35], s[34:35]
; %bb.3992:                             ;   in Loop: Header=BB4_3167 Depth=4
	v_cmp_lt_i16_e32 vcc, -1, v16
	v_mov_b32_e32 v0, 0xff800000
	v_mov_b32_e32 v1, 0x7f800000
	v_cndmask_b32_e32 v0, v0, v1, vcc
	v_cmp_eq_u32_e32 vcc, 0, v2
	v_mov_b32_e32 v1, 0x7f800001
	v_cndmask_b32_e32 v1, v1, v0, vcc
; %bb.3993:                             ;   in Loop: Header=BB4_3167 Depth=4
	s_or_b64 exec, exec, s[34:35]
.LBB4_3994:                             ;   in Loop: Header=BB4_3167 Depth=4
	s_or_b64 exec, exec, s[30:31]
.LBB4_3995:                             ;   in Loop: Header=BB4_3167 Depth=4
	s_or_b64 exec, exec, s[28:29]
	v_mul_f32_e32 v0, v12, v1
	v_and_b32_e32 v1, 0x7f800000, v0
	v_mov_b32_e32 v2, v17
	v_cmp_ne_u64_e32 vcc, s[76:77], v[1:2]
	v_and_b32_e32 v16, 0x7fffff, v0
                                        ; implicit-def: $vgpr20
	s_and_saveexec_b64 s[28:29], vcc
	s_xor_b64 s[30:31], exec, s[28:29]
	s_cbranch_execz .LBB4_4009
; %bb.3996:                             ;   in Loop: Header=BB4_3167 Depth=4
	v_and_b32_e32 v1, 0x7fffffff, v0
	v_mov_b32_e32 v2, v17
	v_cmp_gt_u64_e32 vcc, s[78:79], v[1:2]
	v_and_b32_sdwa v4, v0, s96 dst_sel:DWORD dst_unused:UNUSED_PAD src0_sel:BYTE_3 src1_sel:DWORD
                                        ; implicit-def: $vgpr20
	s_and_saveexec_b64 s[28:29], vcc
	s_xor_b64 s[34:35], exec, s[28:29]
	s_cbranch_execz .LBB4_4006
; %bb.3997:                             ;   in Loop: Header=BB4_3167 Depth=4
	v_mov_b32_e32 v20, 0
	v_cmp_ne_u32_e32 vcc, 0, v0
	s_and_saveexec_b64 s[36:37], vcc
	s_cbranch_execz .LBB4_4005
; %bb.3998:                             ;   in Loop: Header=BB4_3167 Depth=4
	v_bfe_u32 v8, v0, 23, 8
	v_cmp_gt_u32_e64 s[28:29], s46, v8
	v_sub_u32_e32 v0, 0x71, v8
	v_cmp_eq_u32_e32 vcc, 0, v8
	v_cndmask_b32_e64 v0, 0, v0, s[28:29]
	v_mov_b32_e32 v2, 0x70
	v_cndmask_b32_e32 v9, v0, v2, vcc
	v_add_u32_e32 v2, 21, v9
	v_or_b32_e32 v1, 0x800000, v16
	v_lshlrev_b64 v[13:14], v2, -1
	v_cndmask_b32_e32 v0, v1, v16, vcc
	v_mov_b32_e32 v1, v17
	v_add_u32_e32 v2, 20, v9
	v_bfi_b32 v13, v13, 0, v0
	v_lshlrev_b64 v[15:16], v2, 1
	v_lshrrev_b64 v[0:1], v9, v[0:1]
	v_bfi_b32 v14, v14, 0, 0
	v_cmp_eq_u64_e64 s[28:29], v[13:14], v[15:16]
	v_mov_b32_e32 v2, v1
	v_mov_b32_e32 v1, v0
	s_and_saveexec_b64 s[38:39], s[28:29]
; %bb.3999:                             ;   in Loop: Header=BB4_3167 Depth=4
	v_bfe_u32 v1, v0, 21, 1
	v_add_co_u32_e64 v1, s[28:29], v0, v1
	v_add_co_u32_e64 v1, s[28:29], -1, v1
; %bb.4000:                             ;   in Loop: Header=BB4_3167 Depth=4
	s_or_b64 exec, exec, s[38:39]
	v_add_u32_e32 v2, 0xffffff81, v8
	v_mov_b32_e32 v8, 0xffffff82
	v_cndmask_b32_e32 v2, v2, v8, vcc
	v_lshrrev_b32_e32 v8, 23, v0
	v_add3_u32 v9, v9, v2, v8
	v_add_u32_e32 v8, 14, v9
	v_and_b32_e32 v1, 0x1fffff, v1
	v_add_u32_e32 v16, v1, v0
	v_cmp_ne_u32_e32 vcc, 0, v8
                                        ; implicit-def: $vgpr0_vgpr1
                                        ; implicit-def: $vgpr2
	s_and_saveexec_b64 s[28:29], vcc
	s_xor_b64 s[28:29], exec, s[28:29]
; %bb.4001:                             ;   in Loop: Header=BB4_3167 Depth=4
	v_cmp_lt_u64_e32 vcc, s[88:89], v[16:17]
	v_add_u32_e32 v0, 15, v9
	v_cndmask_b32_e32 v2, v8, v0, vcc
	v_cndmask_b32_e64 v0, 0, 1, vcc
	v_lshrrev_b64 v[0:1], v0, v[16:17]
; %bb.4002:                             ;   in Loop: Header=BB4_3167 Depth=4
	s_andn2_saveexec_b64 s[28:29], s[28:29]
; %bb.4003:                             ;   in Loop: Header=BB4_3167 Depth=4
	v_mov_b32_e32 v0, v16
	v_mov_b32_e32 v1, v17
	v_bfe_u32 v2, v16, 23, 1
; %bb.4004:                             ;   in Loop: Header=BB4_3167 Depth=4
	s_or_b64 exec, exec, s[28:29]
	v_lshrrev_b64 v[0:1], 21, v[0:1]
	v_cmp_gt_i32_e32 vcc, 32, v2
	v_cndmask_b32_e32 v1, 0, v1, vcc
	v_cndmask_b32_e32 v0, 3, v0, vcc
	v_cmp_eq_u64_e64 s[28:29], 0, v[0:1]
	v_min_i32_e32 v1, 31, v2
	v_lshlrev_b32_e32 v1, 2, v1
	v_cmp_eq_u32_e32 vcc, 0, v2
	v_and_b32_e32 v1, 0xfc, v1
	v_and_or_b32 v0, v0, 3, v1
	s_and_b64 s[28:29], vcc, s[28:29]
	v_cndmask_b32_e64 v0, v0, 0, s[28:29]
	v_or_b32_e32 v20, v0, v4
.LBB4_4005:                             ;   in Loop: Header=BB4_3167 Depth=4
	s_or_b64 exec, exec, s[36:37]
                                        ; implicit-def: $vgpr4
.LBB4_4006:                             ;   in Loop: Header=BB4_3167 Depth=4
	s_andn2_saveexec_b64 s[28:29], s[34:35]
; %bb.4007:                             ;   in Loop: Header=BB4_3167 Depth=4
	v_or_b32_e32 v20, 0x7b, v4
; %bb.4008:                             ;   in Loop: Header=BB4_3167 Depth=4
	s_or_b64 exec, exec, s[28:29]
                                        ; implicit-def: $vgpr0
.LBB4_4009:                             ;   in Loop: Header=BB4_3167 Depth=4
	s_andn2_saveexec_b64 s[28:29], s[30:31]
	s_cbranch_execz .LBB4_4015
; %bb.4010:                             ;   in Loop: Header=BB4_3167 Depth=4
	v_cmp_ne_u64_e32 vcc, 0, v[16:17]
                                        ; implicit-def: $vgpr20
	s_and_saveexec_b64 s[30:31], vcc
	s_xor_b64 vcc, exec, s[30:31]
; %bb.4011:                             ;   in Loop: Header=BB4_3167 Depth=4
	v_or_b32_sdwa v20, v0, s47 dst_sel:DWORD dst_unused:UNUSED_PAD src0_sel:BYTE_3 src1_sel:DWORD
                                        ; implicit-def: $vgpr0
; %bb.4012:                             ;   in Loop: Header=BB4_3167 Depth=4
	s_andn2_saveexec_b64 s[30:31], vcc
; %bb.4013:                             ;   in Loop: Header=BB4_3167 Depth=4
	v_cmp_lt_i32_e32 vcc, -1, v0
	v_bfrev_b32_e32 v0, 0.5
	v_cndmask_b32_e32 v20, v0, v52, vcc
; %bb.4014:                             ;   in Loop: Header=BB4_3167 Depth=4
	s_or_b64 exec, exec, s[30:31]
.LBB4_4015:                             ;   in Loop: Header=BB4_3167 Depth=4
	s_or_b64 exec, exec, s[28:29]
	v_lshrrev_b32_e32 v0, 16, v11
	v_cmp_ne_u16_sdwa vcc, v0, v17 src0_sel:BYTE_0 src1_sel:DWORD
	v_mov_b32_e32 v1, 0
	s_and_saveexec_b64 s[28:29], vcc
	s_cbranch_execz .LBB4_4023
; %bb.4016:                             ;   in Loop: Header=BB4_3167 Depth=4
	v_cmp_ne_u16_sdwa vcc, v0, s96 src0_sel:BYTE_0 src1_sel:DWORD
	v_bfrev_b32_e32 v1, 1
	s_and_saveexec_b64 s[30:31], vcc
	s_cbranch_execz .LBB4_4022
; %bb.4017:                             ;   in Loop: Header=BB4_3167 Depth=4
	v_and_b32_e32 v1, 0x7c0000, v11
	v_bfe_u32 v2, v11, 16, 2
	v_cmp_ne_u32_e32 vcc, s44, v1
                                        ; implicit-def: $vgpr1
	s_and_saveexec_b64 s[34:35], vcc
	s_xor_b64 s[34:35], exec, s[34:35]
	s_cbranch_execz .LBB4_4019
; %bb.4018:                             ;   in Loop: Header=BB4_3167 Depth=4
	v_ffbh_u32_e32 v1, v2
	v_min_u32_e32 v8, 32, v1
	v_subrev_u32_e32 v1, 29, v8
	v_lshlrev_b64 v[0:1], v1, v[0:1]
	v_bfe_u32 v4, v11, 18, 5
	v_and_b32_e32 v0, 3, v0
	v_cmp_eq_u32_e32 vcc, 0, v4
	v_sub_u32_e32 v1, 30, v8
	v_cndmask_b32_e32 v0, v2, v0, vcc
	v_lshlrev_b32_e32 v2, 8, v11
	v_cndmask_b32_e32 v1, v4, v1, vcc
	v_and_b32_e32 v2, 0x80000000, v2
	v_lshl_add_u32 v1, v1, 23, v2
	v_lshl_or_b32 v0, v0, 21, v1
	v_add_u32_e32 v1, 0x38000000, v0
                                        ; implicit-def: $vgpr2
                                        ; implicit-def: $vgpr0
.LBB4_4019:                             ;   in Loop: Header=BB4_3167 Depth=4
	s_andn2_saveexec_b64 s[34:35], s[34:35]
; %bb.4020:                             ;   in Loop: Header=BB4_3167 Depth=4
	v_mov_b32_e32 v1, -1
	v_cmp_gt_i16_sdwa vcc, sext(v0), v1 src0_sel:BYTE_0 src1_sel:DWORD
	v_mov_b32_e32 v0, 0xff800000
	v_mov_b32_e32 v1, 0x7f800000
	v_cndmask_b32_e32 v0, v0, v1, vcc
	v_cmp_eq_u32_e32 vcc, 0, v2
	v_mov_b32_e32 v1, 0x7f800001
	v_cndmask_b32_e32 v1, v1, v0, vcc
; %bb.4021:                             ;   in Loop: Header=BB4_3167 Depth=4
	s_or_b64 exec, exec, s[34:35]
.LBB4_4022:                             ;   in Loop: Header=BB4_3167 Depth=4
	s_or_b64 exec, exec, s[30:31]
.LBB4_4023:                             ;   in Loop: Header=BB4_3167 Depth=4
	s_or_b64 exec, exec, s[28:29]
	v_mul_f32_e32 v0, v12, v1
	v_and_b32_e32 v1, 0x7f800000, v0
	v_mov_b32_e32 v2, v17
	v_cmp_ne_u64_e32 vcc, s[76:77], v[1:2]
	v_and_b32_e32 v16, 0x7fffff, v0
                                        ; implicit-def: $vgpr24
	s_and_saveexec_b64 s[28:29], vcc
	s_xor_b64 s[30:31], exec, s[28:29]
	s_cbranch_execz .LBB4_4037
; %bb.4024:                             ;   in Loop: Header=BB4_3167 Depth=4
	v_and_b32_e32 v1, 0x7fffffff, v0
	v_mov_b32_e32 v2, v17
	v_cmp_gt_u64_e32 vcc, s[78:79], v[1:2]
	v_and_b32_sdwa v4, v0, s96 dst_sel:DWORD dst_unused:UNUSED_PAD src0_sel:BYTE_3 src1_sel:DWORD
                                        ; implicit-def: $vgpr24
	s_and_saveexec_b64 s[28:29], vcc
	s_xor_b64 s[34:35], exec, s[28:29]
	s_cbranch_execz .LBB4_4034
; %bb.4025:                             ;   in Loop: Header=BB4_3167 Depth=4
	v_mov_b32_e32 v24, 0
	v_cmp_ne_u32_e32 vcc, 0, v0
	s_and_saveexec_b64 s[36:37], vcc
	s_cbranch_execz .LBB4_4033
; %bb.4026:                             ;   in Loop: Header=BB4_3167 Depth=4
	v_bfe_u32 v8, v0, 23, 8
	v_cmp_gt_u32_e64 s[28:29], s46, v8
	v_sub_u32_e32 v0, 0x71, v8
	v_cmp_eq_u32_e32 vcc, 0, v8
	v_cndmask_b32_e64 v0, 0, v0, s[28:29]
	v_mov_b32_e32 v2, 0x70
	v_cndmask_b32_e32 v9, v0, v2, vcc
	v_add_u32_e32 v2, 21, v9
	v_or_b32_e32 v1, 0x800000, v16
	v_lshlrev_b64 v[13:14], v2, -1
	v_cndmask_b32_e32 v0, v1, v16, vcc
	v_mov_b32_e32 v1, v17
	v_add_u32_e32 v2, 20, v9
	v_bfi_b32 v13, v13, 0, v0
	v_lshlrev_b64 v[15:16], v2, 1
	v_lshrrev_b64 v[0:1], v9, v[0:1]
	v_bfi_b32 v14, v14, 0, 0
	v_cmp_eq_u64_e64 s[28:29], v[13:14], v[15:16]
	v_mov_b32_e32 v2, v1
	v_mov_b32_e32 v1, v0
	s_and_saveexec_b64 s[38:39], s[28:29]
; %bb.4027:                             ;   in Loop: Header=BB4_3167 Depth=4
	v_bfe_u32 v1, v0, 21, 1
	v_add_co_u32_e64 v1, s[28:29], v0, v1
	v_add_co_u32_e64 v1, s[28:29], -1, v1
; %bb.4028:                             ;   in Loop: Header=BB4_3167 Depth=4
	s_or_b64 exec, exec, s[38:39]
	v_add_u32_e32 v2, 0xffffff81, v8
	v_mov_b32_e32 v8, 0xffffff82
	v_cndmask_b32_e32 v2, v2, v8, vcc
	v_lshrrev_b32_e32 v8, 23, v0
	v_add3_u32 v9, v9, v2, v8
	v_add_u32_e32 v8, 14, v9
	v_and_b32_e32 v1, 0x1fffff, v1
	v_add_u32_e32 v16, v1, v0
	v_cmp_ne_u32_e32 vcc, 0, v8
                                        ; implicit-def: $vgpr0_vgpr1
                                        ; implicit-def: $vgpr2
	s_and_saveexec_b64 s[28:29], vcc
	s_xor_b64 s[28:29], exec, s[28:29]
; %bb.4029:                             ;   in Loop: Header=BB4_3167 Depth=4
	v_cmp_lt_u64_e32 vcc, s[88:89], v[16:17]
	v_add_u32_e32 v0, 15, v9
	v_cndmask_b32_e32 v2, v8, v0, vcc
	v_cndmask_b32_e64 v0, 0, 1, vcc
	v_lshrrev_b64 v[0:1], v0, v[16:17]
; %bb.4030:                             ;   in Loop: Header=BB4_3167 Depth=4
	s_andn2_saveexec_b64 s[28:29], s[28:29]
; %bb.4031:                             ;   in Loop: Header=BB4_3167 Depth=4
	v_mov_b32_e32 v0, v16
	v_mov_b32_e32 v1, v17
	v_bfe_u32 v2, v16, 23, 1
; %bb.4032:                             ;   in Loop: Header=BB4_3167 Depth=4
	s_or_b64 exec, exec, s[28:29]
	v_lshrrev_b64 v[0:1], 21, v[0:1]
	v_cmp_gt_i32_e32 vcc, 32, v2
	v_cndmask_b32_e32 v1, 0, v1, vcc
	v_cndmask_b32_e32 v0, 3, v0, vcc
	v_cmp_eq_u64_e64 s[28:29], 0, v[0:1]
	v_min_i32_e32 v1, 31, v2
	v_lshlrev_b32_e32 v1, 2, v1
	v_cmp_eq_u32_e32 vcc, 0, v2
	v_and_b32_e32 v1, 0xfc, v1
	v_and_or_b32 v0, v0, 3, v1
	s_and_b64 s[28:29], vcc, s[28:29]
	v_cndmask_b32_e64 v0, v0, 0, s[28:29]
	v_or_b32_e32 v24, v0, v4
.LBB4_4033:                             ;   in Loop: Header=BB4_3167 Depth=4
	s_or_b64 exec, exec, s[36:37]
                                        ; implicit-def: $vgpr4
.LBB4_4034:                             ;   in Loop: Header=BB4_3167 Depth=4
	s_andn2_saveexec_b64 s[28:29], s[34:35]
; %bb.4035:                             ;   in Loop: Header=BB4_3167 Depth=4
	v_or_b32_e32 v24, 0x7b, v4
; %bb.4036:                             ;   in Loop: Header=BB4_3167 Depth=4
	s_or_b64 exec, exec, s[28:29]
                                        ; implicit-def: $vgpr0
.LBB4_4037:                             ;   in Loop: Header=BB4_3167 Depth=4
	s_andn2_saveexec_b64 s[28:29], s[30:31]
	s_cbranch_execz .LBB4_4043
; %bb.4038:                             ;   in Loop: Header=BB4_3167 Depth=4
	v_cmp_ne_u64_e32 vcc, 0, v[16:17]
                                        ; implicit-def: $vgpr24
	s_and_saveexec_b64 s[30:31], vcc
	s_xor_b64 vcc, exec, s[30:31]
; %bb.4039:                             ;   in Loop: Header=BB4_3167 Depth=4
	v_or_b32_sdwa v24, v0, s47 dst_sel:DWORD dst_unused:UNUSED_PAD src0_sel:BYTE_3 src1_sel:DWORD
                                        ; implicit-def: $vgpr0
; %bb.4040:                             ;   in Loop: Header=BB4_3167 Depth=4
	s_andn2_saveexec_b64 s[30:31], vcc
; %bb.4041:                             ;   in Loop: Header=BB4_3167 Depth=4
	v_cmp_lt_i32_e32 vcc, -1, v0
	v_bfrev_b32_e32 v0, 0.5
	v_cndmask_b32_e32 v24, v0, v52, vcc
; %bb.4042:                             ;   in Loop: Header=BB4_3167 Depth=4
	s_or_b64 exec, exec, s[30:31]
.LBB4_4043:                             ;   in Loop: Header=BB4_3167 Depth=4
	s_or_b64 exec, exec, s[28:29]
	v_cmp_lt_u64_e32 vcc, s[56:57], v[10:11]
	v_mov_b32_e32 v1, 0
	s_and_saveexec_b64 s[28:29], vcc
	s_cbranch_execz .LBB4_4051
; %bb.4044:                             ;   in Loop: Header=BB4_3167 Depth=4
	v_lshrrev_b32_e32 v0, 24, v11
	v_cmp_ne_u32_e32 vcc, s96, v0
	v_bfrev_b32_e32 v1, 1
	s_and_saveexec_b64 s[30:31], vcc
	s_cbranch_execz .LBB4_4050
; %bb.4045:                             ;   in Loop: Header=BB4_3167 Depth=4
	v_and_b32_e32 v1, 0x7c000000, v11
	v_bfe_u32 v2, v11, 24, 2
	v_cmp_ne_u32_e32 vcc, s45, v1
                                        ; implicit-def: $vgpr1
	s_and_saveexec_b64 s[34:35], vcc
	s_xor_b64 s[34:35], exec, s[34:35]
	s_cbranch_execz .LBB4_4047
; %bb.4046:                             ;   in Loop: Header=BB4_3167 Depth=4
	v_ffbh_u32_e32 v1, v2
	v_min_u32_e32 v8, 32, v1
	v_subrev_u32_e32 v1, 29, v8
	v_lshlrev_b64 v[0:1], v1, v[0:1]
	v_bfe_u32 v4, v11, 26, 5
	v_sub_u32_e32 v1, 30, v8
	v_and_b32_e32 v0, 3, v0
	v_cmp_eq_u32_e32 vcc, 0, v4
	v_cndmask_b32_e32 v1, v4, v1, vcc
	v_cndmask_b32_e32 v0, v2, v0, vcc
	v_and_b32_e32 v2, 0x80000000, v11
	v_lshl_add_u32 v1, v1, 23, v2
	v_lshl_or_b32 v0, v0, 21, v1
	v_add_u32_e32 v1, 0x38000000, v0
                                        ; implicit-def: $vgpr2
                                        ; implicit-def: $vgpr10_vgpr11
.LBB4_4047:                             ;   in Loop: Header=BB4_3167 Depth=4
	s_andn2_saveexec_b64 s[34:35], s[34:35]
; %bb.4048:                             ;   in Loop: Header=BB4_3167 Depth=4
	v_cmp_lt_i64_e32 vcc, -1, v[10:11]
	v_mov_b32_e32 v0, 0xff800000
	v_mov_b32_e32 v1, 0x7f800000
	v_cndmask_b32_e32 v0, v0, v1, vcc
	v_cmp_eq_u32_e32 vcc, 0, v2
	v_mov_b32_e32 v1, 0x7f800001
	v_cndmask_b32_e32 v1, v1, v0, vcc
; %bb.4049:                             ;   in Loop: Header=BB4_3167 Depth=4
	s_or_b64 exec, exec, s[34:35]
.LBB4_4050:                             ;   in Loop: Header=BB4_3167 Depth=4
	s_or_b64 exec, exec, s[30:31]
.LBB4_4051:                             ;   in Loop: Header=BB4_3167 Depth=4
	s_or_b64 exec, exec, s[28:29]
	v_mul_f32_e32 v0, v12, v1
	v_and_b32_e32 v1, 0x7f800000, v0
	v_mov_b32_e32 v2, v17
	v_cmp_ne_u64_e32 vcc, s[76:77], v[1:2]
	v_and_b32_e32 v16, 0x7fffff, v0
                                        ; implicit-def: $vgpr30
	s_and_saveexec_b64 s[28:29], vcc
	s_xor_b64 s[30:31], exec, s[28:29]
	s_cbranch_execz .LBB4_4065
; %bb.4052:                             ;   in Loop: Header=BB4_3167 Depth=4
	v_and_b32_e32 v1, 0x7fffffff, v0
	v_mov_b32_e32 v2, v17
	v_cmp_gt_u64_e32 vcc, s[78:79], v[1:2]
	v_and_b32_sdwa v4, v0, s96 dst_sel:DWORD dst_unused:UNUSED_PAD src0_sel:BYTE_3 src1_sel:DWORD
                                        ; implicit-def: $vgpr30
	s_and_saveexec_b64 s[28:29], vcc
	s_xor_b64 s[34:35], exec, s[28:29]
	s_cbranch_execz .LBB4_4062
; %bb.4053:                             ;   in Loop: Header=BB4_3167 Depth=4
	v_mov_b32_e32 v30, 0
	v_cmp_ne_u32_e32 vcc, 0, v0
	s_and_saveexec_b64 s[36:37], vcc
	s_cbranch_execz .LBB4_4061
; %bb.4054:                             ;   in Loop: Header=BB4_3167 Depth=4
	v_bfe_u32 v8, v0, 23, 8
	v_cmp_gt_u32_e64 s[28:29], s46, v8
	v_sub_u32_e32 v0, 0x71, v8
	v_cmp_eq_u32_e32 vcc, 0, v8
	v_cndmask_b32_e64 v0, 0, v0, s[28:29]
	v_mov_b32_e32 v2, 0x70
	v_cndmask_b32_e32 v9, v0, v2, vcc
	v_add_u32_e32 v2, 21, v9
	v_or_b32_e32 v1, 0x800000, v16
	v_lshlrev_b64 v[10:11], v2, -1
	v_cndmask_b32_e32 v0, v1, v16, vcc
	v_mov_b32_e32 v1, v17
	v_add_u32_e32 v2, 20, v9
	v_bfi_b32 v10, v10, 0, v0
	v_lshlrev_b64 v[12:13], v2, 1
	v_lshrrev_b64 v[0:1], v9, v[0:1]
	v_bfi_b32 v11, v11, 0, 0
	v_cmp_eq_u64_e64 s[28:29], v[10:11], v[12:13]
	v_mov_b32_e32 v2, v1
	v_mov_b32_e32 v1, v0
	s_and_saveexec_b64 s[38:39], s[28:29]
; %bb.4055:                             ;   in Loop: Header=BB4_3167 Depth=4
	v_bfe_u32 v1, v0, 21, 1
	v_add_co_u32_e64 v1, s[28:29], v0, v1
	v_add_co_u32_e64 v1, s[28:29], -1, v1
; %bb.4056:                             ;   in Loop: Header=BB4_3167 Depth=4
	s_or_b64 exec, exec, s[38:39]
	v_add_u32_e32 v2, 0xffffff81, v8
	v_mov_b32_e32 v8, 0xffffff82
	v_cndmask_b32_e32 v2, v2, v8, vcc
	v_lshrrev_b32_e32 v8, 23, v0
	v_add3_u32 v9, v9, v2, v8
	v_add_u32_e32 v8, 14, v9
	v_and_b32_e32 v1, 0x1fffff, v1
	v_add_u32_e32 v16, v1, v0
	v_cmp_ne_u32_e32 vcc, 0, v8
                                        ; implicit-def: $vgpr0_vgpr1
                                        ; implicit-def: $vgpr2
	s_and_saveexec_b64 s[28:29], vcc
	s_xor_b64 s[28:29], exec, s[28:29]
; %bb.4057:                             ;   in Loop: Header=BB4_3167 Depth=4
	v_cmp_lt_u64_e32 vcc, s[88:89], v[16:17]
	v_add_u32_e32 v0, 15, v9
	v_cndmask_b32_e32 v2, v8, v0, vcc
	v_cndmask_b32_e64 v0, 0, 1, vcc
	v_lshrrev_b64 v[0:1], v0, v[16:17]
; %bb.4058:                             ;   in Loop: Header=BB4_3167 Depth=4
	s_andn2_saveexec_b64 s[28:29], s[28:29]
; %bb.4059:                             ;   in Loop: Header=BB4_3167 Depth=4
	v_mov_b32_e32 v0, v16
	v_mov_b32_e32 v1, v17
	v_bfe_u32 v2, v16, 23, 1
; %bb.4060:                             ;   in Loop: Header=BB4_3167 Depth=4
	s_or_b64 exec, exec, s[28:29]
	v_lshrrev_b64 v[0:1], 21, v[0:1]
	v_cmp_gt_i32_e32 vcc, 32, v2
	v_cndmask_b32_e32 v1, 0, v1, vcc
	v_cndmask_b32_e32 v0, 3, v0, vcc
	v_cmp_eq_u64_e64 s[28:29], 0, v[0:1]
	v_min_i32_e32 v1, 31, v2
	v_lshlrev_b32_e32 v1, 2, v1
	v_cmp_eq_u32_e32 vcc, 0, v2
	v_and_b32_e32 v1, 0xfc, v1
	v_and_or_b32 v0, v0, 3, v1
	s_and_b64 s[28:29], vcc, s[28:29]
	v_cndmask_b32_e64 v0, v0, 0, s[28:29]
	v_or_b32_e32 v30, v0, v4
.LBB4_4061:                             ;   in Loop: Header=BB4_3167 Depth=4
	s_or_b64 exec, exec, s[36:37]
                                        ; implicit-def: $vgpr4
.LBB4_4062:                             ;   in Loop: Header=BB4_3167 Depth=4
	s_andn2_saveexec_b64 s[28:29], s[34:35]
; %bb.4063:                             ;   in Loop: Header=BB4_3167 Depth=4
	v_or_b32_e32 v30, 0x7b, v4
; %bb.4064:                             ;   in Loop: Header=BB4_3167 Depth=4
	s_or_b64 exec, exec, s[28:29]
                                        ; implicit-def: $vgpr0
.LBB4_4065:                             ;   in Loop: Header=BB4_3167 Depth=4
	s_andn2_saveexec_b64 s[28:29], s[30:31]
	s_cbranch_execz .LBB4_4071
; %bb.4066:                             ;   in Loop: Header=BB4_3167 Depth=4
	v_cmp_ne_u64_e32 vcc, 0, v[16:17]
                                        ; implicit-def: $vgpr30
	s_and_saveexec_b64 s[30:31], vcc
	s_xor_b64 vcc, exec, s[30:31]
; %bb.4067:                             ;   in Loop: Header=BB4_3167 Depth=4
	v_or_b32_sdwa v30, v0, s47 dst_sel:DWORD dst_unused:UNUSED_PAD src0_sel:BYTE_3 src1_sel:DWORD
                                        ; implicit-def: $vgpr0
; %bb.4068:                             ;   in Loop: Header=BB4_3167 Depth=4
	s_andn2_saveexec_b64 s[30:31], vcc
; %bb.4069:                             ;   in Loop: Header=BB4_3167 Depth=4
	v_cmp_lt_i32_e32 vcc, -1, v0
	v_bfrev_b32_e32 v0, 0.5
	v_cndmask_b32_e32 v30, v0, v52, vcc
; %bb.4070:                             ;   in Loop: Header=BB4_3167 Depth=4
	s_or_b64 exec, exec, s[30:31]
.LBB4_4071:                             ;   in Loop: Header=BB4_3167 Depth=4
	s_or_b64 exec, exec, s[28:29]
	global_load_dwordx4 v[12:15], v[46:47], off glc slc
	global_load_dwordx4 v[8:11], v[46:47], off offset:1024 glc slc
	v_lshl_or_b32 v18, v18, 8, v6
	v_lshlrev_b32_e32 v0, 16, v21
	v_lshlrev_b32_e32 v1, 24, v32
	v_or3_b32 v16, v0, v1, v18
	v_cmp_ne_u32_e32 vcc, 0, v6
	v_mov_b32_e32 v0, 0
	v_mov_b32_e32 v1, 0
	s_and_saveexec_b64 s[30:31], vcc
	s_cbranch_execz .LBB4_4079
; %bb.4072:                             ;   in Loop: Header=BB4_3167 Depth=4
	v_cmp_ne_u32_e32 vcc, s96, v6
	v_bfrev_b32_e32 v1, 1
	s_and_saveexec_b64 s[34:35], vcc
	s_cbranch_execz .LBB4_4078
; %bb.4073:                             ;   in Loop: Header=BB4_3167 Depth=4
	v_and_b32_e32 v1, 0x7c, v6
	v_and_b32_e32 v2, 3, v6
	v_cmp_ne_u32_e32 vcc, s85, v1
                                        ; implicit-def: $vgpr1
	s_and_saveexec_b64 s[28:29], vcc
	s_xor_b64 s[28:29], exec, s[28:29]
	s_cbranch_execz .LBB4_4075
; %bb.4074:                             ;   in Loop: Header=BB4_3167 Depth=4
	v_ffbh_u32_e32 v4, v2
	v_min_u32_e32 v4, 32, v4
	v_bfe_u32 v1, v6, 2, 5
	v_subrev_u32_e32 v21, 29, v4
	v_lshlrev_b64 v[40:41], v21, v[16:17]
	v_sub_u32_e32 v4, 30, v4
	v_cmp_eq_u32_e32 vcc, 0, v1
	v_cndmask_b32_e32 v1, v1, v4, vcc
	v_lshlrev_b32_e32 v4, 24, v6
	v_and_b32_e32 v21, 3, v40
	v_and_b32_e32 v4, 0x80000000, v4
	v_cndmask_b32_e32 v2, v2, v21, vcc
	v_lshl_add_u32 v1, v1, 23, v4
	v_lshl_or_b32 v1, v2, 21, v1
	v_add_u32_e32 v1, 0x38000000, v1
                                        ; implicit-def: $vgpr2
                                        ; implicit-def: $vgpr6
.LBB4_4075:                             ;   in Loop: Header=BB4_3167 Depth=4
	s_andn2_saveexec_b64 s[36:37], s[28:29]
; %bb.4076:                             ;   in Loop: Header=BB4_3167 Depth=4
	v_and_b32_e32 v1, 0x80, v6
	v_cmp_eq_u32_e32 vcc, 0, v2
	v_cmp_eq_u32_e64 s[28:29], 0, v1
	v_mov_b32_e32 v1, 0xff800000
	v_mov_b32_e32 v2, 0x7f800000
	v_cndmask_b32_e64 v1, v1, v2, s[28:29]
	v_mov_b32_e32 v2, 0x7f800001
	v_cndmask_b32_e32 v1, v2, v1, vcc
; %bb.4077:                             ;   in Loop: Header=BB4_3167 Depth=4
	s_or_b64 exec, exec, s[36:37]
.LBB4_4078:                             ;   in Loop: Header=BB4_3167 Depth=4
	s_or_b64 exec, exec, s[34:35]
.LBB4_4079:                             ;   in Loop: Header=BB4_3167 Depth=4
	s_or_b64 exec, exec, s[30:31]
	s_waitcnt vmcnt(1)
	v_cmp_ne_u16_sdwa vcc, v12, v17 src0_sel:BYTE_0 src1_sel:DWORD
	s_and_saveexec_b64 s[28:29], vcc
	s_cbranch_execz .LBB4_4087
; %bb.4080:                             ;   in Loop: Header=BB4_3167 Depth=4
	v_cmp_ne_u16_sdwa vcc, sext(v12), s97 src0_sel:BYTE_0 src1_sel:DWORD
	v_bfrev_b32_e32 v0, 1
	s_and_saveexec_b64 s[30:31], vcc
	s_cbranch_execz .LBB4_4086
; %bb.4081:                             ;   in Loop: Header=BB4_3167 Depth=4
	v_and_b32_e32 v0, 0x7c, v12
	v_and_b32_e32 v2, 3, v12
	v_cmp_ne_u32_e32 vcc, s85, v0
                                        ; implicit-def: $vgpr0
	s_and_saveexec_b64 s[34:35], vcc
	s_xor_b64 s[34:35], exec, s[34:35]
	s_cbranch_execz .LBB4_4083
; %bb.4082:                             ;   in Loop: Header=BB4_3167 Depth=4
	v_ffbh_u32_e32 v4, v2
	v_min_u32_e32 v4, 32, v4
	v_bfe_u32 v0, v12, 2, 5
	v_subrev_u32_e32 v6, 29, v4
	v_lshlrev_b64 v[40:41], v6, v[12:13]
	v_sub_u32_e32 v4, 30, v4
	v_cmp_eq_u32_e32 vcc, 0, v0
	v_cndmask_b32_e32 v0, v0, v4, vcc
	v_lshlrev_b32_e32 v4, 24, v12
	v_and_b32_e32 v6, 3, v40
	v_and_b32_e32 v4, 0x80000000, v4
	v_cndmask_b32_e32 v2, v2, v6, vcc
	v_lshl_add_u32 v0, v0, 23, v4
	v_lshl_or_b32 v0, v2, 21, v0
	v_add_u32_e32 v0, 0x38000000, v0
                                        ; implicit-def: $vgpr2
.LBB4_4083:                             ;   in Loop: Header=BB4_3167 Depth=4
	s_andn2_saveexec_b64 s[34:35], s[34:35]
; %bb.4084:                             ;   in Loop: Header=BB4_3167 Depth=4
	v_mov_b32_e32 v0, -1
	v_cmp_gt_i16_sdwa vcc, sext(v12), v0 src0_sel:BYTE_0 src1_sel:DWORD
	v_mov_b32_e32 v0, 0xff800000
	v_mov_b32_e32 v4, 0x7f800000
	v_cndmask_b32_e32 v0, v0, v4, vcc
	v_cmp_eq_u32_e32 vcc, 0, v2
	v_mov_b32_e32 v2, 0x7f800001
	v_cndmask_b32_e32 v0, v2, v0, vcc
; %bb.4085:                             ;   in Loop: Header=BB4_3167 Depth=4
	s_or_b64 exec, exec, s[34:35]
.LBB4_4086:                             ;   in Loop: Header=BB4_3167 Depth=4
	s_or_b64 exec, exec, s[30:31]
.LBB4_4087:                             ;   in Loop: Header=BB4_3167 Depth=4
	s_or_b64 exec, exec, s[28:29]
	v_add_f32_e32 v2, v1, v0
	v_and_b32_e32 v40, 0x7f800000, v2
	v_mov_b32_e32 v41, v17
	v_cmp_ne_u64_e32 vcc, s[76:77], v[40:41]
	v_and_b32_e32 v0, 0x7fffff, v2
	v_mov_b32_e32 v1, v17
                                        ; implicit-def: $vgpr6
	s_and_saveexec_b64 s[28:29], vcc
	s_xor_b64 s[30:31], exec, s[28:29]
	s_cbranch_execz .LBB4_4101
; %bb.4088:                             ;   in Loop: Header=BB4_3167 Depth=4
	v_and_b32_e32 v40, 0x7fffffff, v2
	v_mov_b32_e32 v41, v17
	v_cmp_gt_u64_e32 vcc, s[78:79], v[40:41]
	v_and_b32_sdwa v21, v2, s96 dst_sel:DWORD dst_unused:UNUSED_PAD src0_sel:BYTE_3 src1_sel:DWORD
                                        ; implicit-def: $vgpr6
	s_and_saveexec_b64 s[28:29], vcc
	s_xor_b64 s[34:35], exec, s[28:29]
	s_cbranch_execz .LBB4_4098
; %bb.4089:                             ;   in Loop: Header=BB4_3167 Depth=4
	v_mov_b32_e32 v6, 0
	v_cmp_ne_u32_e32 vcc, 0, v2
	s_and_saveexec_b64 s[36:37], vcc
	s_cbranch_execz .LBB4_4097
; %bb.4090:                             ;   in Loop: Header=BB4_3167 Depth=4
	v_bfe_u32 v4, v2, 23, 8
	v_cmp_gt_u32_e64 s[28:29], s46, v4
	v_sub_u32_e32 v2, 0x71, v4
	v_cmp_eq_u32_e32 vcc, 0, v4
	v_cndmask_b32_e64 v2, 0, v2, s[28:29]
	v_mov_b32_e32 v6, 0x70
	v_cndmask_b32_e32 v6, v2, v6, vcc
	v_add_u32_e32 v2, 21, v6
	v_or_b32_e32 v28, 0x800000, v0
	v_lshlrev_b64 v[40:41], v2, -1
	v_cndmask_b32_e32 v0, v28, v0, vcc
	v_add_u32_e32 v2, 20, v6
	v_bfi_b32 v40, v40, 0, v0
	v_lshlrev_b64 v[42:43], v2, 1
	v_lshrrev_b64 v[0:1], v6, v[0:1]
	v_bfi_b32 v41, v41, 0, 0
	v_cmp_eq_u64_e64 s[28:29], v[40:41], v[42:43]
	v_mov_b32_e32 v2, v1
	v_mov_b32_e32 v1, v0
	s_and_saveexec_b64 s[38:39], s[28:29]
; %bb.4091:                             ;   in Loop: Header=BB4_3167 Depth=4
	v_bfe_u32 v1, v0, 21, 1
	v_add_co_u32_e64 v1, s[28:29], v0, v1
	v_add_co_u32_e64 v1, s[28:29], -1, v1
; %bb.4092:                             ;   in Loop: Header=BB4_3167 Depth=4
	s_or_b64 exec, exec, s[38:39]
	v_add_u32_e32 v2, 0xffffff81, v4
	v_mov_b32_e32 v4, 0xffffff82
	v_cndmask_b32_e32 v2, v2, v4, vcc
	v_lshrrev_b32_e32 v4, 23, v0
	v_add3_u32 v6, v6, v2, v4
	v_add_u32_e32 v4, 14, v6
	v_and_b32_e32 v1, 0x1fffff, v1
	v_add_u32_e32 v0, v1, v0
	v_mov_b32_e32 v1, v17
	v_cmp_ne_u32_e32 vcc, 0, v4
                                        ; implicit-def: $vgpr2
	s_and_saveexec_b64 s[28:29], vcc
	s_xor_b64 s[28:29], exec, s[28:29]
; %bb.4093:                             ;   in Loop: Header=BB4_3167 Depth=4
	v_cmp_lt_u64_e32 vcc, s[88:89], v[0:1]
	v_add_u32_e32 v2, 15, v6
	v_cndmask_b32_e32 v2, v4, v2, vcc
	v_cndmask_b32_e64 v4, 0, 1, vcc
	v_lshrrev_b64 v[0:1], v4, v[0:1]
; %bb.4094:                             ;   in Loop: Header=BB4_3167 Depth=4
	s_andn2_saveexec_b64 s[28:29], s[28:29]
; %bb.4095:                             ;   in Loop: Header=BB4_3167 Depth=4
	v_bfe_u32 v2, v0, 23, 1
; %bb.4096:                             ;   in Loop: Header=BB4_3167 Depth=4
	s_or_b64 exec, exec, s[28:29]
	v_lshrrev_b64 v[0:1], 21, v[0:1]
	v_cmp_gt_i32_e32 vcc, 32, v2
	v_cndmask_b32_e32 v1, 0, v1, vcc
	v_cndmask_b32_e32 v0, 3, v0, vcc
	v_cmp_eq_u64_e64 s[28:29], 0, v[0:1]
	v_min_i32_e32 v1, 31, v2
	v_lshlrev_b32_e32 v1, 2, v1
	v_cmp_eq_u32_e32 vcc, 0, v2
	v_and_b32_e32 v1, 0xfc, v1
	v_and_or_b32 v0, v0, 3, v1
	s_and_b64 s[28:29], vcc, s[28:29]
	v_cndmask_b32_e64 v0, v0, 0, s[28:29]
	v_or_b32_e32 v6, v0, v21
.LBB4_4097:                             ;   in Loop: Header=BB4_3167 Depth=4
	s_or_b64 exec, exec, s[36:37]
                                        ; implicit-def: $vgpr21
.LBB4_4098:                             ;   in Loop: Header=BB4_3167 Depth=4
	s_andn2_saveexec_b64 s[28:29], s[34:35]
; %bb.4099:                             ;   in Loop: Header=BB4_3167 Depth=4
	v_or_b32_e32 v6, 0x7b, v21
; %bb.4100:                             ;   in Loop: Header=BB4_3167 Depth=4
	s_or_b64 exec, exec, s[28:29]
                                        ; implicit-def: $vgpr2
                                        ; implicit-def: $vgpr0_vgpr1
.LBB4_4101:                             ;   in Loop: Header=BB4_3167 Depth=4
	s_andn2_saveexec_b64 s[28:29], s[30:31]
	s_cbranch_execz .LBB4_4107
; %bb.4102:                             ;   in Loop: Header=BB4_3167 Depth=4
	v_cmp_ne_u64_e32 vcc, 0, v[0:1]
                                        ; implicit-def: $vgpr6
	s_and_saveexec_b64 s[30:31], vcc
	s_xor_b64 vcc, exec, s[30:31]
; %bb.4103:                             ;   in Loop: Header=BB4_3167 Depth=4
	v_or_b32_sdwa v6, v2, s47 dst_sel:DWORD dst_unused:UNUSED_PAD src0_sel:BYTE_3 src1_sel:DWORD
                                        ; implicit-def: $vgpr2
; %bb.4104:                             ;   in Loop: Header=BB4_3167 Depth=4
	s_andn2_saveexec_b64 s[30:31], vcc
; %bb.4105:                             ;   in Loop: Header=BB4_3167 Depth=4
	v_cmp_lt_i32_e32 vcc, -1, v2
	v_bfrev_b32_e32 v0, 0.5
	v_cndmask_b32_e32 v6, v0, v52, vcc
; %bb.4106:                             ;   in Loop: Header=BB4_3167 Depth=4
	s_or_b64 exec, exec, s[30:31]
.LBB4_4107:                             ;   in Loop: Header=BB4_3167 Depth=4
	s_or_b64 exec, exec, s[28:29]
	v_lshrrev_b16_e32 v0, 8, v18
	v_cmp_ne_u16_e32 vcc, 0, v0
	v_mov_b32_e32 v2, 0
	v_mov_b32_e32 v4, 0
	s_and_saveexec_b64 s[28:29], vcc
	s_cbranch_execz .LBB4_4115
; %bb.4108:                             ;   in Loop: Header=BB4_3167 Depth=4
	v_cmp_ne_u16_e32 vcc, s96, v0
	v_bfrev_b32_e32 v4, 1
	s_and_saveexec_b64 s[30:31], vcc
	s_cbranch_execz .LBB4_4114
; %bb.4109:                             ;   in Loop: Header=BB4_3167 Depth=4
	v_and_b32_e32 v1, 0x7c, v0
	v_and_b32_e32 v21, 3, v0
	v_cmp_ne_u32_e32 vcc, s85, v1
                                        ; implicit-def: $vgpr4
	s_and_saveexec_b64 s[34:35], vcc
	s_xor_b64 s[34:35], exec, s[34:35]
	s_cbranch_execz .LBB4_4111
; %bb.4110:                             ;   in Loop: Header=BB4_3167 Depth=4
	v_ffbh_u32_e32 v28, v21
	v_min_u32_e32 v28, 32, v28
	v_mov_b32_e32 v1, v17
	v_subrev_u32_e32 v29, 29, v28
	v_bfe_u32 v4, v0, 2, 5
	v_lshlrev_b64 v[0:1], v29, v[0:1]
	v_sub_u32_e32 v1, 30, v28
	v_cmp_eq_u32_e32 vcc, 0, v4
	v_cndmask_b32_e32 v1, v4, v1, vcc
	v_lshlrev_b32_e32 v4, 16, v18
	v_and_b32_e32 v0, 3, v0
	v_and_b32_e32 v4, 0x80000000, v4
	v_cndmask_b32_e32 v0, v21, v0, vcc
	v_lshl_add_u32 v1, v1, 23, v4
	v_lshl_or_b32 v0, v0, 21, v1
	v_add_u32_e32 v4, 0x38000000, v0
                                        ; implicit-def: $vgpr21
                                        ; implicit-def: $vgpr18
.LBB4_4111:                             ;   in Loop: Header=BB4_3167 Depth=4
	s_andn2_saveexec_b64 s[34:35], s[34:35]
; %bb.4112:                             ;   in Loop: Header=BB4_3167 Depth=4
	v_cmp_lt_i16_e32 vcc, -1, v18
	v_mov_b32_e32 v0, 0xff800000
	v_mov_b32_e32 v1, 0x7f800000
	v_cndmask_b32_e32 v0, v0, v1, vcc
	v_cmp_eq_u32_e32 vcc, 0, v21
	v_mov_b32_e32 v1, 0x7f800001
	v_cndmask_b32_e32 v4, v1, v0, vcc
; %bb.4113:                             ;   in Loop: Header=BB4_3167 Depth=4
	s_or_b64 exec, exec, s[34:35]
.LBB4_4114:                             ;   in Loop: Header=BB4_3167 Depth=4
	s_or_b64 exec, exec, s[30:31]
.LBB4_4115:                             ;   in Loop: Header=BB4_3167 Depth=4
	s_or_b64 exec, exec, s[28:29]
	v_lshrrev_b16_e32 v0, 8, v12
	v_cmp_ne_u16_e32 vcc, 0, v0
	s_and_saveexec_b64 s[28:29], vcc
	s_cbranch_execz .LBB4_4123
; %bb.4116:                             ;   in Loop: Header=BB4_3167 Depth=4
	v_cmp_ne_u16_e32 vcc, s96, v0
	v_bfrev_b32_e32 v2, 1
	s_and_saveexec_b64 s[30:31], vcc
	s_cbranch_execz .LBB4_4122
; %bb.4117:                             ;   in Loop: Header=BB4_3167 Depth=4
	v_and_b32_e32 v1, 0x7c, v0
	v_and_b32_e32 v18, 3, v0
	v_cmp_ne_u32_e32 vcc, s85, v1
                                        ; implicit-def: $vgpr2
	s_and_saveexec_b64 s[34:35], vcc
	s_xor_b64 s[34:35], exec, s[34:35]
	s_cbranch_execz .LBB4_4119
; %bb.4118:                             ;   in Loop: Header=BB4_3167 Depth=4
	v_ffbh_u32_e32 v21, v18
	v_min_u32_e32 v21, 32, v21
	v_mov_b32_e32 v1, v17
	v_subrev_u32_e32 v28, 29, v21
	v_bfe_u32 v2, v0, 2, 5
	v_lshlrev_b64 v[0:1], v28, v[0:1]
	v_sub_u32_e32 v1, 30, v21
	v_cmp_eq_u32_e32 vcc, 0, v2
	v_cndmask_b32_e32 v1, v2, v1, vcc
	v_lshlrev_b32_e32 v2, 16, v12
	v_and_b32_e32 v0, 3, v0
	v_and_b32_e32 v2, 0x80000000, v2
	v_cndmask_b32_e32 v0, v18, v0, vcc
	v_lshl_add_u32 v1, v1, 23, v2
	v_lshl_or_b32 v0, v0, 21, v1
	v_add_u32_e32 v2, 0x38000000, v0
                                        ; implicit-def: $vgpr18
.LBB4_4119:                             ;   in Loop: Header=BB4_3167 Depth=4
	s_andn2_saveexec_b64 s[34:35], s[34:35]
; %bb.4120:                             ;   in Loop: Header=BB4_3167 Depth=4
	v_cmp_lt_i16_e32 vcc, -1, v12
	v_mov_b32_e32 v0, 0xff800000
	v_mov_b32_e32 v1, 0x7f800000
	v_cndmask_b32_e32 v0, v0, v1, vcc
	v_cmp_eq_u32_e32 vcc, 0, v18
	v_mov_b32_e32 v1, 0x7f800001
	v_cndmask_b32_e32 v2, v1, v0, vcc
; %bb.4121:                             ;   in Loop: Header=BB4_3167 Depth=4
	s_or_b64 exec, exec, s[34:35]
.LBB4_4122:                             ;   in Loop: Header=BB4_3167 Depth=4
	s_or_b64 exec, exec, s[30:31]
.LBB4_4123:                             ;   in Loop: Header=BB4_3167 Depth=4
	s_or_b64 exec, exec, s[28:29]
	v_add_f32_e32 v2, v4, v2
	v_and_b32_e32 v40, 0x7f800000, v2
	v_mov_b32_e32 v41, v17
	v_cmp_ne_u64_e32 vcc, s[76:77], v[40:41]
	v_and_b32_e32 v0, 0x7fffff, v2
	v_mov_b32_e32 v1, v17
                                        ; implicit-def: $vgpr18
	s_and_saveexec_b64 s[28:29], vcc
	s_xor_b64 s[30:31], exec, s[28:29]
	s_cbranch_execz .LBB4_4137
; %bb.4124:                             ;   in Loop: Header=BB4_3167 Depth=4
	v_and_b32_e32 v40, 0x7fffffff, v2
	v_mov_b32_e32 v41, v17
	v_cmp_gt_u64_e32 vcc, s[78:79], v[40:41]
	v_and_b32_sdwa v21, v2, s96 dst_sel:DWORD dst_unused:UNUSED_PAD src0_sel:BYTE_3 src1_sel:DWORD
                                        ; implicit-def: $vgpr18
	s_and_saveexec_b64 s[28:29], vcc
	s_xor_b64 s[34:35], exec, s[28:29]
	s_cbranch_execz .LBB4_4134
; %bb.4125:                             ;   in Loop: Header=BB4_3167 Depth=4
	v_mov_b32_e32 v18, 0
	v_cmp_ne_u32_e32 vcc, 0, v2
	s_and_saveexec_b64 s[36:37], vcc
	s_cbranch_execz .LBB4_4133
; %bb.4126:                             ;   in Loop: Header=BB4_3167 Depth=4
	v_bfe_u32 v4, v2, 23, 8
	v_cmp_gt_u32_e64 s[28:29], s46, v4
	v_sub_u32_e32 v2, 0x71, v4
	v_cmp_eq_u32_e32 vcc, 0, v4
	v_cndmask_b32_e64 v2, 0, v2, s[28:29]
	v_mov_b32_e32 v18, 0x70
	v_cndmask_b32_e32 v18, v2, v18, vcc
	v_add_u32_e32 v2, 21, v18
	v_or_b32_e32 v28, 0x800000, v0
	v_lshlrev_b64 v[40:41], v2, -1
	v_cndmask_b32_e32 v0, v28, v0, vcc
	v_add_u32_e32 v2, 20, v18
	v_bfi_b32 v40, v40, 0, v0
	v_lshlrev_b64 v[42:43], v2, 1
	v_lshrrev_b64 v[0:1], v18, v[0:1]
	v_bfi_b32 v41, v41, 0, 0
	v_cmp_eq_u64_e64 s[28:29], v[40:41], v[42:43]
	v_mov_b32_e32 v2, v1
	v_mov_b32_e32 v1, v0
	s_and_saveexec_b64 s[38:39], s[28:29]
; %bb.4127:                             ;   in Loop: Header=BB4_3167 Depth=4
	v_bfe_u32 v1, v0, 21, 1
	v_add_co_u32_e64 v1, s[28:29], v0, v1
	v_add_co_u32_e64 v1, s[28:29], -1, v1
; %bb.4128:                             ;   in Loop: Header=BB4_3167 Depth=4
	s_or_b64 exec, exec, s[38:39]
	v_add_u32_e32 v2, 0xffffff81, v4
	v_mov_b32_e32 v4, 0xffffff82
	v_cndmask_b32_e32 v2, v2, v4, vcc
	v_lshrrev_b32_e32 v4, 23, v0
	v_add3_u32 v18, v18, v2, v4
	v_add_u32_e32 v4, 14, v18
	v_and_b32_e32 v1, 0x1fffff, v1
	v_add_u32_e32 v0, v1, v0
	v_mov_b32_e32 v1, v17
	v_cmp_ne_u32_e32 vcc, 0, v4
                                        ; implicit-def: $vgpr2
	s_and_saveexec_b64 s[28:29], vcc
	s_xor_b64 s[28:29], exec, s[28:29]
; %bb.4129:                             ;   in Loop: Header=BB4_3167 Depth=4
	v_cmp_lt_u64_e32 vcc, s[88:89], v[0:1]
	v_add_u32_e32 v2, 15, v18
	v_cndmask_b32_e32 v2, v4, v2, vcc
	v_cndmask_b32_e64 v4, 0, 1, vcc
	v_lshrrev_b64 v[0:1], v4, v[0:1]
; %bb.4130:                             ;   in Loop: Header=BB4_3167 Depth=4
	s_andn2_saveexec_b64 s[28:29], s[28:29]
; %bb.4131:                             ;   in Loop: Header=BB4_3167 Depth=4
	v_bfe_u32 v2, v0, 23, 1
; %bb.4132:                             ;   in Loop: Header=BB4_3167 Depth=4
	s_or_b64 exec, exec, s[28:29]
	v_lshrrev_b64 v[0:1], 21, v[0:1]
	v_cmp_gt_i32_e32 vcc, 32, v2
	v_cndmask_b32_e32 v1, 0, v1, vcc
	v_cndmask_b32_e32 v0, 3, v0, vcc
	v_cmp_eq_u64_e64 s[28:29], 0, v[0:1]
	v_min_i32_e32 v1, 31, v2
	v_lshlrev_b32_e32 v1, 2, v1
	v_cmp_eq_u32_e32 vcc, 0, v2
	v_and_b32_e32 v1, 0xfc, v1
	v_and_or_b32 v0, v0, 3, v1
	s_and_b64 s[28:29], vcc, s[28:29]
	v_cndmask_b32_e64 v0, v0, 0, s[28:29]
	v_or_b32_e32 v18, v0, v21
.LBB4_4133:                             ;   in Loop: Header=BB4_3167 Depth=4
	s_or_b64 exec, exec, s[36:37]
                                        ; implicit-def: $vgpr21
.LBB4_4134:                             ;   in Loop: Header=BB4_3167 Depth=4
	s_andn2_saveexec_b64 s[28:29], s[34:35]
; %bb.4135:                             ;   in Loop: Header=BB4_3167 Depth=4
	v_or_b32_e32 v18, 0x7b, v21
; %bb.4136:                             ;   in Loop: Header=BB4_3167 Depth=4
	s_or_b64 exec, exec, s[28:29]
                                        ; implicit-def: $vgpr2
                                        ; implicit-def: $vgpr0_vgpr1
.LBB4_4137:                             ;   in Loop: Header=BB4_3167 Depth=4
	s_andn2_saveexec_b64 s[28:29], s[30:31]
	s_cbranch_execz .LBB4_4143
; %bb.4138:                             ;   in Loop: Header=BB4_3167 Depth=4
	v_cmp_ne_u64_e32 vcc, 0, v[0:1]
                                        ; implicit-def: $vgpr18
	s_and_saveexec_b64 s[30:31], vcc
	s_xor_b64 vcc, exec, s[30:31]
; %bb.4139:                             ;   in Loop: Header=BB4_3167 Depth=4
	v_or_b32_sdwa v18, v2, s47 dst_sel:DWORD dst_unused:UNUSED_PAD src0_sel:BYTE_3 src1_sel:DWORD
                                        ; implicit-def: $vgpr2
; %bb.4140:                             ;   in Loop: Header=BB4_3167 Depth=4
	s_andn2_saveexec_b64 s[30:31], vcc
; %bb.4141:                             ;   in Loop: Header=BB4_3167 Depth=4
	v_cmp_lt_i32_e32 vcc, -1, v2
	v_bfrev_b32_e32 v0, 0.5
	v_cndmask_b32_e32 v18, v0, v52, vcc
; %bb.4142:                             ;   in Loop: Header=BB4_3167 Depth=4
	s_or_b64 exec, exec, s[30:31]
.LBB4_4143:                             ;   in Loop: Header=BB4_3167 Depth=4
	s_or_b64 exec, exec, s[28:29]
	v_and_b32_sdwa v4, v16, s87 dst_sel:DWORD dst_unused:UNUSED_PAD src0_sel:WORD_1 src1_sel:DWORD
	v_lshrrev_b32_e32 v0, 16, v16
	v_cmp_ne_u16_e32 vcc, 0, v4
	v_mov_b32_e32 v1, 0
	v_mov_b32_e32 v2, 0
	s_and_saveexec_b64 s[28:29], vcc
	s_cbranch_execz .LBB4_4151
; %bb.4144:                             ;   in Loop: Header=BB4_3167 Depth=4
	v_cmp_ne_u16_e32 vcc, s96, v4
	v_bfrev_b32_e32 v2, 1
	s_and_saveexec_b64 s[30:31], vcc
	s_cbranch_execz .LBB4_4150
; %bb.4145:                             ;   in Loop: Header=BB4_3167 Depth=4
	v_and_b32_e32 v2, 0x7c0000, v16
	v_bfe_u32 v4, v16, 16, 2
	v_cmp_ne_u32_e32 vcc, s44, v2
                                        ; implicit-def: $vgpr2
	s_and_saveexec_b64 s[34:35], vcc
	s_xor_b64 s[34:35], exec, s[34:35]
	s_cbranch_execz .LBB4_4147
; %bb.4146:                             ;   in Loop: Header=BB4_3167 Depth=4
	v_ffbh_u32_e32 v21, v4
	v_min_u32_e32 v21, 32, v21
	v_subrev_u32_e32 v28, 29, v21
	v_lshlrev_b64 v[40:41], v28, v[0:1]
	v_bfe_u32 v2, v16, 18, 5
	v_sub_u32_e32 v0, 30, v21
	v_and_b32_e32 v21, 3, v40
	v_cmp_eq_u32_e32 vcc, 0, v2
	v_cndmask_b32_e32 v0, v2, v0, vcc
	v_cndmask_b32_e32 v2, v4, v21, vcc
	v_lshlrev_b32_e32 v4, 8, v16
	v_and_b32_e32 v4, 0x80000000, v4
	v_lshl_add_u32 v0, v0, 23, v4
	v_lshl_or_b32 v0, v2, 21, v0
	v_add_u32_e32 v2, 0x38000000, v0
                                        ; implicit-def: $vgpr4
                                        ; implicit-def: $vgpr0
.LBB4_4147:                             ;   in Loop: Header=BB4_3167 Depth=4
	s_andn2_saveexec_b64 s[34:35], s[34:35]
; %bb.4148:                             ;   in Loop: Header=BB4_3167 Depth=4
	v_mov_b32_e32 v2, -1
	v_cmp_gt_i16_sdwa vcc, sext(v0), v2 src0_sel:BYTE_0 src1_sel:DWORD
	v_mov_b32_e32 v0, 0xff800000
	v_mov_b32_e32 v2, 0x7f800000
	v_cndmask_b32_e32 v0, v0, v2, vcc
	v_cmp_eq_u32_e32 vcc, 0, v4
	v_mov_b32_e32 v2, 0x7f800001
	v_cndmask_b32_e32 v2, v2, v0, vcc
; %bb.4149:                             ;   in Loop: Header=BB4_3167 Depth=4
	s_or_b64 exec, exec, s[34:35]
.LBB4_4150:                             ;   in Loop: Header=BB4_3167 Depth=4
	s_or_b64 exec, exec, s[30:31]
.LBB4_4151:                             ;   in Loop: Header=BB4_3167 Depth=4
	s_or_b64 exec, exec, s[28:29]
	v_lshrrev_b32_e32 v0, 16, v12
	v_cmp_ne_u16_sdwa vcc, v0, v17 src0_sel:BYTE_0 src1_sel:DWORD
	s_and_saveexec_b64 s[28:29], vcc
	s_cbranch_execz .LBB4_4159
; %bb.4152:                             ;   in Loop: Header=BB4_3167 Depth=4
	v_cmp_ne_u16_sdwa vcc, v0, s96 src0_sel:BYTE_0 src1_sel:DWORD
	v_bfrev_b32_e32 v1, 1
	s_and_saveexec_b64 s[30:31], vcc
	s_cbranch_execz .LBB4_4158
; %bb.4153:                             ;   in Loop: Header=BB4_3167 Depth=4
	v_and_b32_e32 v1, 0x7c0000, v12
	v_bfe_u32 v4, v12, 16, 2
	v_cmp_ne_u32_e32 vcc, s44, v1
                                        ; implicit-def: $vgpr1
	s_and_saveexec_b64 s[34:35], vcc
	s_xor_b64 s[34:35], exec, s[34:35]
	s_cbranch_execz .LBB4_4155
; %bb.4154:                             ;   in Loop: Header=BB4_3167 Depth=4
	v_ffbh_u32_e32 v1, v4
	v_min_u32_e32 v28, 32, v1
	v_subrev_u32_e32 v1, 29, v28
	v_lshlrev_b64 v[0:1], v1, v[0:1]
	v_bfe_u32 v21, v12, 18, 5
	v_and_b32_e32 v0, 3, v0
	v_cmp_eq_u32_e32 vcc, 0, v21
	v_sub_u32_e32 v1, 30, v28
	v_cndmask_b32_e32 v0, v4, v0, vcc
	v_lshlrev_b32_e32 v4, 8, v12
	v_cndmask_b32_e32 v1, v21, v1, vcc
	v_and_b32_e32 v4, 0x80000000, v4
	v_lshl_add_u32 v1, v1, 23, v4
	v_lshl_or_b32 v0, v0, 21, v1
	v_add_u32_e32 v1, 0x38000000, v0
                                        ; implicit-def: $vgpr4
                                        ; implicit-def: $vgpr0
.LBB4_4155:                             ;   in Loop: Header=BB4_3167 Depth=4
	s_andn2_saveexec_b64 s[34:35], s[34:35]
; %bb.4156:                             ;   in Loop: Header=BB4_3167 Depth=4
	v_mov_b32_e32 v1, -1
	v_cmp_gt_i16_sdwa vcc, sext(v0), v1 src0_sel:BYTE_0 src1_sel:DWORD
	v_mov_b32_e32 v0, 0xff800000
	v_mov_b32_e32 v1, 0x7f800000
	v_cndmask_b32_e32 v0, v0, v1, vcc
	v_cmp_eq_u32_e32 vcc, 0, v4
	v_mov_b32_e32 v1, 0x7f800001
	v_cndmask_b32_e32 v1, v1, v0, vcc
; %bb.4157:                             ;   in Loop: Header=BB4_3167 Depth=4
	s_or_b64 exec, exec, s[34:35]
.LBB4_4158:                             ;   in Loop: Header=BB4_3167 Depth=4
	s_or_b64 exec, exec, s[30:31]
.LBB4_4159:                             ;   in Loop: Header=BB4_3167 Depth=4
	s_or_b64 exec, exec, s[28:29]
	v_add_f32_e32 v2, v2, v1
	v_and_b32_e32 v40, 0x7f800000, v2
	v_mov_b32_e32 v41, v17
	v_cmp_ne_u64_e32 vcc, s[76:77], v[40:41]
	v_and_b32_e32 v0, 0x7fffff, v2
	v_mov_b32_e32 v1, v17
                                        ; implicit-def: $vgpr21
	s_and_saveexec_b64 s[28:29], vcc
	s_xor_b64 s[30:31], exec, s[28:29]
	s_cbranch_execz .LBB4_4173
; %bb.4160:                             ;   in Loop: Header=BB4_3167 Depth=4
	v_and_b32_e32 v40, 0x7fffffff, v2
	v_mov_b32_e32 v41, v17
	v_cmp_gt_u64_e32 vcc, s[78:79], v[40:41]
	v_and_b32_sdwa v32, v2, s96 dst_sel:DWORD dst_unused:UNUSED_PAD src0_sel:BYTE_3 src1_sel:DWORD
                                        ; implicit-def: $vgpr21
	s_and_saveexec_b64 s[28:29], vcc
	s_xor_b64 s[34:35], exec, s[28:29]
	s_cbranch_execz .LBB4_4170
; %bb.4161:                             ;   in Loop: Header=BB4_3167 Depth=4
	v_mov_b32_e32 v21, 0
	v_cmp_ne_u32_e32 vcc, 0, v2
	s_and_saveexec_b64 s[36:37], vcc
	s_cbranch_execz .LBB4_4169
; %bb.4162:                             ;   in Loop: Header=BB4_3167 Depth=4
	v_bfe_u32 v4, v2, 23, 8
	v_cmp_gt_u32_e64 s[28:29], s46, v4
	v_sub_u32_e32 v2, 0x71, v4
	v_cmp_eq_u32_e32 vcc, 0, v4
	v_cndmask_b32_e64 v2, 0, v2, s[28:29]
	v_mov_b32_e32 v21, 0x70
	v_cndmask_b32_e32 v21, v2, v21, vcc
	v_add_u32_e32 v2, 21, v21
	v_or_b32_e32 v28, 0x800000, v0
	v_lshlrev_b64 v[40:41], v2, -1
	v_cndmask_b32_e32 v0, v28, v0, vcc
	v_add_u32_e32 v2, 20, v21
	v_bfi_b32 v40, v40, 0, v0
	v_lshlrev_b64 v[42:43], v2, 1
	v_lshrrev_b64 v[0:1], v21, v[0:1]
	v_bfi_b32 v41, v41, 0, 0
	v_cmp_eq_u64_e64 s[28:29], v[40:41], v[42:43]
	v_mov_b32_e32 v2, v1
	v_mov_b32_e32 v1, v0
	s_and_saveexec_b64 s[38:39], s[28:29]
; %bb.4163:                             ;   in Loop: Header=BB4_3167 Depth=4
	v_bfe_u32 v1, v0, 21, 1
	v_add_co_u32_e64 v1, s[28:29], v0, v1
	v_add_co_u32_e64 v1, s[28:29], -1, v1
; %bb.4164:                             ;   in Loop: Header=BB4_3167 Depth=4
	s_or_b64 exec, exec, s[38:39]
	v_add_u32_e32 v2, 0xffffff81, v4
	v_mov_b32_e32 v4, 0xffffff82
	v_cndmask_b32_e32 v2, v2, v4, vcc
	v_lshrrev_b32_e32 v4, 23, v0
	v_add3_u32 v21, v21, v2, v4
	v_add_u32_e32 v4, 14, v21
	v_and_b32_e32 v1, 0x1fffff, v1
	v_add_u32_e32 v0, v1, v0
	v_mov_b32_e32 v1, v17
	v_cmp_ne_u32_e32 vcc, 0, v4
                                        ; implicit-def: $vgpr2
	s_and_saveexec_b64 s[28:29], vcc
	s_xor_b64 s[28:29], exec, s[28:29]
; %bb.4165:                             ;   in Loop: Header=BB4_3167 Depth=4
	v_cmp_lt_u64_e32 vcc, s[88:89], v[0:1]
	v_add_u32_e32 v2, 15, v21
	v_cndmask_b32_e32 v2, v4, v2, vcc
	v_cndmask_b32_e64 v4, 0, 1, vcc
	v_lshrrev_b64 v[0:1], v4, v[0:1]
; %bb.4166:                             ;   in Loop: Header=BB4_3167 Depth=4
	s_andn2_saveexec_b64 s[28:29], s[28:29]
; %bb.4167:                             ;   in Loop: Header=BB4_3167 Depth=4
	v_bfe_u32 v2, v0, 23, 1
; %bb.4168:                             ;   in Loop: Header=BB4_3167 Depth=4
	s_or_b64 exec, exec, s[28:29]
	v_lshrrev_b64 v[0:1], 21, v[0:1]
	v_cmp_gt_i32_e32 vcc, 32, v2
	v_cndmask_b32_e32 v1, 0, v1, vcc
	v_cndmask_b32_e32 v0, 3, v0, vcc
	v_cmp_eq_u64_e64 s[28:29], 0, v[0:1]
	v_min_i32_e32 v1, 31, v2
	v_lshlrev_b32_e32 v1, 2, v1
	v_cmp_eq_u32_e32 vcc, 0, v2
	v_and_b32_e32 v1, 0xfc, v1
	v_and_or_b32 v0, v0, 3, v1
	s_and_b64 s[28:29], vcc, s[28:29]
	v_cndmask_b32_e64 v0, v0, 0, s[28:29]
	v_or_b32_e32 v21, v0, v32
.LBB4_4169:                             ;   in Loop: Header=BB4_3167 Depth=4
	s_or_b64 exec, exec, s[36:37]
                                        ; implicit-def: $vgpr32
.LBB4_4170:                             ;   in Loop: Header=BB4_3167 Depth=4
	s_andn2_saveexec_b64 s[28:29], s[34:35]
; %bb.4171:                             ;   in Loop: Header=BB4_3167 Depth=4
	v_or_b32_e32 v21, 0x7b, v32
; %bb.4172:                             ;   in Loop: Header=BB4_3167 Depth=4
	s_or_b64 exec, exec, s[28:29]
                                        ; implicit-def: $vgpr2
                                        ; implicit-def: $vgpr0_vgpr1
.LBB4_4173:                             ;   in Loop: Header=BB4_3167 Depth=4
	s_andn2_saveexec_b64 s[28:29], s[30:31]
	s_cbranch_execz .LBB4_4179
; %bb.4174:                             ;   in Loop: Header=BB4_3167 Depth=4
	v_cmp_ne_u64_e32 vcc, 0, v[0:1]
                                        ; implicit-def: $vgpr21
	s_and_saveexec_b64 s[30:31], vcc
	s_xor_b64 vcc, exec, s[30:31]
; %bb.4175:                             ;   in Loop: Header=BB4_3167 Depth=4
	v_or_b32_sdwa v21, v2, s47 dst_sel:DWORD dst_unused:UNUSED_PAD src0_sel:BYTE_3 src1_sel:DWORD
                                        ; implicit-def: $vgpr2
; %bb.4176:                             ;   in Loop: Header=BB4_3167 Depth=4
	s_andn2_saveexec_b64 s[30:31], vcc
; %bb.4177:                             ;   in Loop: Header=BB4_3167 Depth=4
	v_cmp_lt_i32_e32 vcc, -1, v2
	v_bfrev_b32_e32 v0, 0.5
	v_cndmask_b32_e32 v21, v0, v52, vcc
; %bb.4178:                             ;   in Loop: Header=BB4_3167 Depth=4
	s_or_b64 exec, exec, s[30:31]
.LBB4_4179:                             ;   in Loop: Header=BB4_3167 Depth=4
	s_or_b64 exec, exec, s[28:29]
	v_cmp_lt_u32_e32 vcc, s57, v16
	v_mov_b32_e32 v1, 0
	v_mov_b32_e32 v2, 0
	s_and_saveexec_b64 s[28:29], vcc
	s_cbranch_execz .LBB4_4187
; %bb.4180:                             ;   in Loop: Header=BB4_3167 Depth=4
	v_lshrrev_b32_e32 v0, 24, v16
	v_cmp_ne_u32_e32 vcc, s96, v0
	v_bfrev_b32_e32 v2, 1
	s_and_saveexec_b64 s[30:31], vcc
	s_cbranch_execz .LBB4_4186
; %bb.4181:                             ;   in Loop: Header=BB4_3167 Depth=4
	v_and_b32_e32 v2, 0x7c000000, v16
	v_bfe_u32 v4, v16, 24, 2
	v_cmp_ne_u32_e32 vcc, s45, v2
                                        ; implicit-def: $vgpr2
	s_and_saveexec_b64 s[34:35], vcc
	s_xor_b64 s[34:35], exec, s[34:35]
	s_cbranch_execz .LBB4_4183
; %bb.4182:                             ;   in Loop: Header=BB4_3167 Depth=4
	v_ffbh_u32_e32 v28, v4
	v_min_u32_e32 v28, 32, v28
	v_subrev_u32_e32 v29, 29, v28
	v_lshlrev_b64 v[40:41], v29, v[0:1]
	v_bfe_u32 v2, v16, 26, 5
	v_sub_u32_e32 v0, 30, v28
	v_and_b32_e32 v28, 3, v40
	v_cmp_eq_u32_e32 vcc, 0, v2
	v_cndmask_b32_e32 v0, v2, v0, vcc
	v_cndmask_b32_e32 v2, v4, v28, vcc
	v_and_b32_e32 v4, 0x80000000, v16
	v_lshl_add_u32 v0, v0, 23, v4
	v_lshl_or_b32 v0, v2, 21, v0
	v_add_u32_e32 v2, 0x38000000, v0
                                        ; implicit-def: $vgpr4
.LBB4_4183:                             ;   in Loop: Header=BB4_3167 Depth=4
	s_andn2_saveexec_b64 s[34:35], s[34:35]
; %bb.4184:                             ;   in Loop: Header=BB4_3167 Depth=4
	v_cmp_lt_i32_e32 vcc, -1, v16
	v_mov_b32_e32 v0, 0xff800000
	v_mov_b32_e32 v2, 0x7f800000
	v_cndmask_b32_e32 v0, v0, v2, vcc
	v_cmp_eq_u32_e32 vcc, 0, v4
	v_mov_b32_e32 v2, 0x7f800001
	v_cndmask_b32_e32 v2, v2, v0, vcc
; %bb.4185:                             ;   in Loop: Header=BB4_3167 Depth=4
	s_or_b64 exec, exec, s[34:35]
.LBB4_4186:                             ;   in Loop: Header=BB4_3167 Depth=4
	s_or_b64 exec, exec, s[30:31]
.LBB4_4187:                             ;   in Loop: Header=BB4_3167 Depth=4
	s_or_b64 exec, exec, s[28:29]
	v_cmp_lt_u32_e32 vcc, s57, v12
	s_and_saveexec_b64 s[28:29], vcc
	s_cbranch_execz .LBB4_4195
; %bb.4188:                             ;   in Loop: Header=BB4_3167 Depth=4
	v_lshrrev_b32_e32 v0, 24, v12
	v_cmp_ne_u32_e32 vcc, s96, v0
	v_bfrev_b32_e32 v1, 1
	s_and_saveexec_b64 s[30:31], vcc
	s_cbranch_execz .LBB4_4194
; %bb.4189:                             ;   in Loop: Header=BB4_3167 Depth=4
	v_and_b32_e32 v1, 0x7c000000, v12
	v_bfe_u32 v4, v12, 24, 2
	v_cmp_ne_u32_e32 vcc, s45, v1
                                        ; implicit-def: $vgpr1
	s_and_saveexec_b64 s[34:35], vcc
	s_xor_b64 s[34:35], exec, s[34:35]
	s_cbranch_execz .LBB4_4191
; %bb.4190:                             ;   in Loop: Header=BB4_3167 Depth=4
	v_ffbh_u32_e32 v1, v4
	v_min_u32_e32 v28, 32, v1
	v_subrev_u32_e32 v1, 29, v28
	v_lshlrev_b64 v[0:1], v1, v[0:1]
	v_bfe_u32 v16, v12, 26, 5
	v_sub_u32_e32 v1, 30, v28
	v_and_b32_e32 v0, 3, v0
	v_cmp_eq_u32_e32 vcc, 0, v16
	v_cndmask_b32_e32 v1, v16, v1, vcc
	v_cndmask_b32_e32 v0, v4, v0, vcc
	v_and_b32_e32 v4, 0x80000000, v12
	v_lshl_add_u32 v1, v1, 23, v4
	v_lshl_or_b32 v0, v0, 21, v1
	v_add_u32_e32 v1, 0x38000000, v0
                                        ; implicit-def: $vgpr4
.LBB4_4191:                             ;   in Loop: Header=BB4_3167 Depth=4
	s_andn2_saveexec_b64 s[34:35], s[34:35]
; %bb.4192:                             ;   in Loop: Header=BB4_3167 Depth=4
	v_cmp_lt_i32_e32 vcc, -1, v12
	v_mov_b32_e32 v0, 0xff800000
	v_mov_b32_e32 v1, 0x7f800000
	v_cndmask_b32_e32 v0, v0, v1, vcc
	v_cmp_eq_u32_e32 vcc, 0, v4
	v_mov_b32_e32 v1, 0x7f800001
	v_cndmask_b32_e32 v1, v1, v0, vcc
; %bb.4193:                             ;   in Loop: Header=BB4_3167 Depth=4
	s_or_b64 exec, exec, s[34:35]
.LBB4_4194:                             ;   in Loop: Header=BB4_3167 Depth=4
	s_or_b64 exec, exec, s[30:31]
.LBB4_4195:                             ;   in Loop: Header=BB4_3167 Depth=4
	s_or_b64 exec, exec, s[28:29]
	v_add_f32_e32 v0, v2, v1
	v_and_b32_e32 v1, 0x7f800000, v0
	v_mov_b32_e32 v2, v17
	v_cmp_ne_u64_e32 vcc, s[76:77], v[1:2]
	v_and_b32_e32 v16, 0x7fffff, v0
                                        ; implicit-def: $vgpr32
	s_and_saveexec_b64 s[28:29], vcc
	s_xor_b64 s[30:31], exec, s[28:29]
	s_cbranch_execz .LBB4_4209
; %bb.4196:                             ;   in Loop: Header=BB4_3167 Depth=4
	v_and_b32_e32 v1, 0x7fffffff, v0
	v_mov_b32_e32 v2, v17
	v_cmp_gt_u64_e32 vcc, s[78:79], v[1:2]
	v_and_b32_sdwa v4, v0, s96 dst_sel:DWORD dst_unused:UNUSED_PAD src0_sel:BYTE_3 src1_sel:DWORD
                                        ; implicit-def: $vgpr32
	s_and_saveexec_b64 s[28:29], vcc
	s_xor_b64 s[34:35], exec, s[28:29]
	s_cbranch_execz .LBB4_4206
; %bb.4197:                             ;   in Loop: Header=BB4_3167 Depth=4
	v_mov_b32_e32 v32, 0
	v_cmp_ne_u32_e32 vcc, 0, v0
	s_and_saveexec_b64 s[36:37], vcc
	s_cbranch_execz .LBB4_4205
; %bb.4198:                             ;   in Loop: Header=BB4_3167 Depth=4
	v_bfe_u32 v32, v0, 23, 8
	v_cmp_gt_u32_e64 s[28:29], s46, v32
	v_sub_u32_e32 v0, 0x71, v32
	v_cmp_eq_u32_e32 vcc, 0, v32
	v_cndmask_b32_e64 v0, 0, v0, s[28:29]
	v_mov_b32_e32 v2, 0x70
	v_cndmask_b32_e32 v40, v0, v2, vcc
	v_add_u32_e32 v2, 21, v40
	v_or_b32_e32 v1, 0x800000, v16
	v_lshlrev_b64 v[41:42], v2, -1
	v_cndmask_b32_e32 v0, v1, v16, vcc
	v_mov_b32_e32 v1, v17
	v_add_u32_e32 v2, 20, v40
	v_bfi_b32 v41, v41, 0, v0
	v_lshlrev_b64 v[28:29], v2, 1
	v_lshrrev_b64 v[0:1], v40, v[0:1]
	v_bfi_b32 v42, v42, 0, 0
	v_cmp_eq_u64_e64 s[28:29], v[41:42], v[28:29]
	v_mov_b32_e32 v2, v1
	v_mov_b32_e32 v1, v0
	s_and_saveexec_b64 s[38:39], s[28:29]
; %bb.4199:                             ;   in Loop: Header=BB4_3167 Depth=4
	v_bfe_u32 v1, v0, 21, 1
	v_add_co_u32_e64 v1, s[28:29], v0, v1
	v_add_co_u32_e64 v1, s[28:29], -1, v1
; %bb.4200:                             ;   in Loop: Header=BB4_3167 Depth=4
	s_or_b64 exec, exec, s[38:39]
	v_add_u32_e32 v2, 0xffffff81, v32
	v_mov_b32_e32 v16, 0xffffff82
	v_cndmask_b32_e32 v2, v2, v16, vcc
	v_lshrrev_b32_e32 v16, 23, v0
	v_add3_u32 v40, v40, v2, v16
	v_add_u32_e32 v32, 14, v40
	v_and_b32_e32 v1, 0x1fffff, v1
	v_add_u32_e32 v16, v1, v0
	v_cmp_ne_u32_e32 vcc, 0, v32
                                        ; implicit-def: $vgpr0_vgpr1
                                        ; implicit-def: $vgpr2
	s_and_saveexec_b64 s[28:29], vcc
	s_xor_b64 s[28:29], exec, s[28:29]
; %bb.4201:                             ;   in Loop: Header=BB4_3167 Depth=4
	v_cmp_lt_u64_e32 vcc, s[88:89], v[16:17]
	v_add_u32_e32 v0, 15, v40
	v_cndmask_b32_e32 v2, v32, v0, vcc
	v_cndmask_b32_e64 v0, 0, 1, vcc
	v_lshrrev_b64 v[0:1], v0, v[16:17]
; %bb.4202:                             ;   in Loop: Header=BB4_3167 Depth=4
	s_andn2_saveexec_b64 s[28:29], s[28:29]
; %bb.4203:                             ;   in Loop: Header=BB4_3167 Depth=4
	v_mov_b32_e32 v0, v16
	v_mov_b32_e32 v1, v17
	v_bfe_u32 v2, v16, 23, 1
; %bb.4204:                             ;   in Loop: Header=BB4_3167 Depth=4
	s_or_b64 exec, exec, s[28:29]
	v_lshrrev_b64 v[0:1], 21, v[0:1]
	v_cmp_gt_i32_e32 vcc, 32, v2
	v_cndmask_b32_e32 v1, 0, v1, vcc
	v_cndmask_b32_e32 v0, 3, v0, vcc
	v_cmp_eq_u64_e64 s[28:29], 0, v[0:1]
	v_min_i32_e32 v1, 31, v2
	v_lshlrev_b32_e32 v1, 2, v1
	v_cmp_eq_u32_e32 vcc, 0, v2
	v_and_b32_e32 v1, 0xfc, v1
	v_and_or_b32 v0, v0, 3, v1
	s_and_b64 s[28:29], vcc, s[28:29]
	v_cndmask_b32_e64 v0, v0, 0, s[28:29]
	v_or_b32_e32 v32, v0, v4
.LBB4_4205:                             ;   in Loop: Header=BB4_3167 Depth=4
	s_or_b64 exec, exec, s[36:37]
                                        ; implicit-def: $vgpr4
.LBB4_4206:                             ;   in Loop: Header=BB4_3167 Depth=4
	s_andn2_saveexec_b64 s[28:29], s[34:35]
; %bb.4207:                             ;   in Loop: Header=BB4_3167 Depth=4
	v_or_b32_e32 v32, 0x7b, v4
; %bb.4208:                             ;   in Loop: Header=BB4_3167 Depth=4
	s_or_b64 exec, exec, s[28:29]
                                        ; implicit-def: $vgpr0
.LBB4_4209:                             ;   in Loop: Header=BB4_3167 Depth=4
	s_andn2_saveexec_b64 s[28:29], s[30:31]
	s_cbranch_execz .LBB4_4215
; %bb.4210:                             ;   in Loop: Header=BB4_3167 Depth=4
	v_cmp_ne_u64_e32 vcc, 0, v[16:17]
                                        ; implicit-def: $vgpr32
	s_and_saveexec_b64 s[30:31], vcc
	s_xor_b64 vcc, exec, s[30:31]
; %bb.4211:                             ;   in Loop: Header=BB4_3167 Depth=4
	v_or_b32_sdwa v32, v0, s47 dst_sel:DWORD dst_unused:UNUSED_PAD src0_sel:BYTE_3 src1_sel:DWORD
                                        ; implicit-def: $vgpr0
; %bb.4212:                             ;   in Loop: Header=BB4_3167 Depth=4
	s_andn2_saveexec_b64 s[30:31], vcc
; %bb.4213:                             ;   in Loop: Header=BB4_3167 Depth=4
	v_cmp_lt_i32_e32 vcc, -1, v0
	v_bfrev_b32_e32 v0, 0.5
	v_cndmask_b32_e32 v32, v0, v52, vcc
; %bb.4214:                             ;   in Loop: Header=BB4_3167 Depth=4
	s_or_b64 exec, exec, s[30:31]
.LBB4_4215:                             ;   in Loop: Header=BB4_3167 Depth=4
	s_or_b64 exec, exec, s[28:29]
	v_lshl_or_b32 v50, v50, 8, v37
	v_lshlrev_b32_e32 v0, 16, v55
	v_lshlrev_b32_e32 v1, 24, v61
	v_or3_b32 v16, v0, v1, v50
	v_cmp_ne_u32_e32 vcc, 0, v37
	v_mov_b32_e32 v0, 0
	v_mov_b32_e32 v1, 0
	s_and_saveexec_b64 s[30:31], vcc
	s_cbranch_execz .LBB4_4223
; %bb.4216:                             ;   in Loop: Header=BB4_3167 Depth=4
	v_cmp_ne_u32_e32 vcc, s96, v37
	v_bfrev_b32_e32 v1, 1
	s_and_saveexec_b64 s[34:35], vcc
	s_cbranch_execz .LBB4_4222
; %bb.4217:                             ;   in Loop: Header=BB4_3167 Depth=4
	v_and_b32_e32 v1, 0x7c, v37
	v_and_b32_e32 v2, 3, v37
	v_cmp_ne_u32_e32 vcc, s85, v1
                                        ; implicit-def: $vgpr1
	s_and_saveexec_b64 s[28:29], vcc
	s_xor_b64 s[28:29], exec, s[28:29]
	s_cbranch_execz .LBB4_4219
; %bb.4218:                             ;   in Loop: Header=BB4_3167 Depth=4
	v_ffbh_u32_e32 v4, v2
	v_min_u32_e32 v4, 32, v4
	v_bfe_u32 v1, v37, 2, 5
	v_subrev_u32_e32 v28, 29, v4
	v_lshlrev_b64 v[28:29], v28, v[16:17]
	v_sub_u32_e32 v4, 30, v4
	v_cmp_eq_u32_e32 vcc, 0, v1
	v_cndmask_b32_e32 v1, v1, v4, vcc
	v_lshlrev_b32_e32 v4, 24, v37
	v_and_b32_e32 v28, 3, v28
	v_and_b32_e32 v4, 0x80000000, v4
	v_cndmask_b32_e32 v2, v2, v28, vcc
	v_lshl_add_u32 v1, v1, 23, v4
	v_lshl_or_b32 v1, v2, 21, v1
	v_add_u32_e32 v1, 0x38000000, v1
                                        ; implicit-def: $vgpr2
                                        ; implicit-def: $vgpr37
.LBB4_4219:                             ;   in Loop: Header=BB4_3167 Depth=4
	s_andn2_saveexec_b64 s[36:37], s[28:29]
; %bb.4220:                             ;   in Loop: Header=BB4_3167 Depth=4
	v_and_b32_e32 v1, 0x80, v37
	v_cmp_eq_u32_e32 vcc, 0, v2
	v_cmp_eq_u32_e64 s[28:29], 0, v1
	v_mov_b32_e32 v1, 0xff800000
	v_mov_b32_e32 v2, 0x7f800000
	v_cndmask_b32_e64 v1, v1, v2, s[28:29]
	v_mov_b32_e32 v2, 0x7f800001
	v_cndmask_b32_e32 v1, v2, v1, vcc
; %bb.4221:                             ;   in Loop: Header=BB4_3167 Depth=4
	s_or_b64 exec, exec, s[36:37]
.LBB4_4222:                             ;   in Loop: Header=BB4_3167 Depth=4
	s_or_b64 exec, exec, s[34:35]
.LBB4_4223:                             ;   in Loop: Header=BB4_3167 Depth=4
	s_or_b64 exec, exec, s[30:31]
	v_cmp_ne_u16_sdwa vcc, v13, v17 src0_sel:BYTE_0 src1_sel:DWORD
	s_and_saveexec_b64 s[28:29], vcc
	s_cbranch_execz .LBB4_4231
; %bb.4224:                             ;   in Loop: Header=BB4_3167 Depth=4
	v_cmp_ne_u16_sdwa vcc, v13, s96 src0_sel:BYTE_0 src1_sel:DWORD
	v_bfrev_b32_e32 v0, 1
	s_and_saveexec_b64 s[30:31], vcc
	s_cbranch_execz .LBB4_4230
; %bb.4225:                             ;   in Loop: Header=BB4_3167 Depth=4
	v_and_b32_e32 v0, 0x7c, v13
	v_and_b32_e32 v2, 3, v13
	v_cmp_ne_u32_e32 vcc, s85, v0
                                        ; implicit-def: $vgpr0
	s_and_saveexec_b64 s[34:35], vcc
	s_xor_b64 s[34:35], exec, s[34:35]
	s_cbranch_execz .LBB4_4227
; %bb.4226:                             ;   in Loop: Header=BB4_3167 Depth=4
	v_ffbh_u32_e32 v4, v2
	v_min_u32_e32 v4, 32, v4
	v_mov_b32_e32 v28, v13
	v_mov_b32_e32 v29, v17
	v_bfe_u32 v0, v13, 2, 5
	v_subrev_u32_e32 v37, 29, v4
	v_lshlrev_b64 v[28:29], v37, v[28:29]
	v_sub_u32_e32 v4, 30, v4
	v_cmp_eq_u32_e32 vcc, 0, v0
	v_cndmask_b32_e32 v0, v0, v4, vcc
	v_lshlrev_b32_e32 v4, 24, v13
	v_and_b32_e32 v28, 3, v28
	v_and_b32_e32 v4, 0x80000000, v4
	v_cndmask_b32_e32 v2, v2, v28, vcc
	v_lshl_add_u32 v0, v0, 23, v4
	v_lshl_or_b32 v0, v2, 21, v0
	v_add_u32_e32 v0, 0x38000000, v0
                                        ; implicit-def: $vgpr2
.LBB4_4227:                             ;   in Loop: Header=BB4_3167 Depth=4
	s_andn2_saveexec_b64 s[34:35], s[34:35]
; %bb.4228:                             ;   in Loop: Header=BB4_3167 Depth=4
	v_mov_b32_e32 v0, -1
	v_cmp_gt_i16_sdwa vcc, sext(v13), v0 src0_sel:BYTE_0 src1_sel:DWORD
	v_mov_b32_e32 v0, 0xff800000
	v_mov_b32_e32 v4, 0x7f800000
	v_cndmask_b32_e32 v0, v0, v4, vcc
	v_cmp_eq_u32_e32 vcc, 0, v2
	v_mov_b32_e32 v2, 0x7f800001
	v_cndmask_b32_e32 v0, v2, v0, vcc
; %bb.4229:                             ;   in Loop: Header=BB4_3167 Depth=4
	s_or_b64 exec, exec, s[34:35]
.LBB4_4230:                             ;   in Loop: Header=BB4_3167 Depth=4
	s_or_b64 exec, exec, s[30:31]
.LBB4_4231:                             ;   in Loop: Header=BB4_3167 Depth=4
	s_or_b64 exec, exec, s[28:29]
	v_add_f32_e32 v2, v1, v0
	v_and_b32_e32 v28, 0x7f800000, v2
	v_mov_b32_e32 v29, v17
	v_cmp_ne_u64_e32 vcc, s[76:77], v[28:29]
	v_and_b32_e32 v0, 0x7fffff, v2
	v_mov_b32_e32 v1, v17
                                        ; implicit-def: $vgpr37
	s_and_saveexec_b64 s[28:29], vcc
	s_xor_b64 s[30:31], exec, s[28:29]
	s_cbranch_execz .LBB4_4245
; %bb.4232:                             ;   in Loop: Header=BB4_3167 Depth=4
	v_and_b32_e32 v28, 0x7fffffff, v2
	v_mov_b32_e32 v29, v17
	v_cmp_gt_u64_e32 vcc, s[78:79], v[28:29]
	v_and_b32_sdwa v4, v2, s96 dst_sel:DWORD dst_unused:UNUSED_PAD src0_sel:BYTE_3 src1_sel:DWORD
                                        ; implicit-def: $vgpr37
	s_and_saveexec_b64 s[28:29], vcc
	s_xor_b64 s[34:35], exec, s[28:29]
	s_cbranch_execz .LBB4_4242
; %bb.4233:                             ;   in Loop: Header=BB4_3167 Depth=4
	v_mov_b32_e32 v37, 0
	v_cmp_ne_u32_e32 vcc, 0, v2
	s_and_saveexec_b64 s[36:37], vcc
	s_cbranch_execz .LBB4_4241
; %bb.4234:                             ;   in Loop: Header=BB4_3167 Depth=4
	v_bfe_u32 v37, v2, 23, 8
	v_cmp_gt_u32_e64 s[28:29], s46, v37
	v_sub_u32_e32 v2, 0x71, v37
	v_cmp_eq_u32_e32 vcc, 0, v37
	v_cndmask_b32_e64 v2, 0, v2, s[28:29]
	v_mov_b32_e32 v29, 0x70
	v_cndmask_b32_e32 v55, v2, v29, vcc
	v_or_b32_e32 v28, 0x800000, v0
	v_add_u32_e32 v2, 21, v55
	v_cndmask_b32_e32 v0, v28, v0, vcc
	v_lshlrev_b64 v[28:29], v2, -1
	v_add_u32_e32 v2, 20, v55
	v_bfi_b32 v28, v28, 0, v0
	v_lshlrev_b64 v[40:41], v2, 1
	v_lshrrev_b64 v[0:1], v55, v[0:1]
	v_bfi_b32 v29, v29, 0, 0
	v_cmp_eq_u64_e64 s[28:29], v[28:29], v[40:41]
	v_mov_b32_e32 v2, v1
	v_mov_b32_e32 v1, v0
	s_and_saveexec_b64 s[38:39], s[28:29]
; %bb.4235:                             ;   in Loop: Header=BB4_3167 Depth=4
	v_bfe_u32 v1, v0, 21, 1
	v_add_co_u32_e64 v1, s[28:29], v0, v1
	v_add_co_u32_e64 v1, s[28:29], -1, v1
; %bb.4236:                             ;   in Loop: Header=BB4_3167 Depth=4
	s_or_b64 exec, exec, s[38:39]
	v_add_u32_e32 v2, 0xffffff81, v37
	v_mov_b32_e32 v28, 0xffffff82
	v_cndmask_b32_e32 v2, v2, v28, vcc
	v_lshrrev_b32_e32 v28, 23, v0
	v_add3_u32 v55, v55, v2, v28
	v_add_u32_e32 v37, 14, v55
	v_and_b32_e32 v1, 0x1fffff, v1
	v_add_u32_e32 v0, v1, v0
	v_mov_b32_e32 v1, v17
	v_cmp_ne_u32_e32 vcc, 0, v37
                                        ; implicit-def: $vgpr2
	s_and_saveexec_b64 s[28:29], vcc
	s_xor_b64 s[28:29], exec, s[28:29]
; %bb.4237:                             ;   in Loop: Header=BB4_3167 Depth=4
	v_cmp_lt_u64_e32 vcc, s[88:89], v[0:1]
	v_add_u32_e32 v2, 15, v55
	v_cndmask_b32_e64 v28, 0, 1, vcc
	v_cndmask_b32_e32 v2, v37, v2, vcc
	v_lshrrev_b64 v[0:1], v28, v[0:1]
; %bb.4238:                             ;   in Loop: Header=BB4_3167 Depth=4
	s_andn2_saveexec_b64 s[28:29], s[28:29]
; %bb.4239:                             ;   in Loop: Header=BB4_3167 Depth=4
	v_bfe_u32 v2, v0, 23, 1
; %bb.4240:                             ;   in Loop: Header=BB4_3167 Depth=4
	s_or_b64 exec, exec, s[28:29]
	v_lshrrev_b64 v[0:1], 21, v[0:1]
	v_cmp_gt_i32_e32 vcc, 32, v2
	v_cndmask_b32_e32 v1, 0, v1, vcc
	v_cndmask_b32_e32 v0, 3, v0, vcc
	v_cmp_eq_u64_e64 s[28:29], 0, v[0:1]
	v_min_i32_e32 v1, 31, v2
	v_lshlrev_b32_e32 v1, 2, v1
	v_cmp_eq_u32_e32 vcc, 0, v2
	v_and_b32_e32 v1, 0xfc, v1
	v_and_or_b32 v0, v0, 3, v1
	s_and_b64 s[28:29], vcc, s[28:29]
	v_cndmask_b32_e64 v0, v0, 0, s[28:29]
	v_or_b32_e32 v37, v0, v4
.LBB4_4241:                             ;   in Loop: Header=BB4_3167 Depth=4
	s_or_b64 exec, exec, s[36:37]
                                        ; implicit-def: $vgpr4
.LBB4_4242:                             ;   in Loop: Header=BB4_3167 Depth=4
	s_andn2_saveexec_b64 s[28:29], s[34:35]
; %bb.4243:                             ;   in Loop: Header=BB4_3167 Depth=4
	v_or_b32_e32 v37, 0x7b, v4
; %bb.4244:                             ;   in Loop: Header=BB4_3167 Depth=4
	s_or_b64 exec, exec, s[28:29]
                                        ; implicit-def: $vgpr2
                                        ; implicit-def: $vgpr0_vgpr1
.LBB4_4245:                             ;   in Loop: Header=BB4_3167 Depth=4
	s_andn2_saveexec_b64 s[28:29], s[30:31]
	s_cbranch_execz .LBB4_4251
; %bb.4246:                             ;   in Loop: Header=BB4_3167 Depth=4
	v_cmp_ne_u64_e32 vcc, 0, v[0:1]
                                        ; implicit-def: $vgpr37
	s_and_saveexec_b64 s[30:31], vcc
	s_xor_b64 vcc, exec, s[30:31]
; %bb.4247:                             ;   in Loop: Header=BB4_3167 Depth=4
	v_or_b32_sdwa v37, v2, s47 dst_sel:DWORD dst_unused:UNUSED_PAD src0_sel:BYTE_3 src1_sel:DWORD
                                        ; implicit-def: $vgpr2
; %bb.4248:                             ;   in Loop: Header=BB4_3167 Depth=4
	s_andn2_saveexec_b64 s[30:31], vcc
; %bb.4249:                             ;   in Loop: Header=BB4_3167 Depth=4
	v_cmp_lt_i32_e32 vcc, -1, v2
	v_bfrev_b32_e32 v0, 0.5
	v_cndmask_b32_e32 v37, v0, v52, vcc
; %bb.4250:                             ;   in Loop: Header=BB4_3167 Depth=4
	s_or_b64 exec, exec, s[30:31]
.LBB4_4251:                             ;   in Loop: Header=BB4_3167 Depth=4
	s_or_b64 exec, exec, s[28:29]
	v_lshrrev_b16_e32 v0, 8, v50
	v_cmp_ne_u16_e32 vcc, 0, v0
	v_mov_b32_e32 v2, 0
	v_mov_b32_e32 v4, 0
	s_and_saveexec_b64 s[28:29], vcc
	s_cbranch_execz .LBB4_4259
; %bb.4252:                             ;   in Loop: Header=BB4_3167 Depth=4
	v_cmp_ne_u16_e32 vcc, s96, v0
	v_bfrev_b32_e32 v4, 1
	s_and_saveexec_b64 s[30:31], vcc
	s_cbranch_execz .LBB4_4258
; %bb.4253:                             ;   in Loop: Header=BB4_3167 Depth=4
	v_and_b32_e32 v1, 0x7c, v0
	v_and_b32_e32 v55, 3, v0
	v_cmp_ne_u32_e32 vcc, s85, v1
                                        ; implicit-def: $vgpr4
	s_and_saveexec_b64 s[34:35], vcc
	s_xor_b64 s[34:35], exec, s[34:35]
	s_cbranch_execz .LBB4_4255
; %bb.4254:                             ;   in Loop: Header=BB4_3167 Depth=4
	v_ffbh_u32_e32 v28, v55
	v_min_u32_e32 v28, 32, v28
	v_mov_b32_e32 v1, v17
	v_subrev_u32_e32 v29, 29, v28
	v_bfe_u32 v4, v0, 2, 5
	v_lshlrev_b64 v[0:1], v29, v[0:1]
	v_sub_u32_e32 v1, 30, v28
	v_cmp_eq_u32_e32 vcc, 0, v4
	v_cndmask_b32_e32 v1, v4, v1, vcc
	v_lshlrev_b32_e32 v4, 16, v50
	v_and_b32_e32 v0, 3, v0
	v_and_b32_e32 v4, 0x80000000, v4
	v_cndmask_b32_e32 v0, v55, v0, vcc
	v_lshl_add_u32 v1, v1, 23, v4
	v_lshl_or_b32 v0, v0, 21, v1
	v_add_u32_e32 v4, 0x38000000, v0
                                        ; implicit-def: $vgpr55
                                        ; implicit-def: $vgpr50
.LBB4_4255:                             ;   in Loop: Header=BB4_3167 Depth=4
	s_andn2_saveexec_b64 s[34:35], s[34:35]
; %bb.4256:                             ;   in Loop: Header=BB4_3167 Depth=4
	v_cmp_lt_i16_e32 vcc, -1, v50
	v_mov_b32_e32 v0, 0xff800000
	v_mov_b32_e32 v1, 0x7f800000
	v_cndmask_b32_e32 v0, v0, v1, vcc
	v_cmp_eq_u32_e32 vcc, 0, v55
	v_mov_b32_e32 v1, 0x7f800001
	v_cndmask_b32_e32 v4, v1, v0, vcc
; %bb.4257:                             ;   in Loop: Header=BB4_3167 Depth=4
	s_or_b64 exec, exec, s[34:35]
.LBB4_4258:                             ;   in Loop: Header=BB4_3167 Depth=4
	s_or_b64 exec, exec, s[30:31]
.LBB4_4259:                             ;   in Loop: Header=BB4_3167 Depth=4
	s_or_b64 exec, exec, s[28:29]
	v_lshrrev_b16_e32 v0, 8, v13
	v_cmp_ne_u16_e32 vcc, 0, v0
	s_and_saveexec_b64 s[28:29], vcc
	s_cbranch_execz .LBB4_4267
; %bb.4260:                             ;   in Loop: Header=BB4_3167 Depth=4
	v_cmp_ne_u16_e32 vcc, s96, v0
	v_bfrev_b32_e32 v2, 1
	s_and_saveexec_b64 s[30:31], vcc
	s_cbranch_execz .LBB4_4266
; %bb.4261:                             ;   in Loop: Header=BB4_3167 Depth=4
	v_and_b32_e32 v1, 0x7c, v0
	v_and_b32_e32 v50, 3, v0
	v_cmp_ne_u32_e32 vcc, s85, v1
                                        ; implicit-def: $vgpr2
	s_and_saveexec_b64 s[34:35], vcc
	s_xor_b64 s[34:35], exec, s[34:35]
	s_cbranch_execz .LBB4_4263
; %bb.4262:                             ;   in Loop: Header=BB4_3167 Depth=4
	v_ffbh_u32_e32 v28, v50
	v_min_u32_e32 v28, 32, v28
	v_mov_b32_e32 v1, v17
	v_subrev_u32_e32 v29, 29, v28
	v_bfe_u32 v2, v0, 2, 5
	v_lshlrev_b64 v[0:1], v29, v[0:1]
	v_sub_u32_e32 v1, 30, v28
	v_cmp_eq_u32_e32 vcc, 0, v2
	v_cndmask_b32_e32 v1, v2, v1, vcc
	v_lshlrev_b32_e32 v2, 16, v13
	v_and_b32_e32 v0, 3, v0
	v_and_b32_e32 v2, 0x80000000, v2
	v_cndmask_b32_e32 v0, v50, v0, vcc
	v_lshl_add_u32 v1, v1, 23, v2
	v_lshl_or_b32 v0, v0, 21, v1
	v_add_u32_e32 v2, 0x38000000, v0
                                        ; implicit-def: $vgpr50
.LBB4_4263:                             ;   in Loop: Header=BB4_3167 Depth=4
	s_andn2_saveexec_b64 s[34:35], s[34:35]
; %bb.4264:                             ;   in Loop: Header=BB4_3167 Depth=4
	v_cmp_lt_i16_e32 vcc, -1, v13
	v_mov_b32_e32 v0, 0xff800000
	v_mov_b32_e32 v1, 0x7f800000
	v_cndmask_b32_e32 v0, v0, v1, vcc
	v_cmp_eq_u32_e32 vcc, 0, v50
	v_mov_b32_e32 v1, 0x7f800001
	v_cndmask_b32_e32 v2, v1, v0, vcc
; %bb.4265:                             ;   in Loop: Header=BB4_3167 Depth=4
	s_or_b64 exec, exec, s[34:35]
.LBB4_4266:                             ;   in Loop: Header=BB4_3167 Depth=4
	s_or_b64 exec, exec, s[30:31]
.LBB4_4267:                             ;   in Loop: Header=BB4_3167 Depth=4
	s_or_b64 exec, exec, s[28:29]
	v_add_f32_e32 v2, v4, v2
	v_and_b32_e32 v28, 0x7f800000, v2
	v_mov_b32_e32 v29, v17
	v_cmp_ne_u64_e32 vcc, s[76:77], v[28:29]
	v_and_b32_e32 v0, 0x7fffff, v2
	v_mov_b32_e32 v1, v17
                                        ; implicit-def: $vgpr50
	s_and_saveexec_b64 s[28:29], vcc
	s_xor_b64 s[30:31], exec, s[28:29]
	s_cbranch_execz .LBB4_4281
; %bb.4268:                             ;   in Loop: Header=BB4_3167 Depth=4
	v_and_b32_e32 v28, 0x7fffffff, v2
	v_mov_b32_e32 v29, v17
	v_cmp_gt_u64_e32 vcc, s[78:79], v[28:29]
	v_and_b32_sdwa v4, v2, s96 dst_sel:DWORD dst_unused:UNUSED_PAD src0_sel:BYTE_3 src1_sel:DWORD
                                        ; implicit-def: $vgpr50
	s_and_saveexec_b64 s[28:29], vcc
	s_xor_b64 s[34:35], exec, s[28:29]
	s_cbranch_execz .LBB4_4278
; %bb.4269:                             ;   in Loop: Header=BB4_3167 Depth=4
	v_mov_b32_e32 v50, 0
	v_cmp_ne_u32_e32 vcc, 0, v2
	s_and_saveexec_b64 s[36:37], vcc
	s_cbranch_execz .LBB4_4277
; %bb.4270:                             ;   in Loop: Header=BB4_3167 Depth=4
	v_bfe_u32 v50, v2, 23, 8
	v_cmp_gt_u32_e64 s[28:29], s46, v50
	v_sub_u32_e32 v2, 0x71, v50
	v_cmp_eq_u32_e32 vcc, 0, v50
	v_cndmask_b32_e64 v2, 0, v2, s[28:29]
	v_mov_b32_e32 v29, 0x70
	v_cndmask_b32_e32 v55, v2, v29, vcc
	v_or_b32_e32 v28, 0x800000, v0
	v_add_u32_e32 v2, 21, v55
	v_cndmask_b32_e32 v0, v28, v0, vcc
	v_lshlrev_b64 v[28:29], v2, -1
	v_add_u32_e32 v2, 20, v55
	v_bfi_b32 v28, v28, 0, v0
	v_lshlrev_b64 v[40:41], v2, 1
	v_lshrrev_b64 v[0:1], v55, v[0:1]
	v_bfi_b32 v29, v29, 0, 0
	v_cmp_eq_u64_e64 s[28:29], v[28:29], v[40:41]
	v_mov_b32_e32 v2, v1
	v_mov_b32_e32 v1, v0
	s_and_saveexec_b64 s[38:39], s[28:29]
; %bb.4271:                             ;   in Loop: Header=BB4_3167 Depth=4
	v_bfe_u32 v1, v0, 21, 1
	v_add_co_u32_e64 v1, s[28:29], v0, v1
	v_add_co_u32_e64 v1, s[28:29], -1, v1
; %bb.4272:                             ;   in Loop: Header=BB4_3167 Depth=4
	s_or_b64 exec, exec, s[38:39]
	v_add_u32_e32 v2, 0xffffff81, v50
	v_mov_b32_e32 v28, 0xffffff82
	v_cndmask_b32_e32 v2, v2, v28, vcc
	v_lshrrev_b32_e32 v28, 23, v0
	v_add3_u32 v55, v55, v2, v28
	v_add_u32_e32 v50, 14, v55
	v_and_b32_e32 v1, 0x1fffff, v1
	v_add_u32_e32 v0, v1, v0
	v_mov_b32_e32 v1, v17
	v_cmp_ne_u32_e32 vcc, 0, v50
                                        ; implicit-def: $vgpr2
	s_and_saveexec_b64 s[28:29], vcc
	s_xor_b64 s[28:29], exec, s[28:29]
; %bb.4273:                             ;   in Loop: Header=BB4_3167 Depth=4
	v_cmp_lt_u64_e32 vcc, s[88:89], v[0:1]
	v_add_u32_e32 v2, 15, v55
	v_cndmask_b32_e64 v28, 0, 1, vcc
	v_cndmask_b32_e32 v2, v50, v2, vcc
	v_lshrrev_b64 v[0:1], v28, v[0:1]
; %bb.4274:                             ;   in Loop: Header=BB4_3167 Depth=4
	s_andn2_saveexec_b64 s[28:29], s[28:29]
; %bb.4275:                             ;   in Loop: Header=BB4_3167 Depth=4
	v_bfe_u32 v2, v0, 23, 1
; %bb.4276:                             ;   in Loop: Header=BB4_3167 Depth=4
	s_or_b64 exec, exec, s[28:29]
	v_lshrrev_b64 v[0:1], 21, v[0:1]
	v_cmp_gt_i32_e32 vcc, 32, v2
	v_cndmask_b32_e32 v1, 0, v1, vcc
	v_cndmask_b32_e32 v0, 3, v0, vcc
	v_cmp_eq_u64_e64 s[28:29], 0, v[0:1]
	v_min_i32_e32 v1, 31, v2
	v_lshlrev_b32_e32 v1, 2, v1
	v_cmp_eq_u32_e32 vcc, 0, v2
	v_and_b32_e32 v1, 0xfc, v1
	v_and_or_b32 v0, v0, 3, v1
	s_and_b64 s[28:29], vcc, s[28:29]
	v_cndmask_b32_e64 v0, v0, 0, s[28:29]
	v_or_b32_e32 v50, v0, v4
.LBB4_4277:                             ;   in Loop: Header=BB4_3167 Depth=4
	s_or_b64 exec, exec, s[36:37]
                                        ; implicit-def: $vgpr4
.LBB4_4278:                             ;   in Loop: Header=BB4_3167 Depth=4
	s_andn2_saveexec_b64 s[28:29], s[34:35]
; %bb.4279:                             ;   in Loop: Header=BB4_3167 Depth=4
	v_or_b32_e32 v50, 0x7b, v4
; %bb.4280:                             ;   in Loop: Header=BB4_3167 Depth=4
	s_or_b64 exec, exec, s[28:29]
                                        ; implicit-def: $vgpr2
                                        ; implicit-def: $vgpr0_vgpr1
.LBB4_4281:                             ;   in Loop: Header=BB4_3167 Depth=4
	s_andn2_saveexec_b64 s[28:29], s[30:31]
	s_cbranch_execz .LBB4_4287
; %bb.4282:                             ;   in Loop: Header=BB4_3167 Depth=4
	v_cmp_ne_u64_e32 vcc, 0, v[0:1]
                                        ; implicit-def: $vgpr50
	s_and_saveexec_b64 s[30:31], vcc
	s_xor_b64 vcc, exec, s[30:31]
; %bb.4283:                             ;   in Loop: Header=BB4_3167 Depth=4
	v_or_b32_sdwa v50, v2, s47 dst_sel:DWORD dst_unused:UNUSED_PAD src0_sel:BYTE_3 src1_sel:DWORD
                                        ; implicit-def: $vgpr2
; %bb.4284:                             ;   in Loop: Header=BB4_3167 Depth=4
	s_andn2_saveexec_b64 s[30:31], vcc
; %bb.4285:                             ;   in Loop: Header=BB4_3167 Depth=4
	v_cmp_lt_i32_e32 vcc, -1, v2
	v_bfrev_b32_e32 v0, 0.5
	v_cndmask_b32_e32 v50, v0, v52, vcc
; %bb.4286:                             ;   in Loop: Header=BB4_3167 Depth=4
	s_or_b64 exec, exec, s[30:31]
.LBB4_4287:                             ;   in Loop: Header=BB4_3167 Depth=4
	s_or_b64 exec, exec, s[28:29]
	v_and_b32_sdwa v4, v16, s87 dst_sel:DWORD dst_unused:UNUSED_PAD src0_sel:WORD_1 src1_sel:DWORD
	v_lshrrev_b32_e32 v0, 16, v16
	v_cmp_ne_u16_e32 vcc, 0, v4
	v_mov_b32_e32 v1, 0
	v_mov_b32_e32 v2, 0
	s_and_saveexec_b64 s[28:29], vcc
	s_cbranch_execz .LBB4_4295
; %bb.4288:                             ;   in Loop: Header=BB4_3167 Depth=4
	v_cmp_ne_u16_e32 vcc, s96, v4
	v_bfrev_b32_e32 v2, 1
	s_and_saveexec_b64 s[30:31], vcc
	s_cbranch_execz .LBB4_4294
; %bb.4289:                             ;   in Loop: Header=BB4_3167 Depth=4
	v_and_b32_e32 v2, 0x7c0000, v16
	v_bfe_u32 v4, v16, 16, 2
	v_cmp_ne_u32_e32 vcc, s44, v2
                                        ; implicit-def: $vgpr2
	s_and_saveexec_b64 s[34:35], vcc
	s_xor_b64 s[34:35], exec, s[34:35]
	s_cbranch_execz .LBB4_4291
; %bb.4290:                             ;   in Loop: Header=BB4_3167 Depth=4
	v_ffbh_u32_e32 v28, v4
	v_min_u32_e32 v55, 32, v28
	v_subrev_u32_e32 v28, 29, v55
	v_lshlrev_b64 v[28:29], v28, v[0:1]
	v_bfe_u32 v2, v16, 18, 5
	v_sub_u32_e32 v0, 30, v55
	v_and_b32_e32 v28, 3, v28
	v_cmp_eq_u32_e32 vcc, 0, v2
	v_cndmask_b32_e32 v0, v2, v0, vcc
	v_cndmask_b32_e32 v2, v4, v28, vcc
	v_lshlrev_b32_e32 v4, 8, v16
	v_and_b32_e32 v4, 0x80000000, v4
	v_lshl_add_u32 v0, v0, 23, v4
	v_lshl_or_b32 v0, v2, 21, v0
	v_add_u32_e32 v2, 0x38000000, v0
                                        ; implicit-def: $vgpr4
                                        ; implicit-def: $vgpr0
.LBB4_4291:                             ;   in Loop: Header=BB4_3167 Depth=4
	s_andn2_saveexec_b64 s[34:35], s[34:35]
; %bb.4292:                             ;   in Loop: Header=BB4_3167 Depth=4
	v_mov_b32_e32 v2, -1
	v_cmp_gt_i16_sdwa vcc, sext(v0), v2 src0_sel:BYTE_0 src1_sel:DWORD
	v_mov_b32_e32 v0, 0xff800000
	v_mov_b32_e32 v2, 0x7f800000
	v_cndmask_b32_e32 v0, v0, v2, vcc
	v_cmp_eq_u32_e32 vcc, 0, v4
	v_mov_b32_e32 v2, 0x7f800001
	v_cndmask_b32_e32 v2, v2, v0, vcc
; %bb.4293:                             ;   in Loop: Header=BB4_3167 Depth=4
	s_or_b64 exec, exec, s[34:35]
.LBB4_4294:                             ;   in Loop: Header=BB4_3167 Depth=4
	s_or_b64 exec, exec, s[30:31]
.LBB4_4295:                             ;   in Loop: Header=BB4_3167 Depth=4
	s_or_b64 exec, exec, s[28:29]
	v_lshrrev_b32_e32 v0, 16, v13
	v_cmp_ne_u16_sdwa vcc, v0, v17 src0_sel:BYTE_0 src1_sel:DWORD
	s_and_saveexec_b64 s[28:29], vcc
	s_cbranch_execz .LBB4_4303
; %bb.4296:                             ;   in Loop: Header=BB4_3167 Depth=4
	v_cmp_ne_u16_sdwa vcc, v0, s96 src0_sel:BYTE_0 src1_sel:DWORD
	v_bfrev_b32_e32 v1, 1
	s_and_saveexec_b64 s[30:31], vcc
	s_cbranch_execz .LBB4_4302
; %bb.4297:                             ;   in Loop: Header=BB4_3167 Depth=4
	v_and_b32_e32 v1, 0x7c0000, v13
	v_bfe_u32 v4, v13, 16, 2
	v_cmp_ne_u32_e32 vcc, s44, v1
                                        ; implicit-def: $vgpr1
	s_and_saveexec_b64 s[34:35], vcc
	s_xor_b64 s[34:35], exec, s[34:35]
	s_cbranch_execz .LBB4_4299
; %bb.4298:                             ;   in Loop: Header=BB4_3167 Depth=4
	v_ffbh_u32_e32 v1, v4
	v_min_u32_e32 v29, 32, v1
	v_subrev_u32_e32 v1, 29, v29
	v_lshlrev_b64 v[0:1], v1, v[0:1]
	v_bfe_u32 v28, v13, 18, 5
	v_and_b32_e32 v0, 3, v0
	v_cmp_eq_u32_e32 vcc, 0, v28
	v_sub_u32_e32 v1, 30, v29
	v_cndmask_b32_e32 v0, v4, v0, vcc
	v_lshlrev_b32_e32 v4, 8, v13
	v_cndmask_b32_e32 v1, v28, v1, vcc
	v_and_b32_e32 v4, 0x80000000, v4
	v_lshl_add_u32 v1, v1, 23, v4
	v_lshl_or_b32 v0, v0, 21, v1
	v_add_u32_e32 v1, 0x38000000, v0
                                        ; implicit-def: $vgpr4
                                        ; implicit-def: $vgpr0
.LBB4_4299:                             ;   in Loop: Header=BB4_3167 Depth=4
	s_andn2_saveexec_b64 s[34:35], s[34:35]
; %bb.4300:                             ;   in Loop: Header=BB4_3167 Depth=4
	v_mov_b32_e32 v1, -1
	v_cmp_gt_i16_sdwa vcc, sext(v0), v1 src0_sel:BYTE_0 src1_sel:DWORD
	v_mov_b32_e32 v0, 0xff800000
	v_mov_b32_e32 v1, 0x7f800000
	v_cndmask_b32_e32 v0, v0, v1, vcc
	v_cmp_eq_u32_e32 vcc, 0, v4
	v_mov_b32_e32 v1, 0x7f800001
	v_cndmask_b32_e32 v1, v1, v0, vcc
; %bb.4301:                             ;   in Loop: Header=BB4_3167 Depth=4
	s_or_b64 exec, exec, s[34:35]
.LBB4_4302:                             ;   in Loop: Header=BB4_3167 Depth=4
	s_or_b64 exec, exec, s[30:31]
.LBB4_4303:                             ;   in Loop: Header=BB4_3167 Depth=4
	s_or_b64 exec, exec, s[28:29]
	v_add_f32_e32 v2, v2, v1
	v_and_b32_e32 v28, 0x7f800000, v2
	v_mov_b32_e32 v29, v17
	v_cmp_ne_u64_e32 vcc, s[76:77], v[28:29]
	v_and_b32_e32 v0, 0x7fffff, v2
	v_mov_b32_e32 v1, v17
                                        ; implicit-def: $vgpr55
	s_and_saveexec_b64 s[28:29], vcc
	s_xor_b64 s[30:31], exec, s[28:29]
	s_cbranch_execz .LBB4_4317
; %bb.4304:                             ;   in Loop: Header=BB4_3167 Depth=4
	v_and_b32_e32 v28, 0x7fffffff, v2
	v_mov_b32_e32 v29, v17
	v_cmp_gt_u64_e32 vcc, s[78:79], v[28:29]
	v_and_b32_sdwa v4, v2, s96 dst_sel:DWORD dst_unused:UNUSED_PAD src0_sel:BYTE_3 src1_sel:DWORD
                                        ; implicit-def: $vgpr55
	s_and_saveexec_b64 s[28:29], vcc
	s_xor_b64 s[34:35], exec, s[28:29]
	s_cbranch_execz .LBB4_4314
; %bb.4305:                             ;   in Loop: Header=BB4_3167 Depth=4
	v_mov_b32_e32 v55, 0
	v_cmp_ne_u32_e32 vcc, 0, v2
	s_and_saveexec_b64 s[36:37], vcc
	s_cbranch_execz .LBB4_4313
; %bb.4306:                             ;   in Loop: Header=BB4_3167 Depth=4
	v_bfe_u32 v55, v2, 23, 8
	v_cmp_gt_u32_e64 s[28:29], s46, v55
	v_sub_u32_e32 v2, 0x71, v55
	v_cmp_eq_u32_e32 vcc, 0, v55
	v_cndmask_b32_e64 v2, 0, v2, s[28:29]
	v_mov_b32_e32 v29, 0x70
	v_cndmask_b32_e32 v40, v2, v29, vcc
	v_or_b32_e32 v28, 0x800000, v0
	v_add_u32_e32 v2, 21, v40
	v_cndmask_b32_e32 v0, v28, v0, vcc
	v_lshlrev_b64 v[28:29], v2, -1
	v_add_u32_e32 v2, 20, v40
	v_bfi_b32 v28, v28, 0, v0
	v_lshlrev_b64 v[41:42], v2, 1
	v_lshrrev_b64 v[0:1], v40, v[0:1]
	v_bfi_b32 v29, v29, 0, 0
	v_cmp_eq_u64_e64 s[28:29], v[28:29], v[41:42]
	v_mov_b32_e32 v2, v1
	v_mov_b32_e32 v1, v0
	s_and_saveexec_b64 s[38:39], s[28:29]
; %bb.4307:                             ;   in Loop: Header=BB4_3167 Depth=4
	v_bfe_u32 v1, v0, 21, 1
	v_add_co_u32_e64 v1, s[28:29], v0, v1
	v_add_co_u32_e64 v1, s[28:29], -1, v1
; %bb.4308:                             ;   in Loop: Header=BB4_3167 Depth=4
	s_or_b64 exec, exec, s[38:39]
	v_add_u32_e32 v2, 0xffffff81, v55
	v_mov_b32_e32 v28, 0xffffff82
	v_cndmask_b32_e32 v2, v2, v28, vcc
	v_lshrrev_b32_e32 v28, 23, v0
	v_add3_u32 v40, v40, v2, v28
	v_add_u32_e32 v55, 14, v40
	v_and_b32_e32 v1, 0x1fffff, v1
	v_add_u32_e32 v0, v1, v0
	v_mov_b32_e32 v1, v17
	v_cmp_ne_u32_e32 vcc, 0, v55
                                        ; implicit-def: $vgpr2
	s_and_saveexec_b64 s[28:29], vcc
	s_xor_b64 s[28:29], exec, s[28:29]
; %bb.4309:                             ;   in Loop: Header=BB4_3167 Depth=4
	v_cmp_lt_u64_e32 vcc, s[88:89], v[0:1]
	v_add_u32_e32 v2, 15, v40
	v_cndmask_b32_e64 v28, 0, 1, vcc
	v_cndmask_b32_e32 v2, v55, v2, vcc
	v_lshrrev_b64 v[0:1], v28, v[0:1]
; %bb.4310:                             ;   in Loop: Header=BB4_3167 Depth=4
	s_andn2_saveexec_b64 s[28:29], s[28:29]
; %bb.4311:                             ;   in Loop: Header=BB4_3167 Depth=4
	v_bfe_u32 v2, v0, 23, 1
; %bb.4312:                             ;   in Loop: Header=BB4_3167 Depth=4
	s_or_b64 exec, exec, s[28:29]
	v_lshrrev_b64 v[0:1], 21, v[0:1]
	v_cmp_gt_i32_e32 vcc, 32, v2
	v_cndmask_b32_e32 v1, 0, v1, vcc
	v_cndmask_b32_e32 v0, 3, v0, vcc
	v_cmp_eq_u64_e64 s[28:29], 0, v[0:1]
	v_min_i32_e32 v1, 31, v2
	v_lshlrev_b32_e32 v1, 2, v1
	v_cmp_eq_u32_e32 vcc, 0, v2
	v_and_b32_e32 v1, 0xfc, v1
	v_and_or_b32 v0, v0, 3, v1
	s_and_b64 s[28:29], vcc, s[28:29]
	v_cndmask_b32_e64 v0, v0, 0, s[28:29]
	v_or_b32_e32 v55, v0, v4
.LBB4_4313:                             ;   in Loop: Header=BB4_3167 Depth=4
	s_or_b64 exec, exec, s[36:37]
                                        ; implicit-def: $vgpr4
.LBB4_4314:                             ;   in Loop: Header=BB4_3167 Depth=4
	s_andn2_saveexec_b64 s[28:29], s[34:35]
; %bb.4315:                             ;   in Loop: Header=BB4_3167 Depth=4
	v_or_b32_e32 v55, 0x7b, v4
; %bb.4316:                             ;   in Loop: Header=BB4_3167 Depth=4
	s_or_b64 exec, exec, s[28:29]
                                        ; implicit-def: $vgpr2
                                        ; implicit-def: $vgpr0_vgpr1
.LBB4_4317:                             ;   in Loop: Header=BB4_3167 Depth=4
	s_andn2_saveexec_b64 s[28:29], s[30:31]
	s_cbranch_execz .LBB4_4323
; %bb.4318:                             ;   in Loop: Header=BB4_3167 Depth=4
	v_cmp_ne_u64_e32 vcc, 0, v[0:1]
                                        ; implicit-def: $vgpr55
	s_and_saveexec_b64 s[30:31], vcc
	s_xor_b64 vcc, exec, s[30:31]
; %bb.4319:                             ;   in Loop: Header=BB4_3167 Depth=4
	v_or_b32_sdwa v55, v2, s47 dst_sel:DWORD dst_unused:UNUSED_PAD src0_sel:BYTE_3 src1_sel:DWORD
                                        ; implicit-def: $vgpr2
; %bb.4320:                             ;   in Loop: Header=BB4_3167 Depth=4
	s_andn2_saveexec_b64 s[30:31], vcc
; %bb.4321:                             ;   in Loop: Header=BB4_3167 Depth=4
	v_cmp_lt_i32_e32 vcc, -1, v2
	v_bfrev_b32_e32 v0, 0.5
	v_cndmask_b32_e32 v55, v0, v52, vcc
; %bb.4322:                             ;   in Loop: Header=BB4_3167 Depth=4
	s_or_b64 exec, exec, s[30:31]
.LBB4_4323:                             ;   in Loop: Header=BB4_3167 Depth=4
	s_or_b64 exec, exec, s[28:29]
	v_cmp_lt_u32_e32 vcc, s57, v16
	v_mov_b32_e32 v1, 0
	v_mov_b32_e32 v2, 0
	s_and_saveexec_b64 s[28:29], vcc
	s_cbranch_execz .LBB4_4331
; %bb.4324:                             ;   in Loop: Header=BB4_3167 Depth=4
	v_lshrrev_b32_e32 v0, 24, v16
	v_cmp_ne_u32_e32 vcc, s96, v0
	v_bfrev_b32_e32 v2, 1
	s_and_saveexec_b64 s[30:31], vcc
	s_cbranch_execz .LBB4_4330
; %bb.4325:                             ;   in Loop: Header=BB4_3167 Depth=4
	v_and_b32_e32 v2, 0x7c000000, v16
	v_bfe_u32 v4, v16, 24, 2
	v_cmp_ne_u32_e32 vcc, s45, v2
                                        ; implicit-def: $vgpr2
	s_and_saveexec_b64 s[34:35], vcc
	s_xor_b64 s[34:35], exec, s[34:35]
	s_cbranch_execz .LBB4_4327
; %bb.4326:                             ;   in Loop: Header=BB4_3167 Depth=4
	v_ffbh_u32_e32 v28, v4
	v_min_u32_e32 v40, 32, v28
	v_subrev_u32_e32 v28, 29, v40
	v_lshlrev_b64 v[28:29], v28, v[0:1]
	v_bfe_u32 v2, v16, 26, 5
	v_sub_u32_e32 v0, 30, v40
	v_and_b32_e32 v28, 3, v28
	v_cmp_eq_u32_e32 vcc, 0, v2
	v_cndmask_b32_e32 v0, v2, v0, vcc
	v_cndmask_b32_e32 v2, v4, v28, vcc
	v_and_b32_e32 v4, 0x80000000, v16
	v_lshl_add_u32 v0, v0, 23, v4
	v_lshl_or_b32 v0, v2, 21, v0
	v_add_u32_e32 v2, 0x38000000, v0
                                        ; implicit-def: $vgpr4
.LBB4_4327:                             ;   in Loop: Header=BB4_3167 Depth=4
	s_andn2_saveexec_b64 s[34:35], s[34:35]
; %bb.4328:                             ;   in Loop: Header=BB4_3167 Depth=4
	v_cmp_lt_i32_e32 vcc, -1, v16
	v_mov_b32_e32 v0, 0xff800000
	v_mov_b32_e32 v2, 0x7f800000
	v_cndmask_b32_e32 v0, v0, v2, vcc
	v_cmp_eq_u32_e32 vcc, 0, v4
	v_mov_b32_e32 v2, 0x7f800001
	v_cndmask_b32_e32 v2, v2, v0, vcc
; %bb.4329:                             ;   in Loop: Header=BB4_3167 Depth=4
	s_or_b64 exec, exec, s[34:35]
.LBB4_4330:                             ;   in Loop: Header=BB4_3167 Depth=4
	s_or_b64 exec, exec, s[30:31]
.LBB4_4331:                             ;   in Loop: Header=BB4_3167 Depth=4
	s_or_b64 exec, exec, s[28:29]
	v_cmp_lt_u64_e32 vcc, s[56:57], v[12:13]
	s_and_saveexec_b64 s[28:29], vcc
	s_cbranch_execz .LBB4_4339
; %bb.4332:                             ;   in Loop: Header=BB4_3167 Depth=4
	v_lshrrev_b32_e32 v0, 24, v13
	v_cmp_ne_u32_e32 vcc, s96, v0
	v_bfrev_b32_e32 v1, 1
	s_and_saveexec_b64 s[30:31], vcc
	s_cbranch_execz .LBB4_4338
; %bb.4333:                             ;   in Loop: Header=BB4_3167 Depth=4
	v_and_b32_e32 v1, 0x7c000000, v13
	v_bfe_u32 v4, v13, 24, 2
	v_cmp_ne_u32_e32 vcc, s45, v1
                                        ; implicit-def: $vgpr1
	s_and_saveexec_b64 s[34:35], vcc
	s_xor_b64 s[34:35], exec, s[34:35]
	s_cbranch_execz .LBB4_4335
; %bb.4334:                             ;   in Loop: Header=BB4_3167 Depth=4
	v_ffbh_u32_e32 v1, v4
	v_min_u32_e32 v28, 32, v1
	v_subrev_u32_e32 v1, 29, v28
	v_lshlrev_b64 v[0:1], v1, v[0:1]
	v_bfe_u32 v16, v13, 26, 5
	v_sub_u32_e32 v1, 30, v28
	v_and_b32_e32 v0, 3, v0
	v_cmp_eq_u32_e32 vcc, 0, v16
	v_cndmask_b32_e32 v1, v16, v1, vcc
	v_cndmask_b32_e32 v0, v4, v0, vcc
	v_and_b32_e32 v4, 0x80000000, v13
	v_lshl_add_u32 v1, v1, 23, v4
	v_lshl_or_b32 v0, v0, 21, v1
	v_add_u32_e32 v1, 0x38000000, v0
                                        ; implicit-def: $vgpr4
.LBB4_4335:                             ;   in Loop: Header=BB4_3167 Depth=4
	s_andn2_saveexec_b64 s[34:35], s[34:35]
; %bb.4336:                             ;   in Loop: Header=BB4_3167 Depth=4
	v_cmp_lt_i64_e32 vcc, -1, v[12:13]
	v_mov_b32_e32 v0, 0xff800000
	v_mov_b32_e32 v1, 0x7f800000
	v_cndmask_b32_e32 v0, v0, v1, vcc
	v_cmp_eq_u32_e32 vcc, 0, v4
	v_mov_b32_e32 v1, 0x7f800001
	v_cndmask_b32_e32 v1, v1, v0, vcc
; %bb.4337:                             ;   in Loop: Header=BB4_3167 Depth=4
	s_or_b64 exec, exec, s[34:35]
.LBB4_4338:                             ;   in Loop: Header=BB4_3167 Depth=4
	s_or_b64 exec, exec, s[30:31]
.LBB4_4339:                             ;   in Loop: Header=BB4_3167 Depth=4
	s_or_b64 exec, exec, s[28:29]
	v_add_f32_e32 v0, v2, v1
	v_and_b32_e32 v1, 0x7f800000, v0
	v_mov_b32_e32 v2, v17
	v_cmp_ne_u64_e32 vcc, s[76:77], v[1:2]
	v_and_b32_e32 v16, 0x7fffff, v0
                                        ; implicit-def: $vgpr12
	s_and_saveexec_b64 s[28:29], vcc
	s_xor_b64 s[30:31], exec, s[28:29]
	s_cbranch_execz .LBB4_4353
; %bb.4340:                             ;   in Loop: Header=BB4_3167 Depth=4
	v_and_b32_e32 v1, 0x7fffffff, v0
	v_mov_b32_e32 v2, v17
	v_cmp_gt_u64_e32 vcc, s[78:79], v[1:2]
	v_and_b32_sdwa v4, v0, s96 dst_sel:DWORD dst_unused:UNUSED_PAD src0_sel:BYTE_3 src1_sel:DWORD
                                        ; implicit-def: $vgpr12
	s_and_saveexec_b64 s[28:29], vcc
	s_xor_b64 s[34:35], exec, s[28:29]
	s_cbranch_execz .LBB4_4350
; %bb.4341:                             ;   in Loop: Header=BB4_3167 Depth=4
	v_mov_b32_e32 v12, 0
	v_cmp_ne_u32_e32 vcc, 0, v0
	s_and_saveexec_b64 s[36:37], vcc
	s_cbranch_execz .LBB4_4349
; %bb.4342:                             ;   in Loop: Header=BB4_3167 Depth=4
	v_bfe_u32 v12, v0, 23, 8
	v_cmp_gt_u32_e64 s[28:29], s46, v12
	v_sub_u32_e32 v0, 0x71, v12
	v_cmp_eq_u32_e32 vcc, 0, v12
	v_cndmask_b32_e64 v0, 0, v0, s[28:29]
	v_mov_b32_e32 v2, 0x70
	v_cndmask_b32_e32 v13, v0, v2, vcc
	v_add_u32_e32 v2, 21, v13
	v_or_b32_e32 v1, 0x800000, v16
	v_lshlrev_b64 v[28:29], v2, -1
	v_cndmask_b32_e32 v0, v1, v16, vcc
	v_mov_b32_e32 v1, v17
	v_add_u32_e32 v2, 20, v13
	v_bfi_b32 v28, v28, 0, v0
	v_lshlrev_b64 v[40:41], v2, 1
	v_lshrrev_b64 v[0:1], v13, v[0:1]
	v_bfi_b32 v29, v29, 0, 0
	v_cmp_eq_u64_e64 s[28:29], v[28:29], v[40:41]
	v_mov_b32_e32 v2, v1
	v_mov_b32_e32 v1, v0
	s_and_saveexec_b64 s[38:39], s[28:29]
; %bb.4343:                             ;   in Loop: Header=BB4_3167 Depth=4
	v_bfe_u32 v1, v0, 21, 1
	v_add_co_u32_e64 v1, s[28:29], v0, v1
	v_add_co_u32_e64 v1, s[28:29], -1, v1
; %bb.4344:                             ;   in Loop: Header=BB4_3167 Depth=4
	s_or_b64 exec, exec, s[38:39]
	v_add_u32_e32 v2, 0xffffff81, v12
	v_mov_b32_e32 v12, 0xffffff82
	v_cndmask_b32_e32 v2, v2, v12, vcc
	v_lshrrev_b32_e32 v12, 23, v0
	v_add3_u32 v13, v13, v2, v12
	v_add_u32_e32 v12, 14, v13
	v_and_b32_e32 v1, 0x1fffff, v1
	v_add_u32_e32 v16, v1, v0
	v_cmp_ne_u32_e32 vcc, 0, v12
                                        ; implicit-def: $vgpr0_vgpr1
                                        ; implicit-def: $vgpr2
	s_and_saveexec_b64 s[28:29], vcc
	s_xor_b64 s[28:29], exec, s[28:29]
; %bb.4345:                             ;   in Loop: Header=BB4_3167 Depth=4
	v_cmp_lt_u64_e32 vcc, s[88:89], v[16:17]
	v_add_u32_e32 v0, 15, v13
	v_cndmask_b32_e32 v2, v12, v0, vcc
	v_cndmask_b32_e64 v0, 0, 1, vcc
	v_lshrrev_b64 v[0:1], v0, v[16:17]
; %bb.4346:                             ;   in Loop: Header=BB4_3167 Depth=4
	s_andn2_saveexec_b64 s[28:29], s[28:29]
; %bb.4347:                             ;   in Loop: Header=BB4_3167 Depth=4
	v_mov_b32_e32 v0, v16
	v_mov_b32_e32 v1, v17
	v_bfe_u32 v2, v16, 23, 1
; %bb.4348:                             ;   in Loop: Header=BB4_3167 Depth=4
	s_or_b64 exec, exec, s[28:29]
	v_lshrrev_b64 v[0:1], 21, v[0:1]
	v_cmp_gt_i32_e32 vcc, 32, v2
	v_cndmask_b32_e32 v1, 0, v1, vcc
	v_cndmask_b32_e32 v0, 3, v0, vcc
	v_cmp_eq_u64_e64 s[28:29], 0, v[0:1]
	v_min_i32_e32 v1, 31, v2
	v_lshlrev_b32_e32 v1, 2, v1
	v_cmp_eq_u32_e32 vcc, 0, v2
	v_and_b32_e32 v1, 0xfc, v1
	v_and_or_b32 v0, v0, 3, v1
	s_and_b64 s[28:29], vcc, s[28:29]
	v_cndmask_b32_e64 v0, v0, 0, s[28:29]
	v_or_b32_e32 v12, v0, v4
.LBB4_4349:                             ;   in Loop: Header=BB4_3167 Depth=4
	s_or_b64 exec, exec, s[36:37]
                                        ; implicit-def: $vgpr4
.LBB4_4350:                             ;   in Loop: Header=BB4_3167 Depth=4
	s_andn2_saveexec_b64 s[28:29], s[34:35]
; %bb.4351:                             ;   in Loop: Header=BB4_3167 Depth=4
	v_or_b32_e32 v12, 0x7b, v4
; %bb.4352:                             ;   in Loop: Header=BB4_3167 Depth=4
	s_or_b64 exec, exec, s[28:29]
                                        ; implicit-def: $vgpr0
.LBB4_4353:                             ;   in Loop: Header=BB4_3167 Depth=4
	s_andn2_saveexec_b64 s[28:29], s[30:31]
	s_cbranch_execz .LBB4_4359
; %bb.4354:                             ;   in Loop: Header=BB4_3167 Depth=4
	v_cmp_ne_u64_e32 vcc, 0, v[16:17]
                                        ; implicit-def: $vgpr12
	s_and_saveexec_b64 s[30:31], vcc
	s_xor_b64 vcc, exec, s[30:31]
; %bb.4355:                             ;   in Loop: Header=BB4_3167 Depth=4
	v_or_b32_sdwa v12, v0, s47 dst_sel:DWORD dst_unused:UNUSED_PAD src0_sel:BYTE_3 src1_sel:DWORD
                                        ; implicit-def: $vgpr0
; %bb.4356:                             ;   in Loop: Header=BB4_3167 Depth=4
	s_andn2_saveexec_b64 s[30:31], vcc
; %bb.4357:                             ;   in Loop: Header=BB4_3167 Depth=4
	v_cmp_lt_i32_e32 vcc, -1, v0
	v_bfrev_b32_e32 v0, 0.5
	v_cndmask_b32_e32 v12, v0, v52, vcc
; %bb.4358:                             ;   in Loop: Header=BB4_3167 Depth=4
	s_or_b64 exec, exec, s[30:31]
.LBB4_4359:                             ;   in Loop: Header=BB4_3167 Depth=4
	s_or_b64 exec, exec, s[28:29]
	v_lshl_or_b32 v54, v54, 8, v38
	v_lshlrev_b32_e32 v0, 16, v59
	v_lshlrev_b32_e32 v1, 24, v60
	v_or3_b32 v16, v0, v1, v54
	v_cmp_ne_u32_e32 vcc, 0, v38
	v_mov_b32_e32 v0, 0
	v_mov_b32_e32 v1, 0
	s_and_saveexec_b64 s[30:31], vcc
	s_cbranch_execz .LBB4_4367
; %bb.4360:                             ;   in Loop: Header=BB4_3167 Depth=4
	v_cmp_ne_u32_e32 vcc, s96, v38
	v_bfrev_b32_e32 v1, 1
	s_and_saveexec_b64 s[34:35], vcc
	s_cbranch_execz .LBB4_4366
; %bb.4361:                             ;   in Loop: Header=BB4_3167 Depth=4
	v_and_b32_e32 v1, 0x7c, v38
	v_and_b32_e32 v2, 3, v38
	v_cmp_ne_u32_e32 vcc, s85, v1
                                        ; implicit-def: $vgpr1
	s_and_saveexec_b64 s[28:29], vcc
	s_xor_b64 s[28:29], exec, s[28:29]
	s_cbranch_execz .LBB4_4363
; %bb.4362:                             ;   in Loop: Header=BB4_3167 Depth=4
	v_ffbh_u32_e32 v4, v2
	v_min_u32_e32 v4, 32, v4
	v_bfe_u32 v1, v38, 2, 5
	v_subrev_u32_e32 v13, 29, v4
	v_lshlrev_b64 v[28:29], v13, v[16:17]
	v_sub_u32_e32 v4, 30, v4
	v_cmp_eq_u32_e32 vcc, 0, v1
	v_cndmask_b32_e32 v1, v1, v4, vcc
	v_lshlrev_b32_e32 v4, 24, v38
	v_and_b32_e32 v13, 3, v28
	v_and_b32_e32 v4, 0x80000000, v4
	v_cndmask_b32_e32 v2, v2, v13, vcc
	v_lshl_add_u32 v1, v1, 23, v4
	v_lshl_or_b32 v1, v2, 21, v1
	v_add_u32_e32 v1, 0x38000000, v1
                                        ; implicit-def: $vgpr2
                                        ; implicit-def: $vgpr38
.LBB4_4363:                             ;   in Loop: Header=BB4_3167 Depth=4
	s_andn2_saveexec_b64 s[36:37], s[28:29]
; %bb.4364:                             ;   in Loop: Header=BB4_3167 Depth=4
	v_and_b32_e32 v1, 0x80, v38
	v_cmp_eq_u32_e32 vcc, 0, v2
	v_cmp_eq_u32_e64 s[28:29], 0, v1
	v_mov_b32_e32 v1, 0xff800000
	v_mov_b32_e32 v2, 0x7f800000
	v_cndmask_b32_e64 v1, v1, v2, s[28:29]
	v_mov_b32_e32 v2, 0x7f800001
	v_cndmask_b32_e32 v1, v2, v1, vcc
; %bb.4365:                             ;   in Loop: Header=BB4_3167 Depth=4
	s_or_b64 exec, exec, s[36:37]
.LBB4_4366:                             ;   in Loop: Header=BB4_3167 Depth=4
	s_or_b64 exec, exec, s[34:35]
.LBB4_4367:                             ;   in Loop: Header=BB4_3167 Depth=4
	s_or_b64 exec, exec, s[30:31]
	v_cmp_ne_u16_sdwa vcc, v14, v17 src0_sel:BYTE_0 src1_sel:DWORD
	s_and_saveexec_b64 s[28:29], vcc
	s_cbranch_execz .LBB4_4375
; %bb.4368:                             ;   in Loop: Header=BB4_3167 Depth=4
	v_cmp_ne_u16_sdwa vcc, sext(v14), s97 src0_sel:BYTE_0 src1_sel:DWORD
	v_bfrev_b32_e32 v0, 1
	s_and_saveexec_b64 s[30:31], vcc
	s_cbranch_execz .LBB4_4374
; %bb.4369:                             ;   in Loop: Header=BB4_3167 Depth=4
	v_and_b32_e32 v0, 0x7c, v14
	v_and_b32_e32 v2, 3, v14
	v_cmp_ne_u32_e32 vcc, s85, v0
                                        ; implicit-def: $vgpr0
	s_and_saveexec_b64 s[34:35], vcc
	s_xor_b64 s[34:35], exec, s[34:35]
	s_cbranch_execz .LBB4_4371
; %bb.4370:                             ;   in Loop: Header=BB4_3167 Depth=4
	v_ffbh_u32_e32 v4, v2
	v_min_u32_e32 v4, 32, v4
	v_bfe_u32 v0, v14, 2, 5
	v_subrev_u32_e32 v13, 29, v4
	v_lshlrev_b64 v[28:29], v13, v[14:15]
	v_sub_u32_e32 v4, 30, v4
	v_cmp_eq_u32_e32 vcc, 0, v0
	v_cndmask_b32_e32 v0, v0, v4, vcc
	v_lshlrev_b32_e32 v4, 24, v14
	v_and_b32_e32 v13, 3, v28
	v_and_b32_e32 v4, 0x80000000, v4
	v_cndmask_b32_e32 v2, v2, v13, vcc
	v_lshl_add_u32 v0, v0, 23, v4
	v_lshl_or_b32 v0, v2, 21, v0
	v_add_u32_e32 v0, 0x38000000, v0
                                        ; implicit-def: $vgpr2
.LBB4_4371:                             ;   in Loop: Header=BB4_3167 Depth=4
	s_andn2_saveexec_b64 s[34:35], s[34:35]
; %bb.4372:                             ;   in Loop: Header=BB4_3167 Depth=4
	v_mov_b32_e32 v0, -1
	v_cmp_gt_i16_sdwa vcc, sext(v14), v0 src0_sel:BYTE_0 src1_sel:DWORD
	v_mov_b32_e32 v0, 0xff800000
	v_mov_b32_e32 v4, 0x7f800000
	v_cndmask_b32_e32 v0, v0, v4, vcc
	v_cmp_eq_u32_e32 vcc, 0, v2
	v_mov_b32_e32 v2, 0x7f800001
	v_cndmask_b32_e32 v0, v2, v0, vcc
; %bb.4373:                             ;   in Loop: Header=BB4_3167 Depth=4
	s_or_b64 exec, exec, s[34:35]
.LBB4_4374:                             ;   in Loop: Header=BB4_3167 Depth=4
	s_or_b64 exec, exec, s[30:31]
.LBB4_4375:                             ;   in Loop: Header=BB4_3167 Depth=4
	s_or_b64 exec, exec, s[28:29]
	v_add_f32_e32 v2, v1, v0
	v_and_b32_e32 v28, 0x7f800000, v2
	v_mov_b32_e32 v29, v17
	v_cmp_ne_u64_e32 vcc, s[76:77], v[28:29]
	v_and_b32_e32 v0, 0x7fffff, v2
	v_mov_b32_e32 v1, v17
                                        ; implicit-def: $vgpr13
	s_and_saveexec_b64 s[28:29], vcc
	s_xor_b64 s[30:31], exec, s[28:29]
	s_cbranch_execz .LBB4_4389
; %bb.4376:                             ;   in Loop: Header=BB4_3167 Depth=4
	v_and_b32_e32 v28, 0x7fffffff, v2
	v_mov_b32_e32 v29, v17
	v_cmp_gt_u64_e32 vcc, s[78:79], v[28:29]
	v_and_b32_sdwa v4, v2, s96 dst_sel:DWORD dst_unused:UNUSED_PAD src0_sel:BYTE_3 src1_sel:DWORD
                                        ; implicit-def: $vgpr13
	s_and_saveexec_b64 s[28:29], vcc
	s_xor_b64 s[34:35], exec, s[28:29]
	s_cbranch_execz .LBB4_4386
; %bb.4377:                             ;   in Loop: Header=BB4_3167 Depth=4
	v_mov_b32_e32 v13, 0
	v_cmp_ne_u32_e32 vcc, 0, v2
	s_and_saveexec_b64 s[36:37], vcc
	s_cbranch_execz .LBB4_4385
; %bb.4378:                             ;   in Loop: Header=BB4_3167 Depth=4
	v_bfe_u32 v13, v2, 23, 8
	v_cmp_gt_u32_e64 s[28:29], s46, v13
	v_sub_u32_e32 v2, 0x71, v13
	v_cmp_eq_u32_e32 vcc, 0, v13
	v_cndmask_b32_e64 v2, 0, v2, s[28:29]
	v_mov_b32_e32 v29, 0x70
	v_cndmask_b32_e32 v38, v2, v29, vcc
	v_or_b32_e32 v28, 0x800000, v0
	v_add_u32_e32 v2, 21, v38
	v_cndmask_b32_e32 v0, v28, v0, vcc
	v_lshlrev_b64 v[28:29], v2, -1
	v_add_u32_e32 v2, 20, v38
	v_bfi_b32 v28, v28, 0, v0
	v_lshlrev_b64 v[40:41], v2, 1
	v_lshrrev_b64 v[0:1], v38, v[0:1]
	v_bfi_b32 v29, v29, 0, 0
	v_cmp_eq_u64_e64 s[28:29], v[28:29], v[40:41]
	v_mov_b32_e32 v2, v1
	v_mov_b32_e32 v1, v0
	s_and_saveexec_b64 s[38:39], s[28:29]
; %bb.4379:                             ;   in Loop: Header=BB4_3167 Depth=4
	v_bfe_u32 v1, v0, 21, 1
	v_add_co_u32_e64 v1, s[28:29], v0, v1
	v_add_co_u32_e64 v1, s[28:29], -1, v1
; %bb.4380:                             ;   in Loop: Header=BB4_3167 Depth=4
	s_or_b64 exec, exec, s[38:39]
	v_add_u32_e32 v2, 0xffffff81, v13
	v_mov_b32_e32 v13, 0xffffff82
	v_cndmask_b32_e32 v2, v2, v13, vcc
	v_lshrrev_b32_e32 v13, 23, v0
	v_add3_u32 v38, v38, v2, v13
	v_add_u32_e32 v13, 14, v38
	v_and_b32_e32 v1, 0x1fffff, v1
	v_add_u32_e32 v0, v1, v0
	v_mov_b32_e32 v1, v17
	v_cmp_ne_u32_e32 vcc, 0, v13
                                        ; implicit-def: $vgpr2
	s_and_saveexec_b64 s[28:29], vcc
	s_xor_b64 s[28:29], exec, s[28:29]
; %bb.4381:                             ;   in Loop: Header=BB4_3167 Depth=4
	v_cmp_lt_u64_e32 vcc, s[88:89], v[0:1]
	v_add_u32_e32 v2, 15, v38
	v_cndmask_b32_e32 v2, v13, v2, vcc
	v_cndmask_b32_e64 v13, 0, 1, vcc
	v_lshrrev_b64 v[0:1], v13, v[0:1]
; %bb.4382:                             ;   in Loop: Header=BB4_3167 Depth=4
	s_andn2_saveexec_b64 s[28:29], s[28:29]
; %bb.4383:                             ;   in Loop: Header=BB4_3167 Depth=4
	v_bfe_u32 v2, v0, 23, 1
; %bb.4384:                             ;   in Loop: Header=BB4_3167 Depth=4
	s_or_b64 exec, exec, s[28:29]
	v_lshrrev_b64 v[0:1], 21, v[0:1]
	v_cmp_gt_i32_e32 vcc, 32, v2
	v_cndmask_b32_e32 v1, 0, v1, vcc
	v_cndmask_b32_e32 v0, 3, v0, vcc
	v_cmp_eq_u64_e64 s[28:29], 0, v[0:1]
	v_min_i32_e32 v1, 31, v2
	v_lshlrev_b32_e32 v1, 2, v1
	v_cmp_eq_u32_e32 vcc, 0, v2
	v_and_b32_e32 v1, 0xfc, v1
	v_and_or_b32 v0, v0, 3, v1
	s_and_b64 s[28:29], vcc, s[28:29]
	v_cndmask_b32_e64 v0, v0, 0, s[28:29]
	v_or_b32_e32 v13, v0, v4
.LBB4_4385:                             ;   in Loop: Header=BB4_3167 Depth=4
	s_or_b64 exec, exec, s[36:37]
                                        ; implicit-def: $vgpr4
.LBB4_4386:                             ;   in Loop: Header=BB4_3167 Depth=4
	s_andn2_saveexec_b64 s[28:29], s[34:35]
; %bb.4387:                             ;   in Loop: Header=BB4_3167 Depth=4
	v_or_b32_e32 v13, 0x7b, v4
; %bb.4388:                             ;   in Loop: Header=BB4_3167 Depth=4
	s_or_b64 exec, exec, s[28:29]
                                        ; implicit-def: $vgpr2
                                        ; implicit-def: $vgpr0_vgpr1
.LBB4_4389:                             ;   in Loop: Header=BB4_3167 Depth=4
	s_andn2_saveexec_b64 s[28:29], s[30:31]
	s_cbranch_execz .LBB4_4395
; %bb.4390:                             ;   in Loop: Header=BB4_3167 Depth=4
	v_cmp_ne_u64_e32 vcc, 0, v[0:1]
                                        ; implicit-def: $vgpr13
	s_and_saveexec_b64 s[30:31], vcc
	s_xor_b64 vcc, exec, s[30:31]
; %bb.4391:                             ;   in Loop: Header=BB4_3167 Depth=4
	v_or_b32_sdwa v13, v2, s47 dst_sel:DWORD dst_unused:UNUSED_PAD src0_sel:BYTE_3 src1_sel:DWORD
                                        ; implicit-def: $vgpr2
; %bb.4392:                             ;   in Loop: Header=BB4_3167 Depth=4
	s_andn2_saveexec_b64 s[30:31], vcc
; %bb.4393:                             ;   in Loop: Header=BB4_3167 Depth=4
	v_cmp_lt_i32_e32 vcc, -1, v2
	v_bfrev_b32_e32 v0, 0.5
	v_cndmask_b32_e32 v13, v0, v52, vcc
; %bb.4394:                             ;   in Loop: Header=BB4_3167 Depth=4
	s_or_b64 exec, exec, s[30:31]
.LBB4_4395:                             ;   in Loop: Header=BB4_3167 Depth=4
	s_or_b64 exec, exec, s[28:29]
	v_lshrrev_b16_e32 v0, 8, v54
	v_cmp_ne_u16_e32 vcc, 0, v0
	v_mov_b32_e32 v2, 0
	v_mov_b32_e32 v4, 0
	s_and_saveexec_b64 s[28:29], vcc
	s_cbranch_execz .LBB4_4403
; %bb.4396:                             ;   in Loop: Header=BB4_3167 Depth=4
	v_cmp_ne_u16_e32 vcc, s96, v0
	v_bfrev_b32_e32 v4, 1
	s_and_saveexec_b64 s[30:31], vcc
	s_cbranch_execz .LBB4_4402
; %bb.4397:                             ;   in Loop: Header=BB4_3167 Depth=4
	v_and_b32_e32 v1, 0x7c, v0
	v_and_b32_e32 v38, 3, v0
	v_cmp_ne_u32_e32 vcc, s85, v1
                                        ; implicit-def: $vgpr4
	s_and_saveexec_b64 s[34:35], vcc
	s_xor_b64 s[34:35], exec, s[34:35]
	s_cbranch_execz .LBB4_4399
; %bb.4398:                             ;   in Loop: Header=BB4_3167 Depth=4
	v_ffbh_u32_e32 v28, v38
	v_min_u32_e32 v28, 32, v28
	v_mov_b32_e32 v1, v17
	v_subrev_u32_e32 v29, 29, v28
	v_bfe_u32 v4, v0, 2, 5
	v_lshlrev_b64 v[0:1], v29, v[0:1]
	v_sub_u32_e32 v1, 30, v28
	v_cmp_eq_u32_e32 vcc, 0, v4
	v_cndmask_b32_e32 v1, v4, v1, vcc
	v_lshlrev_b32_e32 v4, 16, v54
	v_and_b32_e32 v0, 3, v0
	v_and_b32_e32 v4, 0x80000000, v4
	v_cndmask_b32_e32 v0, v38, v0, vcc
	v_lshl_add_u32 v1, v1, 23, v4
	v_lshl_or_b32 v0, v0, 21, v1
	v_add_u32_e32 v4, 0x38000000, v0
                                        ; implicit-def: $vgpr38
                                        ; implicit-def: $vgpr54
.LBB4_4399:                             ;   in Loop: Header=BB4_3167 Depth=4
	s_andn2_saveexec_b64 s[34:35], s[34:35]
; %bb.4400:                             ;   in Loop: Header=BB4_3167 Depth=4
	v_cmp_lt_i16_e32 vcc, -1, v54
	v_mov_b32_e32 v0, 0xff800000
	v_mov_b32_e32 v1, 0x7f800000
	v_cndmask_b32_e32 v0, v0, v1, vcc
	v_cmp_eq_u32_e32 vcc, 0, v38
	v_mov_b32_e32 v1, 0x7f800001
	v_cndmask_b32_e32 v4, v1, v0, vcc
; %bb.4401:                             ;   in Loop: Header=BB4_3167 Depth=4
	s_or_b64 exec, exec, s[34:35]
.LBB4_4402:                             ;   in Loop: Header=BB4_3167 Depth=4
	s_or_b64 exec, exec, s[30:31]
.LBB4_4403:                             ;   in Loop: Header=BB4_3167 Depth=4
	s_or_b64 exec, exec, s[28:29]
	v_lshrrev_b16_e32 v0, 8, v14
	v_cmp_ne_u16_e32 vcc, 0, v0
	s_and_saveexec_b64 s[28:29], vcc
	s_cbranch_execz .LBB4_4411
; %bb.4404:                             ;   in Loop: Header=BB4_3167 Depth=4
	v_cmp_ne_u16_e32 vcc, s96, v0
	v_bfrev_b32_e32 v2, 1
	s_and_saveexec_b64 s[30:31], vcc
	s_cbranch_execz .LBB4_4410
; %bb.4405:                             ;   in Loop: Header=BB4_3167 Depth=4
	v_and_b32_e32 v1, 0x7c, v0
	v_and_b32_e32 v38, 3, v0
	v_cmp_ne_u32_e32 vcc, s85, v1
                                        ; implicit-def: $vgpr2
	s_and_saveexec_b64 s[34:35], vcc
	s_xor_b64 s[34:35], exec, s[34:35]
	s_cbranch_execz .LBB4_4407
; %bb.4406:                             ;   in Loop: Header=BB4_3167 Depth=4
	v_ffbh_u32_e32 v28, v38
	v_min_u32_e32 v28, 32, v28
	v_mov_b32_e32 v1, v17
	v_subrev_u32_e32 v29, 29, v28
	v_bfe_u32 v2, v0, 2, 5
	v_lshlrev_b64 v[0:1], v29, v[0:1]
	v_sub_u32_e32 v1, 30, v28
	v_cmp_eq_u32_e32 vcc, 0, v2
	v_cndmask_b32_e32 v1, v2, v1, vcc
	v_lshlrev_b32_e32 v2, 16, v14
	v_and_b32_e32 v0, 3, v0
	v_and_b32_e32 v2, 0x80000000, v2
	v_cndmask_b32_e32 v0, v38, v0, vcc
	v_lshl_add_u32 v1, v1, 23, v2
	v_lshl_or_b32 v0, v0, 21, v1
	v_add_u32_e32 v2, 0x38000000, v0
                                        ; implicit-def: $vgpr38
.LBB4_4407:                             ;   in Loop: Header=BB4_3167 Depth=4
	s_andn2_saveexec_b64 s[34:35], s[34:35]
; %bb.4408:                             ;   in Loop: Header=BB4_3167 Depth=4
	v_cmp_lt_i16_e32 vcc, -1, v14
	v_mov_b32_e32 v0, 0xff800000
	v_mov_b32_e32 v1, 0x7f800000
	v_cndmask_b32_e32 v0, v0, v1, vcc
	v_cmp_eq_u32_e32 vcc, 0, v38
	v_mov_b32_e32 v1, 0x7f800001
	v_cndmask_b32_e32 v2, v1, v0, vcc
; %bb.4409:                             ;   in Loop: Header=BB4_3167 Depth=4
	s_or_b64 exec, exec, s[34:35]
.LBB4_4410:                             ;   in Loop: Header=BB4_3167 Depth=4
	s_or_b64 exec, exec, s[30:31]
.LBB4_4411:                             ;   in Loop: Header=BB4_3167 Depth=4
	s_or_b64 exec, exec, s[28:29]
	v_add_f32_e32 v2, v4, v2
	v_and_b32_e32 v28, 0x7f800000, v2
	v_mov_b32_e32 v29, v17
	v_cmp_ne_u64_e32 vcc, s[76:77], v[28:29]
	v_and_b32_e32 v0, 0x7fffff, v2
	v_mov_b32_e32 v1, v17
                                        ; implicit-def: $vgpr38
	s_and_saveexec_b64 s[28:29], vcc
	s_xor_b64 s[30:31], exec, s[28:29]
	s_cbranch_execz .LBB4_4425
; %bb.4412:                             ;   in Loop: Header=BB4_3167 Depth=4
	v_and_b32_e32 v28, 0x7fffffff, v2
	v_mov_b32_e32 v29, v17
	v_cmp_gt_u64_e32 vcc, s[78:79], v[28:29]
	v_and_b32_sdwa v4, v2, s96 dst_sel:DWORD dst_unused:UNUSED_PAD src0_sel:BYTE_3 src1_sel:DWORD
                                        ; implicit-def: $vgpr38
	s_and_saveexec_b64 s[28:29], vcc
	s_xor_b64 s[34:35], exec, s[28:29]
	s_cbranch_execz .LBB4_4422
; %bb.4413:                             ;   in Loop: Header=BB4_3167 Depth=4
	v_mov_b32_e32 v38, 0
	v_cmp_ne_u32_e32 vcc, 0, v2
	s_and_saveexec_b64 s[36:37], vcc
	s_cbranch_execz .LBB4_4421
; %bb.4414:                             ;   in Loop: Header=BB4_3167 Depth=4
	v_bfe_u32 v38, v2, 23, 8
	v_cmp_gt_u32_e64 s[28:29], s46, v38
	v_sub_u32_e32 v2, 0x71, v38
	v_cmp_eq_u32_e32 vcc, 0, v38
	v_cndmask_b32_e64 v2, 0, v2, s[28:29]
	v_mov_b32_e32 v29, 0x70
	v_cndmask_b32_e32 v54, v2, v29, vcc
	v_or_b32_e32 v28, 0x800000, v0
	v_add_u32_e32 v2, 21, v54
	v_cndmask_b32_e32 v0, v28, v0, vcc
	v_lshlrev_b64 v[28:29], v2, -1
	v_add_u32_e32 v2, 20, v54
	v_bfi_b32 v28, v28, 0, v0
	v_lshlrev_b64 v[40:41], v2, 1
	v_lshrrev_b64 v[0:1], v54, v[0:1]
	v_bfi_b32 v29, v29, 0, 0
	v_cmp_eq_u64_e64 s[28:29], v[28:29], v[40:41]
	v_mov_b32_e32 v2, v1
	v_mov_b32_e32 v1, v0
	s_and_saveexec_b64 s[38:39], s[28:29]
; %bb.4415:                             ;   in Loop: Header=BB4_3167 Depth=4
	v_bfe_u32 v1, v0, 21, 1
	v_add_co_u32_e64 v1, s[28:29], v0, v1
	v_add_co_u32_e64 v1, s[28:29], -1, v1
; %bb.4416:                             ;   in Loop: Header=BB4_3167 Depth=4
	s_or_b64 exec, exec, s[38:39]
	v_add_u32_e32 v2, 0xffffff81, v38
	v_mov_b32_e32 v28, 0xffffff82
	v_cndmask_b32_e32 v2, v2, v28, vcc
	v_lshrrev_b32_e32 v28, 23, v0
	v_add3_u32 v54, v54, v2, v28
	v_add_u32_e32 v38, 14, v54
	v_and_b32_e32 v1, 0x1fffff, v1
	v_add_u32_e32 v0, v1, v0
	v_mov_b32_e32 v1, v17
	v_cmp_ne_u32_e32 vcc, 0, v38
                                        ; implicit-def: $vgpr2
	s_and_saveexec_b64 s[28:29], vcc
	s_xor_b64 s[28:29], exec, s[28:29]
; %bb.4417:                             ;   in Loop: Header=BB4_3167 Depth=4
	v_cmp_lt_u64_e32 vcc, s[88:89], v[0:1]
	v_add_u32_e32 v2, 15, v54
	v_cndmask_b32_e64 v28, 0, 1, vcc
	v_cndmask_b32_e32 v2, v38, v2, vcc
	v_lshrrev_b64 v[0:1], v28, v[0:1]
; %bb.4418:                             ;   in Loop: Header=BB4_3167 Depth=4
	s_andn2_saveexec_b64 s[28:29], s[28:29]
; %bb.4419:                             ;   in Loop: Header=BB4_3167 Depth=4
	v_bfe_u32 v2, v0, 23, 1
; %bb.4420:                             ;   in Loop: Header=BB4_3167 Depth=4
	s_or_b64 exec, exec, s[28:29]
	v_lshrrev_b64 v[0:1], 21, v[0:1]
	v_cmp_gt_i32_e32 vcc, 32, v2
	v_cndmask_b32_e32 v1, 0, v1, vcc
	v_cndmask_b32_e32 v0, 3, v0, vcc
	v_cmp_eq_u64_e64 s[28:29], 0, v[0:1]
	v_min_i32_e32 v1, 31, v2
	v_lshlrev_b32_e32 v1, 2, v1
	v_cmp_eq_u32_e32 vcc, 0, v2
	v_and_b32_e32 v1, 0xfc, v1
	v_and_or_b32 v0, v0, 3, v1
	s_and_b64 s[28:29], vcc, s[28:29]
	v_cndmask_b32_e64 v0, v0, 0, s[28:29]
	v_or_b32_e32 v38, v0, v4
.LBB4_4421:                             ;   in Loop: Header=BB4_3167 Depth=4
	s_or_b64 exec, exec, s[36:37]
                                        ; implicit-def: $vgpr4
.LBB4_4422:                             ;   in Loop: Header=BB4_3167 Depth=4
	s_andn2_saveexec_b64 s[28:29], s[34:35]
; %bb.4423:                             ;   in Loop: Header=BB4_3167 Depth=4
	v_or_b32_e32 v38, 0x7b, v4
; %bb.4424:                             ;   in Loop: Header=BB4_3167 Depth=4
	s_or_b64 exec, exec, s[28:29]
                                        ; implicit-def: $vgpr2
                                        ; implicit-def: $vgpr0_vgpr1
.LBB4_4425:                             ;   in Loop: Header=BB4_3167 Depth=4
	s_andn2_saveexec_b64 s[28:29], s[30:31]
	s_cbranch_execz .LBB4_4431
; %bb.4426:                             ;   in Loop: Header=BB4_3167 Depth=4
	v_cmp_ne_u64_e32 vcc, 0, v[0:1]
                                        ; implicit-def: $vgpr38
	s_and_saveexec_b64 s[30:31], vcc
	s_xor_b64 vcc, exec, s[30:31]
; %bb.4427:                             ;   in Loop: Header=BB4_3167 Depth=4
	v_or_b32_sdwa v38, v2, s47 dst_sel:DWORD dst_unused:UNUSED_PAD src0_sel:BYTE_3 src1_sel:DWORD
                                        ; implicit-def: $vgpr2
; %bb.4428:                             ;   in Loop: Header=BB4_3167 Depth=4
	s_andn2_saveexec_b64 s[30:31], vcc
; %bb.4429:                             ;   in Loop: Header=BB4_3167 Depth=4
	v_cmp_lt_i32_e32 vcc, -1, v2
	v_bfrev_b32_e32 v0, 0.5
	v_cndmask_b32_e32 v38, v0, v52, vcc
; %bb.4430:                             ;   in Loop: Header=BB4_3167 Depth=4
	s_or_b64 exec, exec, s[30:31]
.LBB4_4431:                             ;   in Loop: Header=BB4_3167 Depth=4
	s_or_b64 exec, exec, s[28:29]
	v_and_b32_sdwa v4, v16, s87 dst_sel:DWORD dst_unused:UNUSED_PAD src0_sel:WORD_1 src1_sel:DWORD
	v_lshrrev_b32_e32 v0, 16, v16
	v_cmp_ne_u16_e32 vcc, 0, v4
	v_mov_b32_e32 v1, 0
	v_mov_b32_e32 v2, 0
	s_and_saveexec_b64 s[28:29], vcc
	s_cbranch_execz .LBB4_4439
; %bb.4432:                             ;   in Loop: Header=BB4_3167 Depth=4
	v_cmp_ne_u16_e32 vcc, s96, v4
	v_bfrev_b32_e32 v2, 1
	s_and_saveexec_b64 s[30:31], vcc
	s_cbranch_execz .LBB4_4438
; %bb.4433:                             ;   in Loop: Header=BB4_3167 Depth=4
	v_and_b32_e32 v2, 0x7c0000, v16
	v_bfe_u32 v4, v16, 16, 2
	v_cmp_ne_u32_e32 vcc, s44, v2
                                        ; implicit-def: $vgpr2
	s_and_saveexec_b64 s[34:35], vcc
	s_xor_b64 s[34:35], exec, s[34:35]
	s_cbranch_execz .LBB4_4435
; %bb.4434:                             ;   in Loop: Header=BB4_3167 Depth=4
	v_ffbh_u32_e32 v28, v4
	v_min_u32_e32 v54, 32, v28
	v_subrev_u32_e32 v28, 29, v54
	v_lshlrev_b64 v[28:29], v28, v[0:1]
	v_bfe_u32 v2, v16, 18, 5
	v_sub_u32_e32 v0, 30, v54
	v_and_b32_e32 v28, 3, v28
	v_cmp_eq_u32_e32 vcc, 0, v2
	v_cndmask_b32_e32 v0, v2, v0, vcc
	v_cndmask_b32_e32 v2, v4, v28, vcc
	v_lshlrev_b32_e32 v4, 8, v16
	v_and_b32_e32 v4, 0x80000000, v4
	v_lshl_add_u32 v0, v0, 23, v4
	v_lshl_or_b32 v0, v2, 21, v0
	v_add_u32_e32 v2, 0x38000000, v0
                                        ; implicit-def: $vgpr4
                                        ; implicit-def: $vgpr0
.LBB4_4435:                             ;   in Loop: Header=BB4_3167 Depth=4
	s_andn2_saveexec_b64 s[34:35], s[34:35]
; %bb.4436:                             ;   in Loop: Header=BB4_3167 Depth=4
	v_mov_b32_e32 v2, -1
	v_cmp_gt_i16_sdwa vcc, sext(v0), v2 src0_sel:BYTE_0 src1_sel:DWORD
	v_mov_b32_e32 v0, 0xff800000
	v_mov_b32_e32 v2, 0x7f800000
	v_cndmask_b32_e32 v0, v0, v2, vcc
	v_cmp_eq_u32_e32 vcc, 0, v4
	v_mov_b32_e32 v2, 0x7f800001
	v_cndmask_b32_e32 v2, v2, v0, vcc
; %bb.4437:                             ;   in Loop: Header=BB4_3167 Depth=4
	s_or_b64 exec, exec, s[34:35]
.LBB4_4438:                             ;   in Loop: Header=BB4_3167 Depth=4
	s_or_b64 exec, exec, s[30:31]
.LBB4_4439:                             ;   in Loop: Header=BB4_3167 Depth=4
	s_or_b64 exec, exec, s[28:29]
	v_lshrrev_b32_e32 v0, 16, v14
	v_cmp_ne_u16_sdwa vcc, v0, v17 src0_sel:BYTE_0 src1_sel:DWORD
	s_and_saveexec_b64 s[28:29], vcc
	s_cbranch_execz .LBB4_4447
; %bb.4440:                             ;   in Loop: Header=BB4_3167 Depth=4
	v_cmp_ne_u16_sdwa vcc, v0, s96 src0_sel:BYTE_0 src1_sel:DWORD
	v_bfrev_b32_e32 v1, 1
	s_and_saveexec_b64 s[30:31], vcc
	s_cbranch_execz .LBB4_4446
; %bb.4441:                             ;   in Loop: Header=BB4_3167 Depth=4
	v_and_b32_e32 v1, 0x7c0000, v14
	v_bfe_u32 v4, v14, 16, 2
	v_cmp_ne_u32_e32 vcc, s44, v1
                                        ; implicit-def: $vgpr1
	s_and_saveexec_b64 s[34:35], vcc
	s_xor_b64 s[34:35], exec, s[34:35]
	s_cbranch_execz .LBB4_4443
; %bb.4442:                             ;   in Loop: Header=BB4_3167 Depth=4
	v_ffbh_u32_e32 v1, v4
	v_min_u32_e32 v29, 32, v1
	v_subrev_u32_e32 v1, 29, v29
	v_lshlrev_b64 v[0:1], v1, v[0:1]
	v_bfe_u32 v28, v14, 18, 5
	v_and_b32_e32 v0, 3, v0
	v_cmp_eq_u32_e32 vcc, 0, v28
	v_sub_u32_e32 v1, 30, v29
	v_cndmask_b32_e32 v0, v4, v0, vcc
	v_lshlrev_b32_e32 v4, 8, v14
	v_cndmask_b32_e32 v1, v28, v1, vcc
	v_and_b32_e32 v4, 0x80000000, v4
	v_lshl_add_u32 v1, v1, 23, v4
	v_lshl_or_b32 v0, v0, 21, v1
	v_add_u32_e32 v1, 0x38000000, v0
                                        ; implicit-def: $vgpr4
                                        ; implicit-def: $vgpr0
.LBB4_4443:                             ;   in Loop: Header=BB4_3167 Depth=4
	s_andn2_saveexec_b64 s[34:35], s[34:35]
; %bb.4444:                             ;   in Loop: Header=BB4_3167 Depth=4
	v_mov_b32_e32 v1, -1
	v_cmp_gt_i16_sdwa vcc, sext(v0), v1 src0_sel:BYTE_0 src1_sel:DWORD
	v_mov_b32_e32 v0, 0xff800000
	v_mov_b32_e32 v1, 0x7f800000
	v_cndmask_b32_e32 v0, v0, v1, vcc
	v_cmp_eq_u32_e32 vcc, 0, v4
	v_mov_b32_e32 v1, 0x7f800001
	v_cndmask_b32_e32 v1, v1, v0, vcc
; %bb.4445:                             ;   in Loop: Header=BB4_3167 Depth=4
	s_or_b64 exec, exec, s[34:35]
.LBB4_4446:                             ;   in Loop: Header=BB4_3167 Depth=4
	s_or_b64 exec, exec, s[30:31]
.LBB4_4447:                             ;   in Loop: Header=BB4_3167 Depth=4
	s_or_b64 exec, exec, s[28:29]
	v_add_f32_e32 v2, v2, v1
	v_and_b32_e32 v28, 0x7f800000, v2
	v_mov_b32_e32 v29, v17
	v_cmp_ne_u64_e32 vcc, s[76:77], v[28:29]
	v_and_b32_e32 v0, 0x7fffff, v2
	v_mov_b32_e32 v1, v17
                                        ; implicit-def: $vgpr54
	s_and_saveexec_b64 s[28:29], vcc
	s_xor_b64 s[30:31], exec, s[28:29]
	s_cbranch_execz .LBB4_4461
; %bb.4448:                             ;   in Loop: Header=BB4_3167 Depth=4
	v_and_b32_e32 v28, 0x7fffffff, v2
	v_mov_b32_e32 v29, v17
	v_cmp_gt_u64_e32 vcc, s[78:79], v[28:29]
	v_and_b32_sdwa v4, v2, s96 dst_sel:DWORD dst_unused:UNUSED_PAD src0_sel:BYTE_3 src1_sel:DWORD
                                        ; implicit-def: $vgpr54
	s_and_saveexec_b64 s[28:29], vcc
	s_xor_b64 s[34:35], exec, s[28:29]
	s_cbranch_execz .LBB4_4458
; %bb.4449:                             ;   in Loop: Header=BB4_3167 Depth=4
	v_mov_b32_e32 v54, 0
	v_cmp_ne_u32_e32 vcc, 0, v2
	s_and_saveexec_b64 s[36:37], vcc
	s_cbranch_execz .LBB4_4457
; %bb.4450:                             ;   in Loop: Header=BB4_3167 Depth=4
	v_bfe_u32 v54, v2, 23, 8
	v_cmp_gt_u32_e64 s[28:29], s46, v54
	v_sub_u32_e32 v2, 0x71, v54
	v_cmp_eq_u32_e32 vcc, 0, v54
	v_cndmask_b32_e64 v2, 0, v2, s[28:29]
	v_mov_b32_e32 v29, 0x70
	v_cndmask_b32_e32 v40, v2, v29, vcc
	v_or_b32_e32 v28, 0x800000, v0
	v_add_u32_e32 v2, 21, v40
	v_cndmask_b32_e32 v0, v28, v0, vcc
	v_lshlrev_b64 v[28:29], v2, -1
	v_add_u32_e32 v2, 20, v40
	v_bfi_b32 v28, v28, 0, v0
	v_lshlrev_b64 v[41:42], v2, 1
	v_lshrrev_b64 v[0:1], v40, v[0:1]
	v_bfi_b32 v29, v29, 0, 0
	v_cmp_eq_u64_e64 s[28:29], v[28:29], v[41:42]
	v_mov_b32_e32 v2, v1
	v_mov_b32_e32 v1, v0
	s_and_saveexec_b64 s[38:39], s[28:29]
; %bb.4451:                             ;   in Loop: Header=BB4_3167 Depth=4
	v_bfe_u32 v1, v0, 21, 1
	v_add_co_u32_e64 v1, s[28:29], v0, v1
	v_add_co_u32_e64 v1, s[28:29], -1, v1
; %bb.4452:                             ;   in Loop: Header=BB4_3167 Depth=4
	s_or_b64 exec, exec, s[38:39]
	v_add_u32_e32 v2, 0xffffff81, v54
	v_mov_b32_e32 v28, 0xffffff82
	v_cndmask_b32_e32 v2, v2, v28, vcc
	v_lshrrev_b32_e32 v28, 23, v0
	v_add3_u32 v40, v40, v2, v28
	v_add_u32_e32 v54, 14, v40
	v_and_b32_e32 v1, 0x1fffff, v1
	v_add_u32_e32 v0, v1, v0
	v_mov_b32_e32 v1, v17
	v_cmp_ne_u32_e32 vcc, 0, v54
                                        ; implicit-def: $vgpr2
	s_and_saveexec_b64 s[28:29], vcc
	s_xor_b64 s[28:29], exec, s[28:29]
; %bb.4453:                             ;   in Loop: Header=BB4_3167 Depth=4
	v_cmp_lt_u64_e32 vcc, s[88:89], v[0:1]
	v_add_u32_e32 v2, 15, v40
	v_cndmask_b32_e64 v28, 0, 1, vcc
	v_cndmask_b32_e32 v2, v54, v2, vcc
	v_lshrrev_b64 v[0:1], v28, v[0:1]
; %bb.4454:                             ;   in Loop: Header=BB4_3167 Depth=4
	s_andn2_saveexec_b64 s[28:29], s[28:29]
; %bb.4455:                             ;   in Loop: Header=BB4_3167 Depth=4
	v_bfe_u32 v2, v0, 23, 1
; %bb.4456:                             ;   in Loop: Header=BB4_3167 Depth=4
	s_or_b64 exec, exec, s[28:29]
	v_lshrrev_b64 v[0:1], 21, v[0:1]
	v_cmp_gt_i32_e32 vcc, 32, v2
	v_cndmask_b32_e32 v1, 0, v1, vcc
	v_cndmask_b32_e32 v0, 3, v0, vcc
	v_cmp_eq_u64_e64 s[28:29], 0, v[0:1]
	v_min_i32_e32 v1, 31, v2
	v_lshlrev_b32_e32 v1, 2, v1
	v_cmp_eq_u32_e32 vcc, 0, v2
	v_and_b32_e32 v1, 0xfc, v1
	v_and_or_b32 v0, v0, 3, v1
	s_and_b64 s[28:29], vcc, s[28:29]
	v_cndmask_b32_e64 v0, v0, 0, s[28:29]
	v_or_b32_e32 v54, v0, v4
.LBB4_4457:                             ;   in Loop: Header=BB4_3167 Depth=4
	s_or_b64 exec, exec, s[36:37]
                                        ; implicit-def: $vgpr4
.LBB4_4458:                             ;   in Loop: Header=BB4_3167 Depth=4
	s_andn2_saveexec_b64 s[28:29], s[34:35]
; %bb.4459:                             ;   in Loop: Header=BB4_3167 Depth=4
	v_or_b32_e32 v54, 0x7b, v4
; %bb.4460:                             ;   in Loop: Header=BB4_3167 Depth=4
	s_or_b64 exec, exec, s[28:29]
                                        ; implicit-def: $vgpr2
                                        ; implicit-def: $vgpr0_vgpr1
.LBB4_4461:                             ;   in Loop: Header=BB4_3167 Depth=4
	s_andn2_saveexec_b64 s[28:29], s[30:31]
	s_cbranch_execz .LBB4_4467
; %bb.4462:                             ;   in Loop: Header=BB4_3167 Depth=4
	v_cmp_ne_u64_e32 vcc, 0, v[0:1]
                                        ; implicit-def: $vgpr54
	s_and_saveexec_b64 s[30:31], vcc
	s_xor_b64 vcc, exec, s[30:31]
; %bb.4463:                             ;   in Loop: Header=BB4_3167 Depth=4
	v_or_b32_sdwa v54, v2, s47 dst_sel:DWORD dst_unused:UNUSED_PAD src0_sel:BYTE_3 src1_sel:DWORD
                                        ; implicit-def: $vgpr2
; %bb.4464:                             ;   in Loop: Header=BB4_3167 Depth=4
	s_andn2_saveexec_b64 s[30:31], vcc
; %bb.4465:                             ;   in Loop: Header=BB4_3167 Depth=4
	v_cmp_lt_i32_e32 vcc, -1, v2
	v_bfrev_b32_e32 v0, 0.5
	v_cndmask_b32_e32 v54, v0, v52, vcc
; %bb.4466:                             ;   in Loop: Header=BB4_3167 Depth=4
	s_or_b64 exec, exec, s[30:31]
.LBB4_4467:                             ;   in Loop: Header=BB4_3167 Depth=4
	s_or_b64 exec, exec, s[28:29]
	v_cmp_lt_u32_e32 vcc, s57, v16
	v_mov_b32_e32 v1, 0
	v_mov_b32_e32 v2, 0
	s_and_saveexec_b64 s[28:29], vcc
	s_cbranch_execz .LBB4_4475
; %bb.4468:                             ;   in Loop: Header=BB4_3167 Depth=4
	v_lshrrev_b32_e32 v0, 24, v16
	v_cmp_ne_u32_e32 vcc, s96, v0
	v_bfrev_b32_e32 v2, 1
	s_and_saveexec_b64 s[30:31], vcc
	s_cbranch_execz .LBB4_4474
; %bb.4469:                             ;   in Loop: Header=BB4_3167 Depth=4
	v_and_b32_e32 v2, 0x7c000000, v16
	v_bfe_u32 v4, v16, 24, 2
	v_cmp_ne_u32_e32 vcc, s45, v2
                                        ; implicit-def: $vgpr2
	s_and_saveexec_b64 s[34:35], vcc
	s_xor_b64 s[34:35], exec, s[34:35]
	s_cbranch_execz .LBB4_4471
; %bb.4470:                             ;   in Loop: Header=BB4_3167 Depth=4
	v_ffbh_u32_e32 v28, v4
	v_min_u32_e32 v40, 32, v28
	v_subrev_u32_e32 v28, 29, v40
	v_lshlrev_b64 v[28:29], v28, v[0:1]
	v_bfe_u32 v2, v16, 26, 5
	v_sub_u32_e32 v0, 30, v40
	v_and_b32_e32 v28, 3, v28
	v_cmp_eq_u32_e32 vcc, 0, v2
	v_cndmask_b32_e32 v0, v2, v0, vcc
	v_cndmask_b32_e32 v2, v4, v28, vcc
	v_and_b32_e32 v4, 0x80000000, v16
	v_lshl_add_u32 v0, v0, 23, v4
	v_lshl_or_b32 v0, v2, 21, v0
	v_add_u32_e32 v2, 0x38000000, v0
                                        ; implicit-def: $vgpr4
.LBB4_4471:                             ;   in Loop: Header=BB4_3167 Depth=4
	s_andn2_saveexec_b64 s[34:35], s[34:35]
; %bb.4472:                             ;   in Loop: Header=BB4_3167 Depth=4
	v_cmp_lt_i32_e32 vcc, -1, v16
	v_mov_b32_e32 v0, 0xff800000
	v_mov_b32_e32 v2, 0x7f800000
	v_cndmask_b32_e32 v0, v0, v2, vcc
	v_cmp_eq_u32_e32 vcc, 0, v4
	v_mov_b32_e32 v2, 0x7f800001
	v_cndmask_b32_e32 v2, v2, v0, vcc
; %bb.4473:                             ;   in Loop: Header=BB4_3167 Depth=4
	s_or_b64 exec, exec, s[34:35]
.LBB4_4474:                             ;   in Loop: Header=BB4_3167 Depth=4
	s_or_b64 exec, exec, s[30:31]
.LBB4_4475:                             ;   in Loop: Header=BB4_3167 Depth=4
	s_or_b64 exec, exec, s[28:29]
	v_cmp_lt_u32_e32 vcc, s57, v14
	s_and_saveexec_b64 s[28:29], vcc
	s_cbranch_execz .LBB4_4483
; %bb.4476:                             ;   in Loop: Header=BB4_3167 Depth=4
	v_lshrrev_b32_e32 v0, 24, v14
	v_cmp_ne_u32_e32 vcc, s96, v0
	v_bfrev_b32_e32 v1, 1
	s_and_saveexec_b64 s[30:31], vcc
	s_cbranch_execz .LBB4_4482
; %bb.4477:                             ;   in Loop: Header=BB4_3167 Depth=4
	v_and_b32_e32 v1, 0x7c000000, v14
	v_bfe_u32 v4, v14, 24, 2
	v_cmp_ne_u32_e32 vcc, s45, v1
                                        ; implicit-def: $vgpr1
	s_and_saveexec_b64 s[34:35], vcc
	s_xor_b64 s[34:35], exec, s[34:35]
	s_cbranch_execz .LBB4_4479
; %bb.4478:                             ;   in Loop: Header=BB4_3167 Depth=4
	v_ffbh_u32_e32 v1, v4
	v_min_u32_e32 v28, 32, v1
	v_subrev_u32_e32 v1, 29, v28
	v_lshlrev_b64 v[0:1], v1, v[0:1]
	v_bfe_u32 v16, v14, 26, 5
	v_sub_u32_e32 v1, 30, v28
	v_and_b32_e32 v0, 3, v0
	v_cmp_eq_u32_e32 vcc, 0, v16
	v_cndmask_b32_e32 v1, v16, v1, vcc
	v_cndmask_b32_e32 v0, v4, v0, vcc
	v_and_b32_e32 v4, 0x80000000, v14
	v_lshl_add_u32 v1, v1, 23, v4
	v_lshl_or_b32 v0, v0, 21, v1
	v_add_u32_e32 v1, 0x38000000, v0
                                        ; implicit-def: $vgpr4
.LBB4_4479:                             ;   in Loop: Header=BB4_3167 Depth=4
	s_andn2_saveexec_b64 s[34:35], s[34:35]
; %bb.4480:                             ;   in Loop: Header=BB4_3167 Depth=4
	v_cmp_lt_i32_e32 vcc, -1, v14
	v_mov_b32_e32 v0, 0xff800000
	v_mov_b32_e32 v1, 0x7f800000
	v_cndmask_b32_e32 v0, v0, v1, vcc
	v_cmp_eq_u32_e32 vcc, 0, v4
	v_mov_b32_e32 v1, 0x7f800001
	v_cndmask_b32_e32 v1, v1, v0, vcc
; %bb.4481:                             ;   in Loop: Header=BB4_3167 Depth=4
	s_or_b64 exec, exec, s[34:35]
.LBB4_4482:                             ;   in Loop: Header=BB4_3167 Depth=4
	s_or_b64 exec, exec, s[30:31]
.LBB4_4483:                             ;   in Loop: Header=BB4_3167 Depth=4
	s_or_b64 exec, exec, s[28:29]
	v_add_f32_e32 v0, v2, v1
	v_and_b32_e32 v1, 0x7f800000, v0
	v_mov_b32_e32 v2, v17
	v_cmp_ne_u64_e32 vcc, s[76:77], v[1:2]
	v_and_b32_e32 v16, 0x7fffff, v0
                                        ; implicit-def: $vgpr59
	s_and_saveexec_b64 s[28:29], vcc
	s_xor_b64 s[30:31], exec, s[28:29]
	s_cbranch_execz .LBB4_4497
; %bb.4484:                             ;   in Loop: Header=BB4_3167 Depth=4
	v_and_b32_e32 v1, 0x7fffffff, v0
	v_mov_b32_e32 v2, v17
	v_cmp_gt_u64_e32 vcc, s[78:79], v[1:2]
	v_and_b32_sdwa v4, v0, s96 dst_sel:DWORD dst_unused:UNUSED_PAD src0_sel:BYTE_3 src1_sel:DWORD
                                        ; implicit-def: $vgpr59
	s_and_saveexec_b64 s[28:29], vcc
	s_xor_b64 s[34:35], exec, s[28:29]
	s_cbranch_execz .LBB4_4494
; %bb.4485:                             ;   in Loop: Header=BB4_3167 Depth=4
	v_mov_b32_e32 v59, 0
	v_cmp_ne_u32_e32 vcc, 0, v0
	s_and_saveexec_b64 s[36:37], vcc
	s_cbranch_execz .LBB4_4493
; %bb.4486:                             ;   in Loop: Header=BB4_3167 Depth=4
	v_bfe_u32 v59, v0, 23, 8
	v_cmp_gt_u32_e64 s[28:29], s46, v59
	v_sub_u32_e32 v0, 0x71, v59
	v_cmp_eq_u32_e32 vcc, 0, v59
	v_cndmask_b32_e64 v0, 0, v0, s[28:29]
	v_mov_b32_e32 v2, 0x70
	v_cndmask_b32_e32 v40, v0, v2, vcc
	v_add_u32_e32 v2, 21, v40
	v_or_b32_e32 v1, 0x800000, v16
	v_lshlrev_b64 v[28:29], v2, -1
	v_cndmask_b32_e32 v0, v1, v16, vcc
	v_mov_b32_e32 v1, v17
	v_add_u32_e32 v2, 20, v40
	v_bfi_b32 v28, v28, 0, v0
	v_lshlrev_b64 v[41:42], v2, 1
	v_lshrrev_b64 v[0:1], v40, v[0:1]
	v_bfi_b32 v29, v29, 0, 0
	v_cmp_eq_u64_e64 s[28:29], v[28:29], v[41:42]
	v_mov_b32_e32 v2, v1
	v_mov_b32_e32 v1, v0
	s_and_saveexec_b64 s[38:39], s[28:29]
; %bb.4487:                             ;   in Loop: Header=BB4_3167 Depth=4
	v_bfe_u32 v1, v0, 21, 1
	v_add_co_u32_e64 v1, s[28:29], v0, v1
	v_add_co_u32_e64 v1, s[28:29], -1, v1
; %bb.4488:                             ;   in Loop: Header=BB4_3167 Depth=4
	s_or_b64 exec, exec, s[38:39]
	v_add_u32_e32 v2, 0xffffff81, v59
	v_mov_b32_e32 v16, 0xffffff82
	v_cndmask_b32_e32 v2, v2, v16, vcc
	v_lshrrev_b32_e32 v16, 23, v0
	v_add3_u32 v41, v40, v2, v16
	v_add_u32_e32 v40, 14, v41
	v_and_b32_e32 v1, 0x1fffff, v1
	v_add_u32_e32 v16, v1, v0
	v_cmp_ne_u32_e32 vcc, 0, v40
                                        ; implicit-def: $vgpr0_vgpr1
                                        ; implicit-def: $vgpr2
	s_and_saveexec_b64 s[28:29], vcc
	s_xor_b64 s[28:29], exec, s[28:29]
; %bb.4489:                             ;   in Loop: Header=BB4_3167 Depth=4
	v_cmp_lt_u64_e32 vcc, s[88:89], v[16:17]
	v_add_u32_e32 v0, 15, v41
	v_cndmask_b32_e32 v2, v40, v0, vcc
	v_cndmask_b32_e64 v0, 0, 1, vcc
	v_lshrrev_b64 v[0:1], v0, v[16:17]
; %bb.4490:                             ;   in Loop: Header=BB4_3167 Depth=4
	s_andn2_saveexec_b64 s[28:29], s[28:29]
; %bb.4491:                             ;   in Loop: Header=BB4_3167 Depth=4
	v_mov_b32_e32 v0, v16
	v_mov_b32_e32 v1, v17
	v_bfe_u32 v2, v16, 23, 1
; %bb.4492:                             ;   in Loop: Header=BB4_3167 Depth=4
	s_or_b64 exec, exec, s[28:29]
	v_lshrrev_b64 v[0:1], 21, v[0:1]
	v_cmp_gt_i32_e32 vcc, 32, v2
	v_cndmask_b32_e32 v1, 0, v1, vcc
	v_cndmask_b32_e32 v0, 3, v0, vcc
	v_cmp_eq_u64_e64 s[28:29], 0, v[0:1]
	v_min_i32_e32 v1, 31, v2
	v_lshlrev_b32_e32 v1, 2, v1
	v_cmp_eq_u32_e32 vcc, 0, v2
	v_and_b32_e32 v1, 0xfc, v1
	v_and_or_b32 v0, v0, 3, v1
	s_and_b64 s[28:29], vcc, s[28:29]
	v_cndmask_b32_e64 v0, v0, 0, s[28:29]
	v_or_b32_e32 v59, v0, v4
.LBB4_4493:                             ;   in Loop: Header=BB4_3167 Depth=4
	s_or_b64 exec, exec, s[36:37]
                                        ; implicit-def: $vgpr4
.LBB4_4494:                             ;   in Loop: Header=BB4_3167 Depth=4
	s_andn2_saveexec_b64 s[28:29], s[34:35]
; %bb.4495:                             ;   in Loop: Header=BB4_3167 Depth=4
	v_or_b32_e32 v59, 0x7b, v4
; %bb.4496:                             ;   in Loop: Header=BB4_3167 Depth=4
	s_or_b64 exec, exec, s[28:29]
                                        ; implicit-def: $vgpr0
.LBB4_4497:                             ;   in Loop: Header=BB4_3167 Depth=4
	s_andn2_saveexec_b64 s[28:29], s[30:31]
	s_cbranch_execz .LBB4_4503
; %bb.4498:                             ;   in Loop: Header=BB4_3167 Depth=4
	v_cmp_ne_u64_e32 vcc, 0, v[16:17]
                                        ; implicit-def: $vgpr59
	s_and_saveexec_b64 s[30:31], vcc
	s_xor_b64 vcc, exec, s[30:31]
; %bb.4499:                             ;   in Loop: Header=BB4_3167 Depth=4
	v_or_b32_sdwa v59, v0, s47 dst_sel:DWORD dst_unused:UNUSED_PAD src0_sel:BYTE_3 src1_sel:DWORD
                                        ; implicit-def: $vgpr0
; %bb.4500:                             ;   in Loop: Header=BB4_3167 Depth=4
	s_andn2_saveexec_b64 s[30:31], vcc
; %bb.4501:                             ;   in Loop: Header=BB4_3167 Depth=4
	v_cmp_lt_i32_e32 vcc, -1, v0
	v_bfrev_b32_e32 v0, 0.5
	v_cndmask_b32_e32 v59, v0, v52, vcc
; %bb.4502:                             ;   in Loop: Header=BB4_3167 Depth=4
	s_or_b64 exec, exec, s[30:31]
.LBB4_4503:                             ;   in Loop: Header=BB4_3167 Depth=4
	s_or_b64 exec, exec, s[28:29]
	v_lshlrev_b32_e32 v0, 24, v58
	v_lshlrev_b32_e32 v1, 16, v53
	v_lshl_or_b32 v49, v49, 8, v33
	v_or3_b32 v16, v1, v0, v49
	v_cmp_ne_u32_e32 vcc, 0, v33
	v_mov_b32_e32 v0, 0
	v_mov_b32_e32 v1, 0
	s_and_saveexec_b64 s[30:31], vcc
	s_cbranch_execz .LBB4_4511
; %bb.4504:                             ;   in Loop: Header=BB4_3167 Depth=4
	v_cmp_ne_u32_e32 vcc, s96, v33
	v_bfrev_b32_e32 v1, 1
	s_and_saveexec_b64 s[34:35], vcc
	s_cbranch_execz .LBB4_4510
; %bb.4505:                             ;   in Loop: Header=BB4_3167 Depth=4
	v_and_b32_e32 v1, 0x7c, v33
	v_and_b32_e32 v2, 3, v33
	v_cmp_ne_u32_e32 vcc, s85, v1
                                        ; implicit-def: $vgpr1
	s_and_saveexec_b64 s[28:29], vcc
	s_xor_b64 s[28:29], exec, s[28:29]
	s_cbranch_execz .LBB4_4507
; %bb.4506:                             ;   in Loop: Header=BB4_3167 Depth=4
	v_ffbh_u32_e32 v4, v2
	v_min_u32_e32 v4, 32, v4
	v_bfe_u32 v1, v33, 2, 5
	v_subrev_u32_e32 v28, 29, v4
	v_lshlrev_b64 v[28:29], v28, v[16:17]
	v_sub_u32_e32 v4, 30, v4
	v_cmp_eq_u32_e32 vcc, 0, v1
	v_cndmask_b32_e32 v1, v1, v4, vcc
	v_lshlrev_b32_e32 v4, 24, v33
	v_and_b32_e32 v28, 3, v28
	v_and_b32_e32 v4, 0x80000000, v4
	v_cndmask_b32_e32 v2, v2, v28, vcc
	v_lshl_add_u32 v1, v1, 23, v4
	v_lshl_or_b32 v1, v2, 21, v1
	v_add_u32_e32 v1, 0x38000000, v1
                                        ; implicit-def: $vgpr2
                                        ; implicit-def: $vgpr33
.LBB4_4507:                             ;   in Loop: Header=BB4_3167 Depth=4
	s_andn2_saveexec_b64 s[36:37], s[28:29]
; %bb.4508:                             ;   in Loop: Header=BB4_3167 Depth=4
	v_and_b32_e32 v1, 0x80, v33
	v_cmp_eq_u32_e32 vcc, 0, v2
	v_cmp_eq_u32_e64 s[28:29], 0, v1
	v_mov_b32_e32 v1, 0xff800000
	v_mov_b32_e32 v2, 0x7f800000
	v_cndmask_b32_e64 v1, v1, v2, s[28:29]
	v_mov_b32_e32 v2, 0x7f800001
	v_cndmask_b32_e32 v1, v2, v1, vcc
; %bb.4509:                             ;   in Loop: Header=BB4_3167 Depth=4
	s_or_b64 exec, exec, s[36:37]
.LBB4_4510:                             ;   in Loop: Header=BB4_3167 Depth=4
	s_or_b64 exec, exec, s[34:35]
.LBB4_4511:                             ;   in Loop: Header=BB4_3167 Depth=4
	s_or_b64 exec, exec, s[30:31]
	v_cmp_ne_u16_sdwa vcc, v15, v17 src0_sel:BYTE_0 src1_sel:DWORD
	s_and_saveexec_b64 s[28:29], vcc
	s_cbranch_execz .LBB4_4519
; %bb.4512:                             ;   in Loop: Header=BB4_3167 Depth=4
	v_cmp_ne_u16_sdwa vcc, v15, s96 src0_sel:BYTE_0 src1_sel:DWORD
	v_bfrev_b32_e32 v0, 1
	s_and_saveexec_b64 s[30:31], vcc
	s_cbranch_execz .LBB4_4518
; %bb.4513:                             ;   in Loop: Header=BB4_3167 Depth=4
	v_and_b32_e32 v0, 0x7c, v15
	v_and_b32_e32 v2, 3, v15
	v_cmp_ne_u32_e32 vcc, s85, v0
                                        ; implicit-def: $vgpr0
	s_and_saveexec_b64 s[34:35], vcc
	s_xor_b64 s[34:35], exec, s[34:35]
	s_cbranch_execz .LBB4_4515
; %bb.4514:                             ;   in Loop: Header=BB4_3167 Depth=4
	v_ffbh_u32_e32 v4, v2
	v_min_u32_e32 v4, 32, v4
	v_mov_b32_e32 v28, v15
	v_mov_b32_e32 v29, v17
	v_bfe_u32 v0, v15, 2, 5
	v_subrev_u32_e32 v33, 29, v4
	v_lshlrev_b64 v[28:29], v33, v[28:29]
	v_sub_u32_e32 v4, 30, v4
	v_cmp_eq_u32_e32 vcc, 0, v0
	v_cndmask_b32_e32 v0, v0, v4, vcc
	v_lshlrev_b32_e32 v4, 24, v15
	v_and_b32_e32 v28, 3, v28
	v_and_b32_e32 v4, 0x80000000, v4
	v_cndmask_b32_e32 v2, v2, v28, vcc
	v_lshl_add_u32 v0, v0, 23, v4
	v_lshl_or_b32 v0, v2, 21, v0
	v_add_u32_e32 v0, 0x38000000, v0
                                        ; implicit-def: $vgpr2
.LBB4_4515:                             ;   in Loop: Header=BB4_3167 Depth=4
	s_andn2_saveexec_b64 s[34:35], s[34:35]
; %bb.4516:                             ;   in Loop: Header=BB4_3167 Depth=4
	v_mov_b32_e32 v0, -1
	v_cmp_gt_i16_sdwa vcc, sext(v15), v0 src0_sel:BYTE_0 src1_sel:DWORD
	v_mov_b32_e32 v0, 0xff800000
	v_mov_b32_e32 v4, 0x7f800000
	v_cndmask_b32_e32 v0, v0, v4, vcc
	v_cmp_eq_u32_e32 vcc, 0, v2
	v_mov_b32_e32 v2, 0x7f800001
	v_cndmask_b32_e32 v0, v2, v0, vcc
; %bb.4517:                             ;   in Loop: Header=BB4_3167 Depth=4
	s_or_b64 exec, exec, s[34:35]
.LBB4_4518:                             ;   in Loop: Header=BB4_3167 Depth=4
	s_or_b64 exec, exec, s[30:31]
.LBB4_4519:                             ;   in Loop: Header=BB4_3167 Depth=4
	s_or_b64 exec, exec, s[28:29]
	v_add_f32_e32 v2, v1, v0
	v_and_b32_e32 v28, 0x7f800000, v2
	v_mov_b32_e32 v29, v17
	v_cmp_ne_u64_e32 vcc, s[76:77], v[28:29]
	v_and_b32_e32 v0, 0x7fffff, v2
	v_mov_b32_e32 v1, v17
                                        ; implicit-def: $vgpr33
	s_and_saveexec_b64 s[28:29], vcc
	s_xor_b64 s[30:31], exec, s[28:29]
	s_cbranch_execz .LBB4_4533
; %bb.4520:                             ;   in Loop: Header=BB4_3167 Depth=4
	v_and_b32_e32 v28, 0x7fffffff, v2
	v_mov_b32_e32 v29, v17
	v_cmp_gt_u64_e32 vcc, s[78:79], v[28:29]
	v_and_b32_sdwa v4, v2, s96 dst_sel:DWORD dst_unused:UNUSED_PAD src0_sel:BYTE_3 src1_sel:DWORD
                                        ; implicit-def: $vgpr33
	s_and_saveexec_b64 s[28:29], vcc
	s_xor_b64 s[34:35], exec, s[28:29]
	s_cbranch_execz .LBB4_4530
; %bb.4521:                             ;   in Loop: Header=BB4_3167 Depth=4
	v_mov_b32_e32 v33, 0
	v_cmp_ne_u32_e32 vcc, 0, v2
	s_and_saveexec_b64 s[36:37], vcc
	s_cbranch_execz .LBB4_4529
; %bb.4522:                             ;   in Loop: Header=BB4_3167 Depth=4
	v_bfe_u32 v33, v2, 23, 8
	v_cmp_gt_u32_e64 s[28:29], s46, v33
	v_sub_u32_e32 v2, 0x71, v33
	v_cmp_eq_u32_e32 vcc, 0, v33
	v_cndmask_b32_e64 v2, 0, v2, s[28:29]
	v_mov_b32_e32 v29, 0x70
	v_cndmask_b32_e32 v53, v2, v29, vcc
	v_or_b32_e32 v28, 0x800000, v0
	v_add_u32_e32 v2, 21, v53
	v_cndmask_b32_e32 v0, v28, v0, vcc
	v_lshlrev_b64 v[28:29], v2, -1
	v_add_u32_e32 v2, 20, v53
	v_bfi_b32 v28, v28, 0, v0
	v_lshlrev_b64 v[40:41], v2, 1
	v_lshrrev_b64 v[0:1], v53, v[0:1]
	v_bfi_b32 v29, v29, 0, 0
	v_cmp_eq_u64_e64 s[28:29], v[28:29], v[40:41]
	v_mov_b32_e32 v2, v1
	v_mov_b32_e32 v1, v0
	s_and_saveexec_b64 s[38:39], s[28:29]
; %bb.4523:                             ;   in Loop: Header=BB4_3167 Depth=4
	v_bfe_u32 v1, v0, 21, 1
	v_add_co_u32_e64 v1, s[28:29], v0, v1
	v_add_co_u32_e64 v1, s[28:29], -1, v1
; %bb.4524:                             ;   in Loop: Header=BB4_3167 Depth=4
	s_or_b64 exec, exec, s[38:39]
	v_add_u32_e32 v2, 0xffffff81, v33
	v_mov_b32_e32 v28, 0xffffff82
	v_cndmask_b32_e32 v2, v2, v28, vcc
	v_lshrrev_b32_e32 v28, 23, v0
	v_add3_u32 v53, v53, v2, v28
	v_add_u32_e32 v33, 14, v53
	v_and_b32_e32 v1, 0x1fffff, v1
	v_add_u32_e32 v0, v1, v0
	v_mov_b32_e32 v1, v17
	v_cmp_ne_u32_e32 vcc, 0, v33
                                        ; implicit-def: $vgpr2
	s_and_saveexec_b64 s[28:29], vcc
	s_xor_b64 s[28:29], exec, s[28:29]
; %bb.4525:                             ;   in Loop: Header=BB4_3167 Depth=4
	v_cmp_lt_u64_e32 vcc, s[88:89], v[0:1]
	v_add_u32_e32 v2, 15, v53
	v_cndmask_b32_e64 v28, 0, 1, vcc
	v_cndmask_b32_e32 v2, v33, v2, vcc
	v_lshrrev_b64 v[0:1], v28, v[0:1]
; %bb.4526:                             ;   in Loop: Header=BB4_3167 Depth=4
	s_andn2_saveexec_b64 s[28:29], s[28:29]
; %bb.4527:                             ;   in Loop: Header=BB4_3167 Depth=4
	v_bfe_u32 v2, v0, 23, 1
; %bb.4528:                             ;   in Loop: Header=BB4_3167 Depth=4
	s_or_b64 exec, exec, s[28:29]
	v_lshrrev_b64 v[0:1], 21, v[0:1]
	v_cmp_gt_i32_e32 vcc, 32, v2
	v_cndmask_b32_e32 v1, 0, v1, vcc
	v_cndmask_b32_e32 v0, 3, v0, vcc
	v_cmp_eq_u64_e64 s[28:29], 0, v[0:1]
	v_min_i32_e32 v1, 31, v2
	v_lshlrev_b32_e32 v1, 2, v1
	v_cmp_eq_u32_e32 vcc, 0, v2
	v_and_b32_e32 v1, 0xfc, v1
	v_and_or_b32 v0, v0, 3, v1
	s_and_b64 s[28:29], vcc, s[28:29]
	v_cndmask_b32_e64 v0, v0, 0, s[28:29]
	v_or_b32_e32 v33, v0, v4
.LBB4_4529:                             ;   in Loop: Header=BB4_3167 Depth=4
	s_or_b64 exec, exec, s[36:37]
                                        ; implicit-def: $vgpr4
.LBB4_4530:                             ;   in Loop: Header=BB4_3167 Depth=4
	s_andn2_saveexec_b64 s[28:29], s[34:35]
; %bb.4531:                             ;   in Loop: Header=BB4_3167 Depth=4
	v_or_b32_e32 v33, 0x7b, v4
; %bb.4532:                             ;   in Loop: Header=BB4_3167 Depth=4
	s_or_b64 exec, exec, s[28:29]
                                        ; implicit-def: $vgpr2
                                        ; implicit-def: $vgpr0_vgpr1
.LBB4_4533:                             ;   in Loop: Header=BB4_3167 Depth=4
	s_andn2_saveexec_b64 s[28:29], s[30:31]
	s_cbranch_execz .LBB4_4539
; %bb.4534:                             ;   in Loop: Header=BB4_3167 Depth=4
	v_cmp_ne_u64_e32 vcc, 0, v[0:1]
                                        ; implicit-def: $vgpr33
	s_and_saveexec_b64 s[30:31], vcc
	s_xor_b64 vcc, exec, s[30:31]
; %bb.4535:                             ;   in Loop: Header=BB4_3167 Depth=4
	v_or_b32_sdwa v33, v2, s47 dst_sel:DWORD dst_unused:UNUSED_PAD src0_sel:BYTE_3 src1_sel:DWORD
                                        ; implicit-def: $vgpr2
; %bb.4536:                             ;   in Loop: Header=BB4_3167 Depth=4
	s_andn2_saveexec_b64 s[30:31], vcc
; %bb.4537:                             ;   in Loop: Header=BB4_3167 Depth=4
	v_cmp_lt_i32_e32 vcc, -1, v2
	v_bfrev_b32_e32 v0, 0.5
	v_cndmask_b32_e32 v33, v0, v52, vcc
; %bb.4538:                             ;   in Loop: Header=BB4_3167 Depth=4
	s_or_b64 exec, exec, s[30:31]
.LBB4_4539:                             ;   in Loop: Header=BB4_3167 Depth=4
	s_or_b64 exec, exec, s[28:29]
	v_lshrrev_b16_e32 v0, 8, v49
	v_cmp_ne_u16_e32 vcc, 0, v0
	v_mov_b32_e32 v2, 0
	v_mov_b32_e32 v4, 0
	s_and_saveexec_b64 s[28:29], vcc
	s_cbranch_execz .LBB4_4547
; %bb.4540:                             ;   in Loop: Header=BB4_3167 Depth=4
	v_cmp_ne_u16_e32 vcc, s96, v0
	v_bfrev_b32_e32 v4, 1
	s_and_saveexec_b64 s[30:31], vcc
	s_cbranch_execz .LBB4_4546
; %bb.4541:                             ;   in Loop: Header=BB4_3167 Depth=4
	v_and_b32_e32 v1, 0x7c, v0
	v_and_b32_e32 v53, 3, v0
	v_cmp_ne_u32_e32 vcc, s85, v1
                                        ; implicit-def: $vgpr4
	s_and_saveexec_b64 s[34:35], vcc
	s_xor_b64 s[34:35], exec, s[34:35]
	s_cbranch_execz .LBB4_4543
; %bb.4542:                             ;   in Loop: Header=BB4_3167 Depth=4
	v_ffbh_u32_e32 v28, v53
	v_min_u32_e32 v28, 32, v28
	v_mov_b32_e32 v1, v17
	v_subrev_u32_e32 v29, 29, v28
	v_bfe_u32 v4, v0, 2, 5
	v_lshlrev_b64 v[0:1], v29, v[0:1]
	v_sub_u32_e32 v1, 30, v28
	v_cmp_eq_u32_e32 vcc, 0, v4
	v_cndmask_b32_e32 v1, v4, v1, vcc
	v_lshlrev_b32_e32 v4, 16, v49
	v_and_b32_e32 v0, 3, v0
	v_and_b32_e32 v4, 0x80000000, v4
	v_cndmask_b32_e32 v0, v53, v0, vcc
	v_lshl_add_u32 v1, v1, 23, v4
	v_lshl_or_b32 v0, v0, 21, v1
	v_add_u32_e32 v4, 0x38000000, v0
                                        ; implicit-def: $vgpr53
                                        ; implicit-def: $vgpr49
.LBB4_4543:                             ;   in Loop: Header=BB4_3167 Depth=4
	s_andn2_saveexec_b64 s[34:35], s[34:35]
; %bb.4544:                             ;   in Loop: Header=BB4_3167 Depth=4
	v_cmp_lt_i16_e32 vcc, -1, v49
	v_mov_b32_e32 v0, 0xff800000
	v_mov_b32_e32 v1, 0x7f800000
	v_cndmask_b32_e32 v0, v0, v1, vcc
	v_cmp_eq_u32_e32 vcc, 0, v53
	v_mov_b32_e32 v1, 0x7f800001
	v_cndmask_b32_e32 v4, v1, v0, vcc
; %bb.4545:                             ;   in Loop: Header=BB4_3167 Depth=4
	s_or_b64 exec, exec, s[34:35]
.LBB4_4546:                             ;   in Loop: Header=BB4_3167 Depth=4
	s_or_b64 exec, exec, s[30:31]
.LBB4_4547:                             ;   in Loop: Header=BB4_3167 Depth=4
	s_or_b64 exec, exec, s[28:29]
	v_lshrrev_b16_e32 v0, 8, v15
	v_cmp_ne_u16_e32 vcc, 0, v0
	s_and_saveexec_b64 s[28:29], vcc
	s_cbranch_execz .LBB4_4555
; %bb.4548:                             ;   in Loop: Header=BB4_3167 Depth=4
	v_cmp_ne_u16_e32 vcc, s96, v0
	v_bfrev_b32_e32 v2, 1
	s_and_saveexec_b64 s[30:31], vcc
	s_cbranch_execz .LBB4_4554
; %bb.4549:                             ;   in Loop: Header=BB4_3167 Depth=4
	v_and_b32_e32 v1, 0x7c, v0
	v_and_b32_e32 v49, 3, v0
	v_cmp_ne_u32_e32 vcc, s85, v1
                                        ; implicit-def: $vgpr2
	s_and_saveexec_b64 s[34:35], vcc
	s_xor_b64 s[34:35], exec, s[34:35]
	s_cbranch_execz .LBB4_4551
; %bb.4550:                             ;   in Loop: Header=BB4_3167 Depth=4
	v_ffbh_u32_e32 v28, v49
	v_min_u32_e32 v28, 32, v28
	v_mov_b32_e32 v1, v17
	v_subrev_u32_e32 v29, 29, v28
	v_bfe_u32 v2, v0, 2, 5
	v_lshlrev_b64 v[0:1], v29, v[0:1]
	v_sub_u32_e32 v1, 30, v28
	v_cmp_eq_u32_e32 vcc, 0, v2
	v_cndmask_b32_e32 v1, v2, v1, vcc
	v_lshlrev_b32_e32 v2, 16, v15
	v_and_b32_e32 v0, 3, v0
	v_and_b32_e32 v2, 0x80000000, v2
	v_cndmask_b32_e32 v0, v49, v0, vcc
	v_lshl_add_u32 v1, v1, 23, v2
	v_lshl_or_b32 v0, v0, 21, v1
	v_add_u32_e32 v2, 0x38000000, v0
                                        ; implicit-def: $vgpr49
.LBB4_4551:                             ;   in Loop: Header=BB4_3167 Depth=4
	s_andn2_saveexec_b64 s[34:35], s[34:35]
; %bb.4552:                             ;   in Loop: Header=BB4_3167 Depth=4
	v_cmp_lt_i16_e32 vcc, -1, v15
	v_mov_b32_e32 v0, 0xff800000
	v_mov_b32_e32 v1, 0x7f800000
	v_cndmask_b32_e32 v0, v0, v1, vcc
	v_cmp_eq_u32_e32 vcc, 0, v49
	v_mov_b32_e32 v1, 0x7f800001
	v_cndmask_b32_e32 v2, v1, v0, vcc
; %bb.4553:                             ;   in Loop: Header=BB4_3167 Depth=4
	s_or_b64 exec, exec, s[34:35]
.LBB4_4554:                             ;   in Loop: Header=BB4_3167 Depth=4
	s_or_b64 exec, exec, s[30:31]
.LBB4_4555:                             ;   in Loop: Header=BB4_3167 Depth=4
	s_or_b64 exec, exec, s[28:29]
	v_add_f32_e32 v2, v4, v2
	v_and_b32_e32 v28, 0x7f800000, v2
	v_mov_b32_e32 v29, v17
	v_cmp_ne_u64_e32 vcc, s[76:77], v[28:29]
	v_and_b32_e32 v0, 0x7fffff, v2
	v_mov_b32_e32 v1, v17
                                        ; implicit-def: $vgpr49
	s_and_saveexec_b64 s[28:29], vcc
	s_xor_b64 s[30:31], exec, s[28:29]
	s_cbranch_execz .LBB4_4569
; %bb.4556:                             ;   in Loop: Header=BB4_3167 Depth=4
	v_and_b32_e32 v28, 0x7fffffff, v2
	v_mov_b32_e32 v29, v17
	v_cmp_gt_u64_e32 vcc, s[78:79], v[28:29]
	v_and_b32_sdwa v4, v2, s96 dst_sel:DWORD dst_unused:UNUSED_PAD src0_sel:BYTE_3 src1_sel:DWORD
                                        ; implicit-def: $vgpr49
	s_and_saveexec_b64 s[28:29], vcc
	s_xor_b64 s[34:35], exec, s[28:29]
	s_cbranch_execz .LBB4_4566
; %bb.4557:                             ;   in Loop: Header=BB4_3167 Depth=4
	v_mov_b32_e32 v49, 0
	v_cmp_ne_u32_e32 vcc, 0, v2
	s_and_saveexec_b64 s[36:37], vcc
	s_cbranch_execz .LBB4_4565
; %bb.4558:                             ;   in Loop: Header=BB4_3167 Depth=4
	v_bfe_u32 v49, v2, 23, 8
	v_cmp_gt_u32_e64 s[28:29], s46, v49
	v_sub_u32_e32 v2, 0x71, v49
	v_cmp_eq_u32_e32 vcc, 0, v49
	v_cndmask_b32_e64 v2, 0, v2, s[28:29]
	v_mov_b32_e32 v29, 0x70
	v_cndmask_b32_e32 v53, v2, v29, vcc
	v_or_b32_e32 v28, 0x800000, v0
	v_add_u32_e32 v2, 21, v53
	v_cndmask_b32_e32 v0, v28, v0, vcc
	v_lshlrev_b64 v[28:29], v2, -1
	v_add_u32_e32 v2, 20, v53
	v_bfi_b32 v28, v28, 0, v0
	v_lshlrev_b64 v[40:41], v2, 1
	v_lshrrev_b64 v[0:1], v53, v[0:1]
	v_bfi_b32 v29, v29, 0, 0
	v_cmp_eq_u64_e64 s[28:29], v[28:29], v[40:41]
	v_mov_b32_e32 v2, v1
	v_mov_b32_e32 v1, v0
	s_and_saveexec_b64 s[38:39], s[28:29]
; %bb.4559:                             ;   in Loop: Header=BB4_3167 Depth=4
	v_bfe_u32 v1, v0, 21, 1
	v_add_co_u32_e64 v1, s[28:29], v0, v1
	v_add_co_u32_e64 v1, s[28:29], -1, v1
; %bb.4560:                             ;   in Loop: Header=BB4_3167 Depth=4
	s_or_b64 exec, exec, s[38:39]
	v_add_u32_e32 v2, 0xffffff81, v49
	v_mov_b32_e32 v28, 0xffffff82
	v_cndmask_b32_e32 v2, v2, v28, vcc
	v_lshrrev_b32_e32 v28, 23, v0
	v_add3_u32 v53, v53, v2, v28
	v_add_u32_e32 v49, 14, v53
	v_and_b32_e32 v1, 0x1fffff, v1
	v_add_u32_e32 v0, v1, v0
	v_mov_b32_e32 v1, v17
	v_cmp_ne_u32_e32 vcc, 0, v49
                                        ; implicit-def: $vgpr2
	s_and_saveexec_b64 s[28:29], vcc
	s_xor_b64 s[28:29], exec, s[28:29]
; %bb.4561:                             ;   in Loop: Header=BB4_3167 Depth=4
	v_cmp_lt_u64_e32 vcc, s[88:89], v[0:1]
	v_add_u32_e32 v2, 15, v53
	v_cndmask_b32_e64 v28, 0, 1, vcc
	v_cndmask_b32_e32 v2, v49, v2, vcc
	v_lshrrev_b64 v[0:1], v28, v[0:1]
; %bb.4562:                             ;   in Loop: Header=BB4_3167 Depth=4
	s_andn2_saveexec_b64 s[28:29], s[28:29]
; %bb.4563:                             ;   in Loop: Header=BB4_3167 Depth=4
	v_bfe_u32 v2, v0, 23, 1
; %bb.4564:                             ;   in Loop: Header=BB4_3167 Depth=4
	s_or_b64 exec, exec, s[28:29]
	v_lshrrev_b64 v[0:1], 21, v[0:1]
	v_cmp_gt_i32_e32 vcc, 32, v2
	v_cndmask_b32_e32 v1, 0, v1, vcc
	v_cndmask_b32_e32 v0, 3, v0, vcc
	v_cmp_eq_u64_e64 s[28:29], 0, v[0:1]
	v_min_i32_e32 v1, 31, v2
	v_lshlrev_b32_e32 v1, 2, v1
	v_cmp_eq_u32_e32 vcc, 0, v2
	v_and_b32_e32 v1, 0xfc, v1
	v_and_or_b32 v0, v0, 3, v1
	s_and_b64 s[28:29], vcc, s[28:29]
	v_cndmask_b32_e64 v0, v0, 0, s[28:29]
	v_or_b32_e32 v49, v0, v4
.LBB4_4565:                             ;   in Loop: Header=BB4_3167 Depth=4
	s_or_b64 exec, exec, s[36:37]
                                        ; implicit-def: $vgpr4
.LBB4_4566:                             ;   in Loop: Header=BB4_3167 Depth=4
	s_andn2_saveexec_b64 s[28:29], s[34:35]
; %bb.4567:                             ;   in Loop: Header=BB4_3167 Depth=4
	v_or_b32_e32 v49, 0x7b, v4
; %bb.4568:                             ;   in Loop: Header=BB4_3167 Depth=4
	s_or_b64 exec, exec, s[28:29]
                                        ; implicit-def: $vgpr2
                                        ; implicit-def: $vgpr0_vgpr1
.LBB4_4569:                             ;   in Loop: Header=BB4_3167 Depth=4
	s_andn2_saveexec_b64 s[28:29], s[30:31]
	s_cbranch_execz .LBB4_4575
; %bb.4570:                             ;   in Loop: Header=BB4_3167 Depth=4
	v_cmp_ne_u64_e32 vcc, 0, v[0:1]
                                        ; implicit-def: $vgpr49
	s_and_saveexec_b64 s[30:31], vcc
	s_xor_b64 vcc, exec, s[30:31]
; %bb.4571:                             ;   in Loop: Header=BB4_3167 Depth=4
	v_or_b32_sdwa v49, v2, s47 dst_sel:DWORD dst_unused:UNUSED_PAD src0_sel:BYTE_3 src1_sel:DWORD
                                        ; implicit-def: $vgpr2
; %bb.4572:                             ;   in Loop: Header=BB4_3167 Depth=4
	s_andn2_saveexec_b64 s[30:31], vcc
; %bb.4573:                             ;   in Loop: Header=BB4_3167 Depth=4
	v_cmp_lt_i32_e32 vcc, -1, v2
	v_bfrev_b32_e32 v0, 0.5
	v_cndmask_b32_e32 v49, v0, v52, vcc
; %bb.4574:                             ;   in Loop: Header=BB4_3167 Depth=4
	s_or_b64 exec, exec, s[30:31]
.LBB4_4575:                             ;   in Loop: Header=BB4_3167 Depth=4
	s_or_b64 exec, exec, s[28:29]
	v_and_b32_sdwa v4, v16, s87 dst_sel:DWORD dst_unused:UNUSED_PAD src0_sel:WORD_1 src1_sel:DWORD
	v_lshrrev_b32_e32 v0, 16, v16
	v_cmp_ne_u16_e32 vcc, 0, v4
	v_mov_b32_e32 v1, 0
	v_mov_b32_e32 v2, 0
	s_and_saveexec_b64 s[28:29], vcc
	s_cbranch_execz .LBB4_4583
; %bb.4576:                             ;   in Loop: Header=BB4_3167 Depth=4
	v_cmp_ne_u16_e32 vcc, s96, v4
	v_bfrev_b32_e32 v2, 1
	s_and_saveexec_b64 s[30:31], vcc
	s_cbranch_execz .LBB4_4582
; %bb.4577:                             ;   in Loop: Header=BB4_3167 Depth=4
	v_and_b32_e32 v2, 0x7c0000, v16
	v_bfe_u32 v4, v16, 16, 2
	v_cmp_ne_u32_e32 vcc, s44, v2
                                        ; implicit-def: $vgpr2
	s_and_saveexec_b64 s[34:35], vcc
	s_xor_b64 s[34:35], exec, s[34:35]
	s_cbranch_execz .LBB4_4579
; %bb.4578:                             ;   in Loop: Header=BB4_3167 Depth=4
	v_ffbh_u32_e32 v28, v4
	v_min_u32_e32 v53, 32, v28
	v_subrev_u32_e32 v28, 29, v53
	v_lshlrev_b64 v[28:29], v28, v[0:1]
	v_bfe_u32 v2, v16, 18, 5
	v_sub_u32_e32 v0, 30, v53
	v_and_b32_e32 v28, 3, v28
	v_cmp_eq_u32_e32 vcc, 0, v2
	v_cndmask_b32_e32 v0, v2, v0, vcc
	v_cndmask_b32_e32 v2, v4, v28, vcc
	v_lshlrev_b32_e32 v4, 8, v16
	v_and_b32_e32 v4, 0x80000000, v4
	v_lshl_add_u32 v0, v0, 23, v4
	v_lshl_or_b32 v0, v2, 21, v0
	v_add_u32_e32 v2, 0x38000000, v0
                                        ; implicit-def: $vgpr4
                                        ; implicit-def: $vgpr0
.LBB4_4579:                             ;   in Loop: Header=BB4_3167 Depth=4
	s_andn2_saveexec_b64 s[34:35], s[34:35]
; %bb.4580:                             ;   in Loop: Header=BB4_3167 Depth=4
	v_mov_b32_e32 v2, -1
	v_cmp_gt_i16_sdwa vcc, sext(v0), v2 src0_sel:BYTE_0 src1_sel:DWORD
	v_mov_b32_e32 v0, 0xff800000
	v_mov_b32_e32 v2, 0x7f800000
	v_cndmask_b32_e32 v0, v0, v2, vcc
	v_cmp_eq_u32_e32 vcc, 0, v4
	v_mov_b32_e32 v2, 0x7f800001
	v_cndmask_b32_e32 v2, v2, v0, vcc
; %bb.4581:                             ;   in Loop: Header=BB4_3167 Depth=4
	s_or_b64 exec, exec, s[34:35]
.LBB4_4582:                             ;   in Loop: Header=BB4_3167 Depth=4
	s_or_b64 exec, exec, s[30:31]
.LBB4_4583:                             ;   in Loop: Header=BB4_3167 Depth=4
	s_or_b64 exec, exec, s[28:29]
	v_lshrrev_b32_e32 v0, 16, v15
	v_cmp_ne_u16_sdwa vcc, v0, v17 src0_sel:BYTE_0 src1_sel:DWORD
	s_and_saveexec_b64 s[28:29], vcc
	s_cbranch_execz .LBB4_4591
; %bb.4584:                             ;   in Loop: Header=BB4_3167 Depth=4
	v_cmp_ne_u16_sdwa vcc, v0, s96 src0_sel:BYTE_0 src1_sel:DWORD
	v_bfrev_b32_e32 v1, 1
	s_and_saveexec_b64 s[30:31], vcc
	s_cbranch_execz .LBB4_4590
; %bb.4585:                             ;   in Loop: Header=BB4_3167 Depth=4
	v_and_b32_e32 v1, 0x7c0000, v15
	v_bfe_u32 v4, v15, 16, 2
	v_cmp_ne_u32_e32 vcc, s44, v1
                                        ; implicit-def: $vgpr1
	s_and_saveexec_b64 s[34:35], vcc
	s_xor_b64 s[34:35], exec, s[34:35]
	s_cbranch_execz .LBB4_4587
; %bb.4586:                             ;   in Loop: Header=BB4_3167 Depth=4
	v_ffbh_u32_e32 v1, v4
	v_min_u32_e32 v29, 32, v1
	v_subrev_u32_e32 v1, 29, v29
	v_lshlrev_b64 v[0:1], v1, v[0:1]
	v_bfe_u32 v28, v15, 18, 5
	v_and_b32_e32 v0, 3, v0
	v_cmp_eq_u32_e32 vcc, 0, v28
	v_sub_u32_e32 v1, 30, v29
	v_cndmask_b32_e32 v0, v4, v0, vcc
	v_lshlrev_b32_e32 v4, 8, v15
	v_cndmask_b32_e32 v1, v28, v1, vcc
	v_and_b32_e32 v4, 0x80000000, v4
	v_lshl_add_u32 v1, v1, 23, v4
	v_lshl_or_b32 v0, v0, 21, v1
	v_add_u32_e32 v1, 0x38000000, v0
                                        ; implicit-def: $vgpr4
                                        ; implicit-def: $vgpr0
.LBB4_4587:                             ;   in Loop: Header=BB4_3167 Depth=4
	s_andn2_saveexec_b64 s[34:35], s[34:35]
; %bb.4588:                             ;   in Loop: Header=BB4_3167 Depth=4
	v_mov_b32_e32 v1, -1
	v_cmp_gt_i16_sdwa vcc, sext(v0), v1 src0_sel:BYTE_0 src1_sel:DWORD
	v_mov_b32_e32 v0, 0xff800000
	v_mov_b32_e32 v1, 0x7f800000
	v_cndmask_b32_e32 v0, v0, v1, vcc
	v_cmp_eq_u32_e32 vcc, 0, v4
	v_mov_b32_e32 v1, 0x7f800001
	v_cndmask_b32_e32 v1, v1, v0, vcc
; %bb.4589:                             ;   in Loop: Header=BB4_3167 Depth=4
	s_or_b64 exec, exec, s[34:35]
.LBB4_4590:                             ;   in Loop: Header=BB4_3167 Depth=4
	s_or_b64 exec, exec, s[30:31]
.LBB4_4591:                             ;   in Loop: Header=BB4_3167 Depth=4
	s_or_b64 exec, exec, s[28:29]
	v_add_f32_e32 v2, v2, v1
	v_and_b32_e32 v28, 0x7f800000, v2
	v_mov_b32_e32 v29, v17
	v_cmp_ne_u64_e32 vcc, s[76:77], v[28:29]
	v_and_b32_e32 v0, 0x7fffff, v2
	v_mov_b32_e32 v1, v17
                                        ; implicit-def: $vgpr53
	s_and_saveexec_b64 s[28:29], vcc
	s_xor_b64 s[30:31], exec, s[28:29]
	s_cbranch_execz .LBB4_4605
; %bb.4592:                             ;   in Loop: Header=BB4_3167 Depth=4
	v_and_b32_e32 v28, 0x7fffffff, v2
	v_mov_b32_e32 v29, v17
	v_cmp_gt_u64_e32 vcc, s[78:79], v[28:29]
	v_and_b32_sdwa v4, v2, s96 dst_sel:DWORD dst_unused:UNUSED_PAD src0_sel:BYTE_3 src1_sel:DWORD
                                        ; implicit-def: $vgpr53
	s_and_saveexec_b64 s[28:29], vcc
	s_xor_b64 s[34:35], exec, s[28:29]
	s_cbranch_execz .LBB4_4602
; %bb.4593:                             ;   in Loop: Header=BB4_3167 Depth=4
	v_mov_b32_e32 v53, 0
	v_cmp_ne_u32_e32 vcc, 0, v2
	s_and_saveexec_b64 s[36:37], vcc
	s_cbranch_execz .LBB4_4601
; %bb.4594:                             ;   in Loop: Header=BB4_3167 Depth=4
	v_bfe_u32 v53, v2, 23, 8
	v_cmp_gt_u32_e64 s[28:29], s46, v53
	v_sub_u32_e32 v2, 0x71, v53
	v_cmp_eq_u32_e32 vcc, 0, v53
	v_cndmask_b32_e64 v2, 0, v2, s[28:29]
	v_mov_b32_e32 v29, 0x70
	v_cndmask_b32_e32 v40, v2, v29, vcc
	v_or_b32_e32 v28, 0x800000, v0
	v_add_u32_e32 v2, 21, v40
	v_cndmask_b32_e32 v0, v28, v0, vcc
	v_lshlrev_b64 v[28:29], v2, -1
	v_add_u32_e32 v2, 20, v40
	v_bfi_b32 v28, v28, 0, v0
	v_lshlrev_b64 v[41:42], v2, 1
	v_lshrrev_b64 v[0:1], v40, v[0:1]
	v_bfi_b32 v29, v29, 0, 0
	v_cmp_eq_u64_e64 s[28:29], v[28:29], v[41:42]
	v_mov_b32_e32 v2, v1
	v_mov_b32_e32 v1, v0
	s_and_saveexec_b64 s[38:39], s[28:29]
; %bb.4595:                             ;   in Loop: Header=BB4_3167 Depth=4
	v_bfe_u32 v1, v0, 21, 1
	v_add_co_u32_e64 v1, s[28:29], v0, v1
	v_add_co_u32_e64 v1, s[28:29], -1, v1
; %bb.4596:                             ;   in Loop: Header=BB4_3167 Depth=4
	s_or_b64 exec, exec, s[38:39]
	v_add_u32_e32 v2, 0xffffff81, v53
	v_mov_b32_e32 v28, 0xffffff82
	v_cndmask_b32_e32 v2, v2, v28, vcc
	v_lshrrev_b32_e32 v28, 23, v0
	v_add3_u32 v40, v40, v2, v28
	v_add_u32_e32 v53, 14, v40
	v_and_b32_e32 v1, 0x1fffff, v1
	v_add_u32_e32 v0, v1, v0
	v_mov_b32_e32 v1, v17
	v_cmp_ne_u32_e32 vcc, 0, v53
                                        ; implicit-def: $vgpr2
	s_and_saveexec_b64 s[28:29], vcc
	s_xor_b64 s[28:29], exec, s[28:29]
; %bb.4597:                             ;   in Loop: Header=BB4_3167 Depth=4
	v_cmp_lt_u64_e32 vcc, s[88:89], v[0:1]
	v_add_u32_e32 v2, 15, v40
	v_cndmask_b32_e64 v28, 0, 1, vcc
	v_cndmask_b32_e32 v2, v53, v2, vcc
	v_lshrrev_b64 v[0:1], v28, v[0:1]
; %bb.4598:                             ;   in Loop: Header=BB4_3167 Depth=4
	s_andn2_saveexec_b64 s[28:29], s[28:29]
; %bb.4599:                             ;   in Loop: Header=BB4_3167 Depth=4
	v_bfe_u32 v2, v0, 23, 1
; %bb.4600:                             ;   in Loop: Header=BB4_3167 Depth=4
	s_or_b64 exec, exec, s[28:29]
	v_lshrrev_b64 v[0:1], 21, v[0:1]
	v_cmp_gt_i32_e32 vcc, 32, v2
	v_cndmask_b32_e32 v1, 0, v1, vcc
	v_cndmask_b32_e32 v0, 3, v0, vcc
	v_cmp_eq_u64_e64 s[28:29], 0, v[0:1]
	v_min_i32_e32 v1, 31, v2
	v_lshlrev_b32_e32 v1, 2, v1
	v_cmp_eq_u32_e32 vcc, 0, v2
	v_and_b32_e32 v1, 0xfc, v1
	v_and_or_b32 v0, v0, 3, v1
	s_and_b64 s[28:29], vcc, s[28:29]
	v_cndmask_b32_e64 v0, v0, 0, s[28:29]
	v_or_b32_e32 v53, v0, v4
.LBB4_4601:                             ;   in Loop: Header=BB4_3167 Depth=4
	s_or_b64 exec, exec, s[36:37]
                                        ; implicit-def: $vgpr4
.LBB4_4602:                             ;   in Loop: Header=BB4_3167 Depth=4
	s_andn2_saveexec_b64 s[28:29], s[34:35]
; %bb.4603:                             ;   in Loop: Header=BB4_3167 Depth=4
	v_or_b32_e32 v53, 0x7b, v4
; %bb.4604:                             ;   in Loop: Header=BB4_3167 Depth=4
	s_or_b64 exec, exec, s[28:29]
                                        ; implicit-def: $vgpr2
                                        ; implicit-def: $vgpr0_vgpr1
.LBB4_4605:                             ;   in Loop: Header=BB4_3167 Depth=4
	s_andn2_saveexec_b64 s[28:29], s[30:31]
	s_cbranch_execz .LBB4_4611
; %bb.4606:                             ;   in Loop: Header=BB4_3167 Depth=4
	v_cmp_ne_u64_e32 vcc, 0, v[0:1]
                                        ; implicit-def: $vgpr53
	s_and_saveexec_b64 s[30:31], vcc
	s_xor_b64 vcc, exec, s[30:31]
; %bb.4607:                             ;   in Loop: Header=BB4_3167 Depth=4
	v_or_b32_sdwa v53, v2, s47 dst_sel:DWORD dst_unused:UNUSED_PAD src0_sel:BYTE_3 src1_sel:DWORD
                                        ; implicit-def: $vgpr2
; %bb.4608:                             ;   in Loop: Header=BB4_3167 Depth=4
	s_andn2_saveexec_b64 s[30:31], vcc
; %bb.4609:                             ;   in Loop: Header=BB4_3167 Depth=4
	v_cmp_lt_i32_e32 vcc, -1, v2
	v_bfrev_b32_e32 v0, 0.5
	v_cndmask_b32_e32 v53, v0, v52, vcc
; %bb.4610:                             ;   in Loop: Header=BB4_3167 Depth=4
	s_or_b64 exec, exec, s[30:31]
.LBB4_4611:                             ;   in Loop: Header=BB4_3167 Depth=4
	s_or_b64 exec, exec, s[28:29]
	v_cmp_lt_u32_e32 vcc, s57, v16
	v_mov_b32_e32 v1, 0
	v_mov_b32_e32 v2, 0
	s_and_saveexec_b64 s[28:29], vcc
	s_cbranch_execz .LBB4_4619
; %bb.4612:                             ;   in Loop: Header=BB4_3167 Depth=4
	v_lshrrev_b32_e32 v0, 24, v16
	v_cmp_ne_u32_e32 vcc, s96, v0
	v_bfrev_b32_e32 v2, 1
	s_and_saveexec_b64 s[30:31], vcc
	s_cbranch_execz .LBB4_4618
; %bb.4613:                             ;   in Loop: Header=BB4_3167 Depth=4
	v_and_b32_e32 v2, 0x7c000000, v16
	v_bfe_u32 v4, v16, 24, 2
	v_cmp_ne_u32_e32 vcc, s45, v2
                                        ; implicit-def: $vgpr2
	s_and_saveexec_b64 s[34:35], vcc
	s_xor_b64 s[34:35], exec, s[34:35]
	s_cbranch_execz .LBB4_4615
; %bb.4614:                             ;   in Loop: Header=BB4_3167 Depth=4
	v_ffbh_u32_e32 v28, v4
	v_min_u32_e32 v40, 32, v28
	v_subrev_u32_e32 v28, 29, v40
	v_lshlrev_b64 v[28:29], v28, v[0:1]
	v_bfe_u32 v2, v16, 26, 5
	v_sub_u32_e32 v0, 30, v40
	v_and_b32_e32 v28, 3, v28
	v_cmp_eq_u32_e32 vcc, 0, v2
	v_cndmask_b32_e32 v0, v2, v0, vcc
	v_cndmask_b32_e32 v2, v4, v28, vcc
	v_and_b32_e32 v4, 0x80000000, v16
	v_lshl_add_u32 v0, v0, 23, v4
	v_lshl_or_b32 v0, v2, 21, v0
	v_add_u32_e32 v2, 0x38000000, v0
                                        ; implicit-def: $vgpr4
.LBB4_4615:                             ;   in Loop: Header=BB4_3167 Depth=4
	s_andn2_saveexec_b64 s[34:35], s[34:35]
; %bb.4616:                             ;   in Loop: Header=BB4_3167 Depth=4
	v_cmp_lt_i32_e32 vcc, -1, v16
	v_mov_b32_e32 v0, 0xff800000
	v_mov_b32_e32 v2, 0x7f800000
	v_cndmask_b32_e32 v0, v0, v2, vcc
	v_cmp_eq_u32_e32 vcc, 0, v4
	v_mov_b32_e32 v2, 0x7f800001
	v_cndmask_b32_e32 v2, v2, v0, vcc
; %bb.4617:                             ;   in Loop: Header=BB4_3167 Depth=4
	s_or_b64 exec, exec, s[34:35]
.LBB4_4618:                             ;   in Loop: Header=BB4_3167 Depth=4
	s_or_b64 exec, exec, s[30:31]
.LBB4_4619:                             ;   in Loop: Header=BB4_3167 Depth=4
	s_or_b64 exec, exec, s[28:29]
	v_cmp_lt_u64_e32 vcc, s[56:57], v[14:15]
	s_and_saveexec_b64 s[28:29], vcc
	s_cbranch_execz .LBB4_4627
; %bb.4620:                             ;   in Loop: Header=BB4_3167 Depth=4
	v_lshrrev_b32_e32 v0, 24, v15
	v_cmp_ne_u32_e32 vcc, s96, v0
	v_bfrev_b32_e32 v1, 1
	s_and_saveexec_b64 s[30:31], vcc
	s_cbranch_execz .LBB4_4626
; %bb.4621:                             ;   in Loop: Header=BB4_3167 Depth=4
	v_and_b32_e32 v1, 0x7c000000, v15
	v_bfe_u32 v4, v15, 24, 2
	v_cmp_ne_u32_e32 vcc, s45, v1
                                        ; implicit-def: $vgpr1
	s_and_saveexec_b64 s[34:35], vcc
	s_xor_b64 s[34:35], exec, s[34:35]
	s_cbranch_execz .LBB4_4623
; %bb.4622:                             ;   in Loop: Header=BB4_3167 Depth=4
	v_ffbh_u32_e32 v1, v4
	v_min_u32_e32 v16, 32, v1
	v_subrev_u32_e32 v1, 29, v16
	v_lshlrev_b64 v[0:1], v1, v[0:1]
	v_bfe_u32 v14, v15, 26, 5
	v_sub_u32_e32 v1, 30, v16
	v_and_b32_e32 v0, 3, v0
	v_cmp_eq_u32_e32 vcc, 0, v14
	v_cndmask_b32_e32 v1, v14, v1, vcc
	v_cndmask_b32_e32 v0, v4, v0, vcc
	v_and_b32_e32 v4, 0x80000000, v15
	v_lshl_add_u32 v1, v1, 23, v4
	v_lshl_or_b32 v0, v0, 21, v1
	v_add_u32_e32 v1, 0x38000000, v0
                                        ; implicit-def: $vgpr4
                                        ; implicit-def: $vgpr14_vgpr15
.LBB4_4623:                             ;   in Loop: Header=BB4_3167 Depth=4
	s_andn2_saveexec_b64 s[34:35], s[34:35]
; %bb.4624:                             ;   in Loop: Header=BB4_3167 Depth=4
	v_cmp_lt_i64_e32 vcc, -1, v[14:15]
	v_mov_b32_e32 v0, 0xff800000
	v_mov_b32_e32 v1, 0x7f800000
	v_cndmask_b32_e32 v0, v0, v1, vcc
	v_cmp_eq_u32_e32 vcc, 0, v4
	v_mov_b32_e32 v1, 0x7f800001
	v_cndmask_b32_e32 v1, v1, v0, vcc
; %bb.4625:                             ;   in Loop: Header=BB4_3167 Depth=4
	s_or_b64 exec, exec, s[34:35]
.LBB4_4626:                             ;   in Loop: Header=BB4_3167 Depth=4
	s_or_b64 exec, exec, s[30:31]
.LBB4_4627:                             ;   in Loop: Header=BB4_3167 Depth=4
	s_or_b64 exec, exec, s[28:29]
	v_add_f32_e32 v0, v2, v1
	v_and_b32_e32 v1, 0x7f800000, v0
	v_mov_b32_e32 v2, v17
	v_cmp_ne_u64_e32 vcc, s[76:77], v[1:2]
	v_and_b32_e32 v16, 0x7fffff, v0
                                        ; implicit-def: $vgpr14
	s_and_saveexec_b64 s[28:29], vcc
	s_xor_b64 s[30:31], exec, s[28:29]
	s_cbranch_execz .LBB4_4641
; %bb.4628:                             ;   in Loop: Header=BB4_3167 Depth=4
	v_and_b32_e32 v1, 0x7fffffff, v0
	v_mov_b32_e32 v2, v17
	v_cmp_gt_u64_e32 vcc, s[78:79], v[1:2]
	v_and_b32_sdwa v4, v0, s96 dst_sel:DWORD dst_unused:UNUSED_PAD src0_sel:BYTE_3 src1_sel:DWORD
                                        ; implicit-def: $vgpr14
	s_and_saveexec_b64 s[28:29], vcc
	s_xor_b64 s[34:35], exec, s[28:29]
	s_cbranch_execz .LBB4_4638
; %bb.4629:                             ;   in Loop: Header=BB4_3167 Depth=4
	v_mov_b32_e32 v14, 0
	v_cmp_ne_u32_e32 vcc, 0, v0
	s_and_saveexec_b64 s[36:37], vcc
	s_cbranch_execz .LBB4_4637
; %bb.4630:                             ;   in Loop: Header=BB4_3167 Depth=4
	v_bfe_u32 v14, v0, 23, 8
	v_cmp_gt_u32_e64 s[28:29], s46, v14
	v_sub_u32_e32 v0, 0x71, v14
	v_cmp_eq_u32_e32 vcc, 0, v14
	v_cndmask_b32_e64 v0, 0, v0, s[28:29]
	v_mov_b32_e32 v2, 0x70
	v_cndmask_b32_e32 v15, v0, v2, vcc
	v_add_u32_e32 v2, 21, v15
	v_or_b32_e32 v1, 0x800000, v16
	v_lshlrev_b64 v[28:29], v2, -1
	v_cndmask_b32_e32 v0, v1, v16, vcc
	v_mov_b32_e32 v1, v17
	v_add_u32_e32 v2, 20, v15
	v_bfi_b32 v28, v28, 0, v0
	v_lshlrev_b64 v[40:41], v2, 1
	v_lshrrev_b64 v[0:1], v15, v[0:1]
	v_bfi_b32 v29, v29, 0, 0
	v_cmp_eq_u64_e64 s[28:29], v[28:29], v[40:41]
	v_mov_b32_e32 v2, v1
	v_mov_b32_e32 v1, v0
	s_and_saveexec_b64 s[38:39], s[28:29]
; %bb.4631:                             ;   in Loop: Header=BB4_3167 Depth=4
	v_bfe_u32 v1, v0, 21, 1
	v_add_co_u32_e64 v1, s[28:29], v0, v1
	v_add_co_u32_e64 v1, s[28:29], -1, v1
; %bb.4632:                             ;   in Loop: Header=BB4_3167 Depth=4
	s_or_b64 exec, exec, s[38:39]
	v_add_u32_e32 v2, 0xffffff81, v14
	v_mov_b32_e32 v14, 0xffffff82
	v_cndmask_b32_e32 v2, v2, v14, vcc
	v_lshrrev_b32_e32 v14, 23, v0
	v_add3_u32 v15, v15, v2, v14
	v_add_u32_e32 v14, 14, v15
	v_and_b32_e32 v1, 0x1fffff, v1
	v_add_u32_e32 v16, v1, v0
	v_cmp_ne_u32_e32 vcc, 0, v14
                                        ; implicit-def: $vgpr0_vgpr1
                                        ; implicit-def: $vgpr2
	s_and_saveexec_b64 s[28:29], vcc
	s_xor_b64 s[28:29], exec, s[28:29]
; %bb.4633:                             ;   in Loop: Header=BB4_3167 Depth=4
	v_cmp_lt_u64_e32 vcc, s[88:89], v[16:17]
	v_add_u32_e32 v0, 15, v15
	v_cndmask_b32_e32 v2, v14, v0, vcc
	v_cndmask_b32_e64 v0, 0, 1, vcc
	v_lshrrev_b64 v[0:1], v0, v[16:17]
; %bb.4634:                             ;   in Loop: Header=BB4_3167 Depth=4
	s_andn2_saveexec_b64 s[28:29], s[28:29]
; %bb.4635:                             ;   in Loop: Header=BB4_3167 Depth=4
	v_mov_b32_e32 v0, v16
	v_mov_b32_e32 v1, v17
	v_bfe_u32 v2, v16, 23, 1
; %bb.4636:                             ;   in Loop: Header=BB4_3167 Depth=4
	s_or_b64 exec, exec, s[28:29]
	v_lshrrev_b64 v[0:1], 21, v[0:1]
	v_cmp_gt_i32_e32 vcc, 32, v2
	v_cndmask_b32_e32 v1, 0, v1, vcc
	v_cndmask_b32_e32 v0, 3, v0, vcc
	v_cmp_eq_u64_e64 s[28:29], 0, v[0:1]
	v_min_i32_e32 v1, 31, v2
	v_lshlrev_b32_e32 v1, 2, v1
	v_cmp_eq_u32_e32 vcc, 0, v2
	v_and_b32_e32 v1, 0xfc, v1
	v_and_or_b32 v0, v0, 3, v1
	s_and_b64 s[28:29], vcc, s[28:29]
	v_cndmask_b32_e64 v0, v0, 0, s[28:29]
	v_or_b32_e32 v14, v0, v4
.LBB4_4637:                             ;   in Loop: Header=BB4_3167 Depth=4
	s_or_b64 exec, exec, s[36:37]
                                        ; implicit-def: $vgpr4
.LBB4_4638:                             ;   in Loop: Header=BB4_3167 Depth=4
	s_andn2_saveexec_b64 s[28:29], s[34:35]
; %bb.4639:                             ;   in Loop: Header=BB4_3167 Depth=4
	v_or_b32_e32 v14, 0x7b, v4
; %bb.4640:                             ;   in Loop: Header=BB4_3167 Depth=4
	s_or_b64 exec, exec, s[28:29]
                                        ; implicit-def: $vgpr0
.LBB4_4641:                             ;   in Loop: Header=BB4_3167 Depth=4
	s_andn2_saveexec_b64 s[28:29], s[30:31]
	s_cbranch_execz .LBB4_4647
; %bb.4642:                             ;   in Loop: Header=BB4_3167 Depth=4
	v_cmp_ne_u64_e32 vcc, 0, v[16:17]
                                        ; implicit-def: $vgpr14
	s_and_saveexec_b64 s[30:31], vcc
	s_xor_b64 vcc, exec, s[30:31]
; %bb.4643:                             ;   in Loop: Header=BB4_3167 Depth=4
	v_or_b32_sdwa v14, v0, s47 dst_sel:DWORD dst_unused:UNUSED_PAD src0_sel:BYTE_3 src1_sel:DWORD
                                        ; implicit-def: $vgpr0
; %bb.4644:                             ;   in Loop: Header=BB4_3167 Depth=4
	s_andn2_saveexec_b64 s[30:31], vcc
; %bb.4645:                             ;   in Loop: Header=BB4_3167 Depth=4
	v_cmp_lt_i32_e32 vcc, -1, v0
	v_bfrev_b32_e32 v0, 0.5
	v_cndmask_b32_e32 v14, v0, v52, vcc
; %bb.4646:                             ;   in Loop: Header=BB4_3167 Depth=4
	s_or_b64 exec, exec, s[30:31]
.LBB4_4647:                             ;   in Loop: Header=BB4_3167 Depth=4
	s_or_b64 exec, exec, s[28:29]
	v_lshl_or_b32 v36, v36, 8, v26
	v_lshlrev_b32_e32 v0, 16, v48
	v_lshlrev_b32_e32 v1, 24, v51
	v_or3_b32 v16, v0, v1, v36
	v_cmp_ne_u32_e32 vcc, 0, v26
	v_mov_b32_e32 v0, 0
	v_mov_b32_e32 v1, 0
	s_and_saveexec_b64 s[30:31], vcc
	s_cbranch_execz .LBB4_4655
; %bb.4648:                             ;   in Loop: Header=BB4_3167 Depth=4
	v_cmp_ne_u32_e32 vcc, s96, v26
	v_bfrev_b32_e32 v1, 1
	s_and_saveexec_b64 s[34:35], vcc
	s_cbranch_execz .LBB4_4654
; %bb.4649:                             ;   in Loop: Header=BB4_3167 Depth=4
	v_and_b32_e32 v1, 0x7c, v26
	v_and_b32_e32 v2, 3, v26
	v_cmp_ne_u32_e32 vcc, s85, v1
                                        ; implicit-def: $vgpr1
	s_and_saveexec_b64 s[28:29], vcc
	s_xor_b64 s[28:29], exec, s[28:29]
	s_cbranch_execz .LBB4_4651
; %bb.4650:                             ;   in Loop: Header=BB4_3167 Depth=4
	v_ffbh_u32_e32 v4, v2
	v_min_u32_e32 v4, 32, v4
	v_bfe_u32 v1, v26, 2, 5
	v_subrev_u32_e32 v15, 29, v4
	v_lshlrev_b64 v[28:29], v15, v[16:17]
	v_sub_u32_e32 v4, 30, v4
	v_cmp_eq_u32_e32 vcc, 0, v1
	v_cndmask_b32_e32 v1, v1, v4, vcc
	v_lshlrev_b32_e32 v4, 24, v26
	v_and_b32_e32 v15, 3, v28
	v_and_b32_e32 v4, 0x80000000, v4
	v_cndmask_b32_e32 v2, v2, v15, vcc
	v_lshl_add_u32 v1, v1, 23, v4
	v_lshl_or_b32 v1, v2, 21, v1
	v_add_u32_e32 v1, 0x38000000, v1
                                        ; implicit-def: $vgpr2
                                        ; implicit-def: $vgpr26
.LBB4_4651:                             ;   in Loop: Header=BB4_3167 Depth=4
	s_andn2_saveexec_b64 s[36:37], s[28:29]
; %bb.4652:                             ;   in Loop: Header=BB4_3167 Depth=4
	v_and_b32_e32 v1, 0x80, v26
	v_cmp_eq_u32_e32 vcc, 0, v2
	v_cmp_eq_u32_e64 s[28:29], 0, v1
	v_mov_b32_e32 v1, 0xff800000
	v_mov_b32_e32 v2, 0x7f800000
	v_cndmask_b32_e64 v1, v1, v2, s[28:29]
	v_mov_b32_e32 v2, 0x7f800001
	v_cndmask_b32_e32 v1, v2, v1, vcc
; %bb.4653:                             ;   in Loop: Header=BB4_3167 Depth=4
	s_or_b64 exec, exec, s[36:37]
.LBB4_4654:                             ;   in Loop: Header=BB4_3167 Depth=4
	s_or_b64 exec, exec, s[34:35]
.LBB4_4655:                             ;   in Loop: Header=BB4_3167 Depth=4
	s_or_b64 exec, exec, s[30:31]
	s_waitcnt vmcnt(0)
	v_cmp_ne_u16_sdwa vcc, v8, v17 src0_sel:BYTE_0 src1_sel:DWORD
	s_and_saveexec_b64 s[28:29], vcc
	s_cbranch_execz .LBB4_4663
; %bb.4656:                             ;   in Loop: Header=BB4_3167 Depth=4
	v_cmp_ne_u16_sdwa vcc, sext(v8), s97 src0_sel:BYTE_0 src1_sel:DWORD
	v_bfrev_b32_e32 v0, 1
	s_and_saveexec_b64 s[30:31], vcc
	s_cbranch_execz .LBB4_4662
; %bb.4657:                             ;   in Loop: Header=BB4_3167 Depth=4
	v_and_b32_e32 v0, 0x7c, v8
	v_and_b32_e32 v2, 3, v8
	v_cmp_ne_u32_e32 vcc, s85, v0
                                        ; implicit-def: $vgpr0
	s_and_saveexec_b64 s[34:35], vcc
	s_xor_b64 s[34:35], exec, s[34:35]
	s_cbranch_execz .LBB4_4659
; %bb.4658:                             ;   in Loop: Header=BB4_3167 Depth=4
	v_ffbh_u32_e32 v4, v2
	v_min_u32_e32 v4, 32, v4
	v_bfe_u32 v0, v8, 2, 5
	v_subrev_u32_e32 v15, 29, v4
	v_lshlrev_b64 v[28:29], v15, v[8:9]
	v_sub_u32_e32 v4, 30, v4
	v_cmp_eq_u32_e32 vcc, 0, v0
	v_cndmask_b32_e32 v0, v0, v4, vcc
	v_lshlrev_b32_e32 v4, 24, v8
	v_and_b32_e32 v15, 3, v28
	v_and_b32_e32 v4, 0x80000000, v4
	v_cndmask_b32_e32 v2, v2, v15, vcc
	v_lshl_add_u32 v0, v0, 23, v4
	v_lshl_or_b32 v0, v2, 21, v0
	v_add_u32_e32 v0, 0x38000000, v0
                                        ; implicit-def: $vgpr2
.LBB4_4659:                             ;   in Loop: Header=BB4_3167 Depth=4
	s_andn2_saveexec_b64 s[34:35], s[34:35]
; %bb.4660:                             ;   in Loop: Header=BB4_3167 Depth=4
	v_mov_b32_e32 v0, -1
	v_cmp_gt_i16_sdwa vcc, sext(v8), v0 src0_sel:BYTE_0 src1_sel:DWORD
	v_mov_b32_e32 v0, 0xff800000
	v_mov_b32_e32 v4, 0x7f800000
	v_cndmask_b32_e32 v0, v0, v4, vcc
	v_cmp_eq_u32_e32 vcc, 0, v2
	v_mov_b32_e32 v2, 0x7f800001
	v_cndmask_b32_e32 v0, v2, v0, vcc
; %bb.4661:                             ;   in Loop: Header=BB4_3167 Depth=4
	s_or_b64 exec, exec, s[34:35]
.LBB4_4662:                             ;   in Loop: Header=BB4_3167 Depth=4
	s_or_b64 exec, exec, s[30:31]
.LBB4_4663:                             ;   in Loop: Header=BB4_3167 Depth=4
	s_or_b64 exec, exec, s[28:29]
	v_add_f32_e32 v2, v1, v0
	v_and_b32_e32 v28, 0x7f800000, v2
	v_mov_b32_e32 v29, v17
	v_cmp_ne_u64_e32 vcc, s[76:77], v[28:29]
	v_and_b32_e32 v0, 0x7fffff, v2
	v_mov_b32_e32 v1, v17
                                        ; implicit-def: $vgpr15
	s_and_saveexec_b64 s[28:29], vcc
	s_xor_b64 s[30:31], exec, s[28:29]
	s_cbranch_execz .LBB4_4677
; %bb.4664:                             ;   in Loop: Header=BB4_3167 Depth=4
	v_and_b32_e32 v28, 0x7fffffff, v2
	v_mov_b32_e32 v29, v17
	v_cmp_gt_u64_e32 vcc, s[78:79], v[28:29]
	v_and_b32_sdwa v4, v2, s96 dst_sel:DWORD dst_unused:UNUSED_PAD src0_sel:BYTE_3 src1_sel:DWORD
                                        ; implicit-def: $vgpr15
	s_and_saveexec_b64 s[28:29], vcc
	s_xor_b64 s[34:35], exec, s[28:29]
	s_cbranch_execz .LBB4_4674
; %bb.4665:                             ;   in Loop: Header=BB4_3167 Depth=4
	v_mov_b32_e32 v15, 0
	v_cmp_ne_u32_e32 vcc, 0, v2
	s_and_saveexec_b64 s[36:37], vcc
	s_cbranch_execz .LBB4_4673
; %bb.4666:                             ;   in Loop: Header=BB4_3167 Depth=4
	v_bfe_u32 v15, v2, 23, 8
	v_cmp_gt_u32_e64 s[28:29], s46, v15
	v_sub_u32_e32 v2, 0x71, v15
	v_cmp_eq_u32_e32 vcc, 0, v15
	v_cndmask_b32_e64 v2, 0, v2, s[28:29]
	v_mov_b32_e32 v26, 0x70
	v_cndmask_b32_e32 v26, v2, v26, vcc
	v_or_b32_e32 v28, 0x800000, v0
	v_add_u32_e32 v2, 21, v26
	v_cndmask_b32_e32 v0, v28, v0, vcc
	v_lshlrev_b64 v[28:29], v2, -1
	v_add_u32_e32 v2, 20, v26
	v_bfi_b32 v28, v28, 0, v0
	v_lshlrev_b64 v[40:41], v2, 1
	v_lshrrev_b64 v[0:1], v26, v[0:1]
	v_bfi_b32 v29, v29, 0, 0
	v_cmp_eq_u64_e64 s[28:29], v[28:29], v[40:41]
	v_mov_b32_e32 v2, v1
	v_mov_b32_e32 v1, v0
	s_and_saveexec_b64 s[38:39], s[28:29]
; %bb.4667:                             ;   in Loop: Header=BB4_3167 Depth=4
	v_bfe_u32 v1, v0, 21, 1
	v_add_co_u32_e64 v1, s[28:29], v0, v1
	v_add_co_u32_e64 v1, s[28:29], -1, v1
; %bb.4668:                             ;   in Loop: Header=BB4_3167 Depth=4
	s_or_b64 exec, exec, s[38:39]
	v_add_u32_e32 v2, 0xffffff81, v15
	v_mov_b32_e32 v15, 0xffffff82
	v_cndmask_b32_e32 v2, v2, v15, vcc
	v_lshrrev_b32_e32 v15, 23, v0
	v_add3_u32 v26, v26, v2, v15
	v_add_u32_e32 v15, 14, v26
	v_and_b32_e32 v1, 0x1fffff, v1
	v_add_u32_e32 v0, v1, v0
	v_mov_b32_e32 v1, v17
	v_cmp_ne_u32_e32 vcc, 0, v15
                                        ; implicit-def: $vgpr2
	s_and_saveexec_b64 s[28:29], vcc
	s_xor_b64 s[28:29], exec, s[28:29]
; %bb.4669:                             ;   in Loop: Header=BB4_3167 Depth=4
	v_cmp_lt_u64_e32 vcc, s[88:89], v[0:1]
	v_add_u32_e32 v2, 15, v26
	v_cndmask_b32_e32 v2, v15, v2, vcc
	v_cndmask_b32_e64 v15, 0, 1, vcc
	v_lshrrev_b64 v[0:1], v15, v[0:1]
; %bb.4670:                             ;   in Loop: Header=BB4_3167 Depth=4
	s_andn2_saveexec_b64 s[28:29], s[28:29]
; %bb.4671:                             ;   in Loop: Header=BB4_3167 Depth=4
	v_bfe_u32 v2, v0, 23, 1
; %bb.4672:                             ;   in Loop: Header=BB4_3167 Depth=4
	s_or_b64 exec, exec, s[28:29]
	v_lshrrev_b64 v[0:1], 21, v[0:1]
	v_cmp_gt_i32_e32 vcc, 32, v2
	v_cndmask_b32_e32 v1, 0, v1, vcc
	v_cndmask_b32_e32 v0, 3, v0, vcc
	v_cmp_eq_u64_e64 s[28:29], 0, v[0:1]
	v_min_i32_e32 v1, 31, v2
	v_lshlrev_b32_e32 v1, 2, v1
	v_cmp_eq_u32_e32 vcc, 0, v2
	v_and_b32_e32 v1, 0xfc, v1
	v_and_or_b32 v0, v0, 3, v1
	s_and_b64 s[28:29], vcc, s[28:29]
	v_cndmask_b32_e64 v0, v0, 0, s[28:29]
	v_or_b32_e32 v15, v0, v4
.LBB4_4673:                             ;   in Loop: Header=BB4_3167 Depth=4
	s_or_b64 exec, exec, s[36:37]
                                        ; implicit-def: $vgpr4
.LBB4_4674:                             ;   in Loop: Header=BB4_3167 Depth=4
	s_andn2_saveexec_b64 s[28:29], s[34:35]
; %bb.4675:                             ;   in Loop: Header=BB4_3167 Depth=4
	v_or_b32_e32 v15, 0x7b, v4
; %bb.4676:                             ;   in Loop: Header=BB4_3167 Depth=4
	s_or_b64 exec, exec, s[28:29]
                                        ; implicit-def: $vgpr2
                                        ; implicit-def: $vgpr0_vgpr1
.LBB4_4677:                             ;   in Loop: Header=BB4_3167 Depth=4
	s_andn2_saveexec_b64 s[28:29], s[30:31]
	s_cbranch_execz .LBB4_4683
; %bb.4678:                             ;   in Loop: Header=BB4_3167 Depth=4
	v_cmp_ne_u64_e32 vcc, 0, v[0:1]
                                        ; implicit-def: $vgpr15
	s_and_saveexec_b64 s[30:31], vcc
	s_xor_b64 vcc, exec, s[30:31]
; %bb.4679:                             ;   in Loop: Header=BB4_3167 Depth=4
	v_or_b32_sdwa v15, v2, s47 dst_sel:DWORD dst_unused:UNUSED_PAD src0_sel:BYTE_3 src1_sel:DWORD
                                        ; implicit-def: $vgpr2
; %bb.4680:                             ;   in Loop: Header=BB4_3167 Depth=4
	s_andn2_saveexec_b64 s[30:31], vcc
; %bb.4681:                             ;   in Loop: Header=BB4_3167 Depth=4
	v_cmp_lt_i32_e32 vcc, -1, v2
	v_bfrev_b32_e32 v0, 0.5
	v_cndmask_b32_e32 v15, v0, v52, vcc
; %bb.4682:                             ;   in Loop: Header=BB4_3167 Depth=4
	s_or_b64 exec, exec, s[30:31]
.LBB4_4683:                             ;   in Loop: Header=BB4_3167 Depth=4
	s_or_b64 exec, exec, s[28:29]
	v_lshrrev_b16_e32 v0, 8, v36
	v_cmp_ne_u16_e32 vcc, 0, v0
	v_mov_b32_e32 v2, 0
	v_mov_b32_e32 v4, 0
	s_and_saveexec_b64 s[28:29], vcc
	s_cbranch_execz .LBB4_4691
; %bb.4684:                             ;   in Loop: Header=BB4_3167 Depth=4
	v_cmp_ne_u16_e32 vcc, s96, v0
	v_bfrev_b32_e32 v4, 1
	s_and_saveexec_b64 s[30:31], vcc
	s_cbranch_execz .LBB4_4690
; %bb.4685:                             ;   in Loop: Header=BB4_3167 Depth=4
	v_and_b32_e32 v1, 0x7c, v0
	v_and_b32_e32 v26, 3, v0
	v_cmp_ne_u32_e32 vcc, s85, v1
                                        ; implicit-def: $vgpr4
	s_and_saveexec_b64 s[34:35], vcc
	s_xor_b64 s[34:35], exec, s[34:35]
	s_cbranch_execz .LBB4_4687
; %bb.4686:                             ;   in Loop: Header=BB4_3167 Depth=4
	v_ffbh_u32_e32 v28, v26
	v_min_u32_e32 v28, 32, v28
	v_mov_b32_e32 v1, v17
	v_subrev_u32_e32 v29, 29, v28
	v_bfe_u32 v4, v0, 2, 5
	v_lshlrev_b64 v[0:1], v29, v[0:1]
	v_sub_u32_e32 v1, 30, v28
	v_cmp_eq_u32_e32 vcc, 0, v4
	v_cndmask_b32_e32 v1, v4, v1, vcc
	v_lshlrev_b32_e32 v4, 16, v36
	v_and_b32_e32 v0, 3, v0
	v_and_b32_e32 v4, 0x80000000, v4
	v_cndmask_b32_e32 v0, v26, v0, vcc
	v_lshl_add_u32 v1, v1, 23, v4
	v_lshl_or_b32 v0, v0, 21, v1
	v_add_u32_e32 v4, 0x38000000, v0
                                        ; implicit-def: $vgpr26
                                        ; implicit-def: $vgpr36
.LBB4_4687:                             ;   in Loop: Header=BB4_3167 Depth=4
	s_andn2_saveexec_b64 s[34:35], s[34:35]
; %bb.4688:                             ;   in Loop: Header=BB4_3167 Depth=4
	v_cmp_lt_i16_e32 vcc, -1, v36
	v_mov_b32_e32 v0, 0xff800000
	v_mov_b32_e32 v1, 0x7f800000
	v_cndmask_b32_e32 v0, v0, v1, vcc
	v_cmp_eq_u32_e32 vcc, 0, v26
	v_mov_b32_e32 v1, 0x7f800001
	v_cndmask_b32_e32 v4, v1, v0, vcc
; %bb.4689:                             ;   in Loop: Header=BB4_3167 Depth=4
	s_or_b64 exec, exec, s[34:35]
.LBB4_4690:                             ;   in Loop: Header=BB4_3167 Depth=4
	s_or_b64 exec, exec, s[30:31]
.LBB4_4691:                             ;   in Loop: Header=BB4_3167 Depth=4
	s_or_b64 exec, exec, s[28:29]
	v_lshrrev_b16_e32 v0, 8, v8
	v_cmp_ne_u16_e32 vcc, 0, v0
	s_and_saveexec_b64 s[28:29], vcc
	s_cbranch_execz .LBB4_4699
; %bb.4692:                             ;   in Loop: Header=BB4_3167 Depth=4
	v_cmp_ne_u16_e32 vcc, s96, v0
	v_bfrev_b32_e32 v2, 1
	s_and_saveexec_b64 s[30:31], vcc
	s_cbranch_execz .LBB4_4698
; %bb.4693:                             ;   in Loop: Header=BB4_3167 Depth=4
	v_and_b32_e32 v1, 0x7c, v0
	v_and_b32_e32 v26, 3, v0
	v_cmp_ne_u32_e32 vcc, s85, v1
                                        ; implicit-def: $vgpr2
	s_and_saveexec_b64 s[34:35], vcc
	s_xor_b64 s[34:35], exec, s[34:35]
	s_cbranch_execz .LBB4_4695
; %bb.4694:                             ;   in Loop: Header=BB4_3167 Depth=4
	v_ffbh_u32_e32 v28, v26
	v_min_u32_e32 v28, 32, v28
	v_mov_b32_e32 v1, v17
	v_subrev_u32_e32 v29, 29, v28
	v_bfe_u32 v2, v0, 2, 5
	v_lshlrev_b64 v[0:1], v29, v[0:1]
	v_sub_u32_e32 v1, 30, v28
	v_cmp_eq_u32_e32 vcc, 0, v2
	v_cndmask_b32_e32 v1, v2, v1, vcc
	v_lshlrev_b32_e32 v2, 16, v8
	v_and_b32_e32 v0, 3, v0
	v_and_b32_e32 v2, 0x80000000, v2
	v_cndmask_b32_e32 v0, v26, v0, vcc
	v_lshl_add_u32 v1, v1, 23, v2
	v_lshl_or_b32 v0, v0, 21, v1
	v_add_u32_e32 v2, 0x38000000, v0
                                        ; implicit-def: $vgpr26
.LBB4_4695:                             ;   in Loop: Header=BB4_3167 Depth=4
	s_andn2_saveexec_b64 s[34:35], s[34:35]
; %bb.4696:                             ;   in Loop: Header=BB4_3167 Depth=4
	v_cmp_lt_i16_e32 vcc, -1, v8
	v_mov_b32_e32 v0, 0xff800000
	v_mov_b32_e32 v1, 0x7f800000
	v_cndmask_b32_e32 v0, v0, v1, vcc
	v_cmp_eq_u32_e32 vcc, 0, v26
	v_mov_b32_e32 v1, 0x7f800001
	v_cndmask_b32_e32 v2, v1, v0, vcc
; %bb.4697:                             ;   in Loop: Header=BB4_3167 Depth=4
	s_or_b64 exec, exec, s[34:35]
.LBB4_4698:                             ;   in Loop: Header=BB4_3167 Depth=4
	s_or_b64 exec, exec, s[30:31]
.LBB4_4699:                             ;   in Loop: Header=BB4_3167 Depth=4
	s_or_b64 exec, exec, s[28:29]
	v_add_f32_e32 v2, v4, v2
	v_and_b32_e32 v28, 0x7f800000, v2
	v_mov_b32_e32 v29, v17
	v_cmp_ne_u64_e32 vcc, s[76:77], v[28:29]
	v_and_b32_e32 v0, 0x7fffff, v2
	v_mov_b32_e32 v1, v17
                                        ; implicit-def: $vgpr26
	s_and_saveexec_b64 s[28:29], vcc
	s_xor_b64 s[30:31], exec, s[28:29]
	s_cbranch_execz .LBB4_4713
; %bb.4700:                             ;   in Loop: Header=BB4_3167 Depth=4
	v_and_b32_e32 v28, 0x7fffffff, v2
	v_mov_b32_e32 v29, v17
	v_cmp_gt_u64_e32 vcc, s[78:79], v[28:29]
	v_and_b32_sdwa v4, v2, s96 dst_sel:DWORD dst_unused:UNUSED_PAD src0_sel:BYTE_3 src1_sel:DWORD
                                        ; implicit-def: $vgpr26
	s_and_saveexec_b64 s[28:29], vcc
	s_xor_b64 s[34:35], exec, s[28:29]
	s_cbranch_execz .LBB4_4710
; %bb.4701:                             ;   in Loop: Header=BB4_3167 Depth=4
	v_mov_b32_e32 v26, 0
	v_cmp_ne_u32_e32 vcc, 0, v2
	s_and_saveexec_b64 s[36:37], vcc
	s_cbranch_execz .LBB4_4709
; %bb.4702:                             ;   in Loop: Header=BB4_3167 Depth=4
	v_bfe_u32 v26, v2, 23, 8
	v_cmp_gt_u32_e64 s[28:29], s46, v26
	v_sub_u32_e32 v2, 0x71, v26
	v_cmp_eq_u32_e32 vcc, 0, v26
	v_cndmask_b32_e64 v2, 0, v2, s[28:29]
	v_mov_b32_e32 v29, 0x70
	v_cndmask_b32_e32 v36, v2, v29, vcc
	v_or_b32_e32 v28, 0x800000, v0
	v_add_u32_e32 v2, 21, v36
	v_cndmask_b32_e32 v0, v28, v0, vcc
	v_lshlrev_b64 v[28:29], v2, -1
	v_add_u32_e32 v2, 20, v36
	v_bfi_b32 v28, v28, 0, v0
	v_lshlrev_b64 v[40:41], v2, 1
	v_lshrrev_b64 v[0:1], v36, v[0:1]
	v_bfi_b32 v29, v29, 0, 0
	v_cmp_eq_u64_e64 s[28:29], v[28:29], v[40:41]
	v_mov_b32_e32 v2, v1
	v_mov_b32_e32 v1, v0
	s_and_saveexec_b64 s[38:39], s[28:29]
; %bb.4703:                             ;   in Loop: Header=BB4_3167 Depth=4
	v_bfe_u32 v1, v0, 21, 1
	v_add_co_u32_e64 v1, s[28:29], v0, v1
	v_add_co_u32_e64 v1, s[28:29], -1, v1
; %bb.4704:                             ;   in Loop: Header=BB4_3167 Depth=4
	s_or_b64 exec, exec, s[38:39]
	v_add_u32_e32 v2, 0xffffff81, v26
	v_mov_b32_e32 v26, 0xffffff82
	v_cndmask_b32_e32 v2, v2, v26, vcc
	v_lshrrev_b32_e32 v26, 23, v0
	v_add3_u32 v36, v36, v2, v26
	v_add_u32_e32 v26, 14, v36
	v_and_b32_e32 v1, 0x1fffff, v1
	v_add_u32_e32 v0, v1, v0
	v_mov_b32_e32 v1, v17
	v_cmp_ne_u32_e32 vcc, 0, v26
                                        ; implicit-def: $vgpr2
	s_and_saveexec_b64 s[28:29], vcc
	s_xor_b64 s[28:29], exec, s[28:29]
; %bb.4705:                             ;   in Loop: Header=BB4_3167 Depth=4
	v_cmp_lt_u64_e32 vcc, s[88:89], v[0:1]
	v_add_u32_e32 v2, 15, v36
	v_cndmask_b32_e32 v2, v26, v2, vcc
	v_cndmask_b32_e64 v26, 0, 1, vcc
	v_lshrrev_b64 v[0:1], v26, v[0:1]
; %bb.4706:                             ;   in Loop: Header=BB4_3167 Depth=4
	s_andn2_saveexec_b64 s[28:29], s[28:29]
; %bb.4707:                             ;   in Loop: Header=BB4_3167 Depth=4
	v_bfe_u32 v2, v0, 23, 1
; %bb.4708:                             ;   in Loop: Header=BB4_3167 Depth=4
	s_or_b64 exec, exec, s[28:29]
	v_lshrrev_b64 v[0:1], 21, v[0:1]
	v_cmp_gt_i32_e32 vcc, 32, v2
	v_cndmask_b32_e32 v1, 0, v1, vcc
	v_cndmask_b32_e32 v0, 3, v0, vcc
	v_cmp_eq_u64_e64 s[28:29], 0, v[0:1]
	v_min_i32_e32 v1, 31, v2
	v_lshlrev_b32_e32 v1, 2, v1
	v_cmp_eq_u32_e32 vcc, 0, v2
	v_and_b32_e32 v1, 0xfc, v1
	v_and_or_b32 v0, v0, 3, v1
	s_and_b64 s[28:29], vcc, s[28:29]
	v_cndmask_b32_e64 v0, v0, 0, s[28:29]
	v_or_b32_e32 v26, v0, v4
.LBB4_4709:                             ;   in Loop: Header=BB4_3167 Depth=4
	s_or_b64 exec, exec, s[36:37]
                                        ; implicit-def: $vgpr4
.LBB4_4710:                             ;   in Loop: Header=BB4_3167 Depth=4
	s_andn2_saveexec_b64 s[28:29], s[34:35]
; %bb.4711:                             ;   in Loop: Header=BB4_3167 Depth=4
	v_or_b32_e32 v26, 0x7b, v4
; %bb.4712:                             ;   in Loop: Header=BB4_3167 Depth=4
	s_or_b64 exec, exec, s[28:29]
                                        ; implicit-def: $vgpr2
                                        ; implicit-def: $vgpr0_vgpr1
.LBB4_4713:                             ;   in Loop: Header=BB4_3167 Depth=4
	s_andn2_saveexec_b64 s[28:29], s[30:31]
	s_cbranch_execz .LBB4_4719
; %bb.4714:                             ;   in Loop: Header=BB4_3167 Depth=4
	v_cmp_ne_u64_e32 vcc, 0, v[0:1]
                                        ; implicit-def: $vgpr26
	s_and_saveexec_b64 s[30:31], vcc
	s_xor_b64 vcc, exec, s[30:31]
; %bb.4715:                             ;   in Loop: Header=BB4_3167 Depth=4
	v_or_b32_sdwa v26, v2, s47 dst_sel:DWORD dst_unused:UNUSED_PAD src0_sel:BYTE_3 src1_sel:DWORD
                                        ; implicit-def: $vgpr2
; %bb.4716:                             ;   in Loop: Header=BB4_3167 Depth=4
	s_andn2_saveexec_b64 s[30:31], vcc
; %bb.4717:                             ;   in Loop: Header=BB4_3167 Depth=4
	v_cmp_lt_i32_e32 vcc, -1, v2
	v_bfrev_b32_e32 v0, 0.5
	v_cndmask_b32_e32 v26, v0, v52, vcc
; %bb.4718:                             ;   in Loop: Header=BB4_3167 Depth=4
	s_or_b64 exec, exec, s[30:31]
.LBB4_4719:                             ;   in Loop: Header=BB4_3167 Depth=4
	s_or_b64 exec, exec, s[28:29]
	v_and_b32_sdwa v4, v16, s87 dst_sel:DWORD dst_unused:UNUSED_PAD src0_sel:WORD_1 src1_sel:DWORD
	v_lshrrev_b32_e32 v0, 16, v16
	v_cmp_ne_u16_e32 vcc, 0, v4
	v_mov_b32_e32 v1, 0
	v_mov_b32_e32 v2, 0
	s_and_saveexec_b64 s[28:29], vcc
	s_cbranch_execz .LBB4_4727
; %bb.4720:                             ;   in Loop: Header=BB4_3167 Depth=4
	v_cmp_ne_u16_e32 vcc, s96, v4
	v_bfrev_b32_e32 v2, 1
	s_and_saveexec_b64 s[30:31], vcc
	s_cbranch_execz .LBB4_4726
; %bb.4721:                             ;   in Loop: Header=BB4_3167 Depth=4
	v_and_b32_e32 v2, 0x7c0000, v16
	v_bfe_u32 v4, v16, 16, 2
	v_cmp_ne_u32_e32 vcc, s44, v2
                                        ; implicit-def: $vgpr2
	s_and_saveexec_b64 s[34:35], vcc
	s_xor_b64 s[34:35], exec, s[34:35]
	s_cbranch_execz .LBB4_4723
; %bb.4722:                             ;   in Loop: Header=BB4_3167 Depth=4
	v_ffbh_u32_e32 v28, v4
	v_min_u32_e32 v36, 32, v28
	v_subrev_u32_e32 v28, 29, v36
	v_lshlrev_b64 v[28:29], v28, v[0:1]
	v_bfe_u32 v2, v16, 18, 5
	v_sub_u32_e32 v0, 30, v36
	v_and_b32_e32 v28, 3, v28
	v_cmp_eq_u32_e32 vcc, 0, v2
	v_cndmask_b32_e32 v0, v2, v0, vcc
	v_cndmask_b32_e32 v2, v4, v28, vcc
	v_lshlrev_b32_e32 v4, 8, v16
	v_and_b32_e32 v4, 0x80000000, v4
	v_lshl_add_u32 v0, v0, 23, v4
	v_lshl_or_b32 v0, v2, 21, v0
	v_add_u32_e32 v2, 0x38000000, v0
                                        ; implicit-def: $vgpr4
                                        ; implicit-def: $vgpr0
.LBB4_4723:                             ;   in Loop: Header=BB4_3167 Depth=4
	s_andn2_saveexec_b64 s[34:35], s[34:35]
; %bb.4724:                             ;   in Loop: Header=BB4_3167 Depth=4
	v_mov_b32_e32 v2, -1
	v_cmp_gt_i16_sdwa vcc, sext(v0), v2 src0_sel:BYTE_0 src1_sel:DWORD
	v_mov_b32_e32 v0, 0xff800000
	v_mov_b32_e32 v2, 0x7f800000
	v_cndmask_b32_e32 v0, v0, v2, vcc
	v_cmp_eq_u32_e32 vcc, 0, v4
	v_mov_b32_e32 v2, 0x7f800001
	v_cndmask_b32_e32 v2, v2, v0, vcc
; %bb.4725:                             ;   in Loop: Header=BB4_3167 Depth=4
	s_or_b64 exec, exec, s[34:35]
.LBB4_4726:                             ;   in Loop: Header=BB4_3167 Depth=4
	s_or_b64 exec, exec, s[30:31]
.LBB4_4727:                             ;   in Loop: Header=BB4_3167 Depth=4
	s_or_b64 exec, exec, s[28:29]
	v_lshrrev_b32_e32 v0, 16, v8
	v_cmp_ne_u16_sdwa vcc, v0, v17 src0_sel:BYTE_0 src1_sel:DWORD
	s_and_saveexec_b64 s[28:29], vcc
	s_cbranch_execz .LBB4_4735
; %bb.4728:                             ;   in Loop: Header=BB4_3167 Depth=4
	v_cmp_ne_u16_sdwa vcc, v0, s96 src0_sel:BYTE_0 src1_sel:DWORD
	v_bfrev_b32_e32 v1, 1
	s_and_saveexec_b64 s[30:31], vcc
	s_cbranch_execz .LBB4_4734
; %bb.4729:                             ;   in Loop: Header=BB4_3167 Depth=4
	v_and_b32_e32 v1, 0x7c0000, v8
	v_bfe_u32 v4, v8, 16, 2
	v_cmp_ne_u32_e32 vcc, s44, v1
                                        ; implicit-def: $vgpr1
	s_and_saveexec_b64 s[34:35], vcc
	s_xor_b64 s[34:35], exec, s[34:35]
	s_cbranch_execz .LBB4_4731
; %bb.4730:                             ;   in Loop: Header=BB4_3167 Depth=4
	v_ffbh_u32_e32 v1, v4
	v_min_u32_e32 v29, 32, v1
	v_subrev_u32_e32 v1, 29, v29
	v_lshlrev_b64 v[0:1], v1, v[0:1]
	v_bfe_u32 v28, v8, 18, 5
	v_and_b32_e32 v0, 3, v0
	v_cmp_eq_u32_e32 vcc, 0, v28
	v_sub_u32_e32 v1, 30, v29
	v_cndmask_b32_e32 v0, v4, v0, vcc
	v_lshlrev_b32_e32 v4, 8, v8
	v_cndmask_b32_e32 v1, v28, v1, vcc
	v_and_b32_e32 v4, 0x80000000, v4
	v_lshl_add_u32 v1, v1, 23, v4
	v_lshl_or_b32 v0, v0, 21, v1
	v_add_u32_e32 v1, 0x38000000, v0
                                        ; implicit-def: $vgpr4
                                        ; implicit-def: $vgpr0
.LBB4_4731:                             ;   in Loop: Header=BB4_3167 Depth=4
	s_andn2_saveexec_b64 s[34:35], s[34:35]
; %bb.4732:                             ;   in Loop: Header=BB4_3167 Depth=4
	v_mov_b32_e32 v1, -1
	v_cmp_gt_i16_sdwa vcc, sext(v0), v1 src0_sel:BYTE_0 src1_sel:DWORD
	v_mov_b32_e32 v0, 0xff800000
	v_mov_b32_e32 v1, 0x7f800000
	v_cndmask_b32_e32 v0, v0, v1, vcc
	v_cmp_eq_u32_e32 vcc, 0, v4
	v_mov_b32_e32 v1, 0x7f800001
	v_cndmask_b32_e32 v1, v1, v0, vcc
; %bb.4733:                             ;   in Loop: Header=BB4_3167 Depth=4
	s_or_b64 exec, exec, s[34:35]
.LBB4_4734:                             ;   in Loop: Header=BB4_3167 Depth=4
	s_or_b64 exec, exec, s[30:31]
.LBB4_4735:                             ;   in Loop: Header=BB4_3167 Depth=4
	s_or_b64 exec, exec, s[28:29]
	v_add_f32_e32 v2, v2, v1
	v_and_b32_e32 v28, 0x7f800000, v2
	v_mov_b32_e32 v29, v17
	v_cmp_ne_u64_e32 vcc, s[76:77], v[28:29]
	v_and_b32_e32 v0, 0x7fffff, v2
	v_mov_b32_e32 v1, v17
                                        ; implicit-def: $vgpr36
	s_and_saveexec_b64 s[28:29], vcc
	s_xor_b64 s[30:31], exec, s[28:29]
	s_cbranch_execz .LBB4_4749
; %bb.4736:                             ;   in Loop: Header=BB4_3167 Depth=4
	v_and_b32_e32 v28, 0x7fffffff, v2
	v_mov_b32_e32 v29, v17
	v_cmp_gt_u64_e32 vcc, s[78:79], v[28:29]
	v_and_b32_sdwa v4, v2, s96 dst_sel:DWORD dst_unused:UNUSED_PAD src0_sel:BYTE_3 src1_sel:DWORD
                                        ; implicit-def: $vgpr36
	s_and_saveexec_b64 s[28:29], vcc
	s_xor_b64 s[34:35], exec, s[28:29]
	s_cbranch_execz .LBB4_4746
; %bb.4737:                             ;   in Loop: Header=BB4_3167 Depth=4
	v_mov_b32_e32 v36, 0
	v_cmp_ne_u32_e32 vcc, 0, v2
	s_and_saveexec_b64 s[36:37], vcc
	s_cbranch_execz .LBB4_4745
; %bb.4738:                             ;   in Loop: Header=BB4_3167 Depth=4
	v_bfe_u32 v36, v2, 23, 8
	v_cmp_gt_u32_e64 s[28:29], s46, v36
	v_sub_u32_e32 v2, 0x71, v36
	v_cmp_eq_u32_e32 vcc, 0, v36
	v_cndmask_b32_e64 v2, 0, v2, s[28:29]
	v_mov_b32_e32 v29, 0x70
	v_cndmask_b32_e32 v48, v2, v29, vcc
	v_or_b32_e32 v28, 0x800000, v0
	v_add_u32_e32 v2, 21, v48
	v_cndmask_b32_e32 v0, v28, v0, vcc
	v_lshlrev_b64 v[28:29], v2, -1
	v_add_u32_e32 v2, 20, v48
	v_bfi_b32 v28, v28, 0, v0
	v_lshlrev_b64 v[40:41], v2, 1
	v_lshrrev_b64 v[0:1], v48, v[0:1]
	v_bfi_b32 v29, v29, 0, 0
	v_cmp_eq_u64_e64 s[28:29], v[28:29], v[40:41]
	v_mov_b32_e32 v2, v1
	v_mov_b32_e32 v1, v0
	s_and_saveexec_b64 s[38:39], s[28:29]
; %bb.4739:                             ;   in Loop: Header=BB4_3167 Depth=4
	v_bfe_u32 v1, v0, 21, 1
	v_add_co_u32_e64 v1, s[28:29], v0, v1
	v_add_co_u32_e64 v1, s[28:29], -1, v1
; %bb.4740:                             ;   in Loop: Header=BB4_3167 Depth=4
	s_or_b64 exec, exec, s[38:39]
	v_add_u32_e32 v2, 0xffffff81, v36
	v_mov_b32_e32 v28, 0xffffff82
	v_cndmask_b32_e32 v2, v2, v28, vcc
	v_lshrrev_b32_e32 v28, 23, v0
	v_add3_u32 v48, v48, v2, v28
	v_add_u32_e32 v36, 14, v48
	v_and_b32_e32 v1, 0x1fffff, v1
	v_add_u32_e32 v0, v1, v0
	v_mov_b32_e32 v1, v17
	v_cmp_ne_u32_e32 vcc, 0, v36
                                        ; implicit-def: $vgpr2
	s_and_saveexec_b64 s[28:29], vcc
	s_xor_b64 s[28:29], exec, s[28:29]
; %bb.4741:                             ;   in Loop: Header=BB4_3167 Depth=4
	v_cmp_lt_u64_e32 vcc, s[88:89], v[0:1]
	v_add_u32_e32 v2, 15, v48
	v_cndmask_b32_e64 v28, 0, 1, vcc
	v_lshrrev_b64 v[0:1], v28, v[0:1]
	v_cndmask_b32_e32 v2, v36, v2, vcc
; %bb.4742:                             ;   in Loop: Header=BB4_3167 Depth=4
	s_andn2_saveexec_b64 s[28:29], s[28:29]
; %bb.4743:                             ;   in Loop: Header=BB4_3167 Depth=4
	v_bfe_u32 v2, v0, 23, 1
; %bb.4744:                             ;   in Loop: Header=BB4_3167 Depth=4
	s_or_b64 exec, exec, s[28:29]
	v_lshrrev_b64 v[0:1], 21, v[0:1]
	v_cmp_gt_i32_e32 vcc, 32, v2
	v_cndmask_b32_e32 v1, 0, v1, vcc
	v_cndmask_b32_e32 v0, 3, v0, vcc
	v_cmp_eq_u64_e64 s[28:29], 0, v[0:1]
	v_min_i32_e32 v1, 31, v2
	v_lshlrev_b32_e32 v1, 2, v1
	v_cmp_eq_u32_e32 vcc, 0, v2
	v_and_b32_e32 v1, 0xfc, v1
	v_and_or_b32 v0, v0, 3, v1
	s_and_b64 s[28:29], vcc, s[28:29]
	v_cndmask_b32_e64 v0, v0, 0, s[28:29]
	v_or_b32_e32 v36, v0, v4
.LBB4_4745:                             ;   in Loop: Header=BB4_3167 Depth=4
	s_or_b64 exec, exec, s[36:37]
                                        ; implicit-def: $vgpr4
.LBB4_4746:                             ;   in Loop: Header=BB4_3167 Depth=4
	s_andn2_saveexec_b64 s[28:29], s[34:35]
; %bb.4747:                             ;   in Loop: Header=BB4_3167 Depth=4
	v_or_b32_e32 v36, 0x7b, v4
; %bb.4748:                             ;   in Loop: Header=BB4_3167 Depth=4
	s_or_b64 exec, exec, s[28:29]
                                        ; implicit-def: $vgpr2
                                        ; implicit-def: $vgpr0_vgpr1
.LBB4_4749:                             ;   in Loop: Header=BB4_3167 Depth=4
	s_andn2_saveexec_b64 s[28:29], s[30:31]
	s_cbranch_execz .LBB4_4755
; %bb.4750:                             ;   in Loop: Header=BB4_3167 Depth=4
	v_cmp_ne_u64_e32 vcc, 0, v[0:1]
                                        ; implicit-def: $vgpr36
	s_and_saveexec_b64 s[30:31], vcc
	s_xor_b64 vcc, exec, s[30:31]
; %bb.4751:                             ;   in Loop: Header=BB4_3167 Depth=4
	v_or_b32_sdwa v36, v2, s47 dst_sel:DWORD dst_unused:UNUSED_PAD src0_sel:BYTE_3 src1_sel:DWORD
                                        ; implicit-def: $vgpr2
; %bb.4752:                             ;   in Loop: Header=BB4_3167 Depth=4
	s_andn2_saveexec_b64 s[30:31], vcc
; %bb.4753:                             ;   in Loop: Header=BB4_3167 Depth=4
	v_cmp_lt_i32_e32 vcc, -1, v2
	v_bfrev_b32_e32 v0, 0.5
	v_cndmask_b32_e32 v36, v0, v52, vcc
; %bb.4754:                             ;   in Loop: Header=BB4_3167 Depth=4
	s_or_b64 exec, exec, s[30:31]
.LBB4_4755:                             ;   in Loop: Header=BB4_3167 Depth=4
	s_or_b64 exec, exec, s[28:29]
	v_cmp_lt_u32_e32 vcc, s57, v16
	v_mov_b32_e32 v1, 0
	v_mov_b32_e32 v2, 0
	s_and_saveexec_b64 s[28:29], vcc
	s_cbranch_execz .LBB4_4763
; %bb.4756:                             ;   in Loop: Header=BB4_3167 Depth=4
	v_lshrrev_b32_e32 v0, 24, v16
	v_cmp_ne_u32_e32 vcc, s96, v0
	v_bfrev_b32_e32 v2, 1
	s_and_saveexec_b64 s[30:31], vcc
	s_cbranch_execz .LBB4_4762
; %bb.4757:                             ;   in Loop: Header=BB4_3167 Depth=4
	v_and_b32_e32 v2, 0x7c000000, v16
	v_bfe_u32 v4, v16, 24, 2
	v_cmp_ne_u32_e32 vcc, s45, v2
                                        ; implicit-def: $vgpr2
	s_and_saveexec_b64 s[34:35], vcc
	s_xor_b64 s[34:35], exec, s[34:35]
	s_cbranch_execz .LBB4_4759
; %bb.4758:                             ;   in Loop: Header=BB4_3167 Depth=4
	v_ffbh_u32_e32 v28, v4
	v_min_u32_e32 v48, 32, v28
	v_subrev_u32_e32 v28, 29, v48
	v_lshlrev_b64 v[28:29], v28, v[0:1]
	v_bfe_u32 v2, v16, 26, 5
	v_sub_u32_e32 v0, 30, v48
	v_and_b32_e32 v28, 3, v28
	v_cmp_eq_u32_e32 vcc, 0, v2
	v_cndmask_b32_e32 v0, v2, v0, vcc
	v_cndmask_b32_e32 v2, v4, v28, vcc
	v_and_b32_e32 v4, 0x80000000, v16
	v_lshl_add_u32 v0, v0, 23, v4
	v_lshl_or_b32 v0, v2, 21, v0
	v_add_u32_e32 v2, 0x38000000, v0
                                        ; implicit-def: $vgpr4
.LBB4_4759:                             ;   in Loop: Header=BB4_3167 Depth=4
	s_andn2_saveexec_b64 s[34:35], s[34:35]
; %bb.4760:                             ;   in Loop: Header=BB4_3167 Depth=4
	v_cmp_lt_i32_e32 vcc, -1, v16
	v_mov_b32_e32 v0, 0xff800000
	v_mov_b32_e32 v2, 0x7f800000
	v_cndmask_b32_e32 v0, v0, v2, vcc
	v_cmp_eq_u32_e32 vcc, 0, v4
	v_mov_b32_e32 v2, 0x7f800001
	v_cndmask_b32_e32 v2, v2, v0, vcc
; %bb.4761:                             ;   in Loop: Header=BB4_3167 Depth=4
	s_or_b64 exec, exec, s[34:35]
.LBB4_4762:                             ;   in Loop: Header=BB4_3167 Depth=4
	s_or_b64 exec, exec, s[30:31]
.LBB4_4763:                             ;   in Loop: Header=BB4_3167 Depth=4
	s_or_b64 exec, exec, s[28:29]
	v_cmp_lt_u32_e32 vcc, s57, v8
	s_and_saveexec_b64 s[28:29], vcc
	s_cbranch_execz .LBB4_4771
; %bb.4764:                             ;   in Loop: Header=BB4_3167 Depth=4
	v_lshrrev_b32_e32 v0, 24, v8
	v_cmp_ne_u32_e32 vcc, s96, v0
	v_bfrev_b32_e32 v1, 1
	s_and_saveexec_b64 s[30:31], vcc
	s_cbranch_execz .LBB4_4770
; %bb.4765:                             ;   in Loop: Header=BB4_3167 Depth=4
	v_and_b32_e32 v1, 0x7c000000, v8
	v_bfe_u32 v4, v8, 24, 2
	v_cmp_ne_u32_e32 vcc, s45, v1
                                        ; implicit-def: $vgpr1
	s_and_saveexec_b64 s[34:35], vcc
	s_xor_b64 s[34:35], exec, s[34:35]
	s_cbranch_execz .LBB4_4767
; %bb.4766:                             ;   in Loop: Header=BB4_3167 Depth=4
	v_ffbh_u32_e32 v1, v4
	v_min_u32_e32 v28, 32, v1
	v_subrev_u32_e32 v1, 29, v28
	v_lshlrev_b64 v[0:1], v1, v[0:1]
	v_bfe_u32 v16, v8, 26, 5
	v_sub_u32_e32 v1, 30, v28
	v_and_b32_e32 v0, 3, v0
	v_cmp_eq_u32_e32 vcc, 0, v16
	v_cndmask_b32_e32 v1, v16, v1, vcc
	v_cndmask_b32_e32 v0, v4, v0, vcc
	v_and_b32_e32 v4, 0x80000000, v8
	v_lshl_add_u32 v1, v1, 23, v4
	v_lshl_or_b32 v0, v0, 21, v1
	v_add_u32_e32 v1, 0x38000000, v0
                                        ; implicit-def: $vgpr4
.LBB4_4767:                             ;   in Loop: Header=BB4_3167 Depth=4
	s_andn2_saveexec_b64 s[34:35], s[34:35]
; %bb.4768:                             ;   in Loop: Header=BB4_3167 Depth=4
	v_cmp_lt_i32_e32 vcc, -1, v8
	v_mov_b32_e32 v0, 0xff800000
	v_mov_b32_e32 v1, 0x7f800000
	v_cndmask_b32_e32 v0, v0, v1, vcc
	v_cmp_eq_u32_e32 vcc, 0, v4
	v_mov_b32_e32 v1, 0x7f800001
	v_cndmask_b32_e32 v1, v1, v0, vcc
; %bb.4769:                             ;   in Loop: Header=BB4_3167 Depth=4
	s_or_b64 exec, exec, s[34:35]
.LBB4_4770:                             ;   in Loop: Header=BB4_3167 Depth=4
	s_or_b64 exec, exec, s[30:31]
.LBB4_4771:                             ;   in Loop: Header=BB4_3167 Depth=4
	s_or_b64 exec, exec, s[28:29]
	v_add_f32_e32 v0, v2, v1
	v_and_b32_e32 v1, 0x7f800000, v0
	v_mov_b32_e32 v2, v17
	v_cmp_ne_u64_e32 vcc, s[76:77], v[1:2]
	v_and_b32_e32 v16, 0x7fffff, v0
                                        ; implicit-def: $vgpr48
	s_and_saveexec_b64 s[28:29], vcc
	s_xor_b64 s[30:31], exec, s[28:29]
	s_cbranch_execz .LBB4_4785
; %bb.4772:                             ;   in Loop: Header=BB4_3167 Depth=4
	v_and_b32_e32 v1, 0x7fffffff, v0
	v_mov_b32_e32 v2, v17
	v_cmp_gt_u64_e32 vcc, s[78:79], v[1:2]
	v_and_b32_sdwa v4, v0, s96 dst_sel:DWORD dst_unused:UNUSED_PAD src0_sel:BYTE_3 src1_sel:DWORD
                                        ; implicit-def: $vgpr48
	s_and_saveexec_b64 s[28:29], vcc
	s_xor_b64 s[34:35], exec, s[28:29]
	s_cbranch_execz .LBB4_4782
; %bb.4773:                             ;   in Loop: Header=BB4_3167 Depth=4
	v_mov_b32_e32 v48, 0
	v_cmp_ne_u32_e32 vcc, 0, v0
	s_and_saveexec_b64 s[36:37], vcc
	s_cbranch_execz .LBB4_4781
; %bb.4774:                             ;   in Loop: Header=BB4_3167 Depth=4
	v_bfe_u32 v48, v0, 23, 8
	v_cmp_gt_u32_e64 s[28:29], s46, v48
	v_sub_u32_e32 v0, 0x71, v48
	v_cmp_eq_u32_e32 vcc, 0, v48
	v_cndmask_b32_e64 v0, 0, v0, s[28:29]
	v_mov_b32_e32 v2, 0x70
	v_cndmask_b32_e32 v51, v0, v2, vcc
	v_add_u32_e32 v2, 21, v51
	v_or_b32_e32 v1, 0x800000, v16
	v_lshlrev_b64 v[28:29], v2, -1
	v_cndmask_b32_e32 v0, v1, v16, vcc
	v_mov_b32_e32 v1, v17
	v_add_u32_e32 v2, 20, v51
	v_bfi_b32 v28, v28, 0, v0
	v_lshlrev_b64 v[40:41], v2, 1
	v_lshrrev_b64 v[0:1], v51, v[0:1]
	v_bfi_b32 v29, v29, 0, 0
	v_cmp_eq_u64_e64 s[28:29], v[28:29], v[40:41]
	v_mov_b32_e32 v2, v1
	v_mov_b32_e32 v1, v0
	s_and_saveexec_b64 s[38:39], s[28:29]
; %bb.4775:                             ;   in Loop: Header=BB4_3167 Depth=4
	v_bfe_u32 v1, v0, 21, 1
	v_add_co_u32_e64 v1, s[28:29], v0, v1
	v_add_co_u32_e64 v1, s[28:29], -1, v1
; %bb.4776:                             ;   in Loop: Header=BB4_3167 Depth=4
	s_or_b64 exec, exec, s[38:39]
	v_add_u32_e32 v2, 0xffffff81, v48
	v_mov_b32_e32 v16, 0xffffff82
	v_cndmask_b32_e32 v2, v2, v16, vcc
	v_lshrrev_b32_e32 v16, 23, v0
	v_add3_u32 v51, v51, v2, v16
	v_add_u32_e32 v48, 14, v51
	v_and_b32_e32 v1, 0x1fffff, v1
	v_add_u32_e32 v16, v1, v0
	v_cmp_ne_u32_e32 vcc, 0, v48
                                        ; implicit-def: $vgpr0_vgpr1
                                        ; implicit-def: $vgpr2
	s_and_saveexec_b64 s[28:29], vcc
	s_xor_b64 s[28:29], exec, s[28:29]
; %bb.4777:                             ;   in Loop: Header=BB4_3167 Depth=4
	v_cmp_lt_u64_e32 vcc, s[88:89], v[16:17]
	v_add_u32_e32 v0, 15, v51
	v_cndmask_b32_e32 v2, v48, v0, vcc
	v_cndmask_b32_e64 v0, 0, 1, vcc
	v_lshrrev_b64 v[0:1], v0, v[16:17]
; %bb.4778:                             ;   in Loop: Header=BB4_3167 Depth=4
	s_andn2_saveexec_b64 s[28:29], s[28:29]
; %bb.4779:                             ;   in Loop: Header=BB4_3167 Depth=4
	v_mov_b32_e32 v0, v16
	v_mov_b32_e32 v1, v17
	v_bfe_u32 v2, v16, 23, 1
; %bb.4780:                             ;   in Loop: Header=BB4_3167 Depth=4
	s_or_b64 exec, exec, s[28:29]
	v_lshrrev_b64 v[0:1], 21, v[0:1]
	v_cmp_gt_i32_e32 vcc, 32, v2
	v_cndmask_b32_e32 v1, 0, v1, vcc
	v_cndmask_b32_e32 v0, 3, v0, vcc
	v_cmp_eq_u64_e64 s[28:29], 0, v[0:1]
	v_min_i32_e32 v1, 31, v2
	v_lshlrev_b32_e32 v1, 2, v1
	v_cmp_eq_u32_e32 vcc, 0, v2
	v_and_b32_e32 v1, 0xfc, v1
	v_and_or_b32 v0, v0, 3, v1
	s_and_b64 s[28:29], vcc, s[28:29]
	v_cndmask_b32_e64 v0, v0, 0, s[28:29]
	v_or_b32_e32 v48, v0, v4
.LBB4_4781:                             ;   in Loop: Header=BB4_3167 Depth=4
	s_or_b64 exec, exec, s[36:37]
                                        ; implicit-def: $vgpr4
.LBB4_4782:                             ;   in Loop: Header=BB4_3167 Depth=4
	s_andn2_saveexec_b64 s[28:29], s[34:35]
; %bb.4783:                             ;   in Loop: Header=BB4_3167 Depth=4
	v_or_b32_e32 v48, 0x7b, v4
; %bb.4784:                             ;   in Loop: Header=BB4_3167 Depth=4
	s_or_b64 exec, exec, s[28:29]
                                        ; implicit-def: $vgpr0
.LBB4_4785:                             ;   in Loop: Header=BB4_3167 Depth=4
	s_andn2_saveexec_b64 s[28:29], s[30:31]
	s_cbranch_execz .LBB4_4791
; %bb.4786:                             ;   in Loop: Header=BB4_3167 Depth=4
	v_cmp_ne_u64_e32 vcc, 0, v[16:17]
                                        ; implicit-def: $vgpr48
	s_and_saveexec_b64 s[30:31], vcc
	s_xor_b64 vcc, exec, s[30:31]
; %bb.4787:                             ;   in Loop: Header=BB4_3167 Depth=4
	v_or_b32_sdwa v48, v0, s47 dst_sel:DWORD dst_unused:UNUSED_PAD src0_sel:BYTE_3 src1_sel:DWORD
                                        ; implicit-def: $vgpr0
; %bb.4788:                             ;   in Loop: Header=BB4_3167 Depth=4
	s_andn2_saveexec_b64 s[30:31], vcc
; %bb.4789:                             ;   in Loop: Header=BB4_3167 Depth=4
	v_cmp_lt_i32_e32 vcc, -1, v0
	v_bfrev_b32_e32 v0, 0.5
	v_cndmask_b32_e32 v48, v0, v52, vcc
; %bb.4790:                             ;   in Loop: Header=BB4_3167 Depth=4
	s_or_b64 exec, exec, s[30:31]
.LBB4_4791:                             ;   in Loop: Header=BB4_3167 Depth=4
	s_or_b64 exec, exec, s[28:29]
	v_lshl_or_b32 v31, v31, 8, v23
	v_lshlrev_b32_e32 v0, 16, v35
	v_lshlrev_b32_e32 v1, 24, v39
	v_or3_b32 v16, v0, v1, v31
	v_cmp_ne_u32_e32 vcc, 0, v23
	v_mov_b32_e32 v0, 0
	v_mov_b32_e32 v1, 0
	s_and_saveexec_b64 s[30:31], vcc
	s_cbranch_execz .LBB4_4799
; %bb.4792:                             ;   in Loop: Header=BB4_3167 Depth=4
	v_cmp_ne_u32_e32 vcc, s96, v23
	v_bfrev_b32_e32 v1, 1
	s_and_saveexec_b64 s[34:35], vcc
	s_cbranch_execz .LBB4_4798
; %bb.4793:                             ;   in Loop: Header=BB4_3167 Depth=4
	v_and_b32_e32 v1, 0x7c, v23
	v_and_b32_e32 v2, 3, v23
	v_cmp_ne_u32_e32 vcc, s85, v1
                                        ; implicit-def: $vgpr1
	s_and_saveexec_b64 s[28:29], vcc
	s_xor_b64 s[28:29], exec, s[28:29]
	s_cbranch_execz .LBB4_4795
; %bb.4794:                             ;   in Loop: Header=BB4_3167 Depth=4
	v_ffbh_u32_e32 v4, v2
	v_min_u32_e32 v4, 32, v4
	v_bfe_u32 v1, v23, 2, 5
	v_subrev_u32_e32 v28, 29, v4
	v_lshlrev_b64 v[28:29], v28, v[16:17]
	v_sub_u32_e32 v4, 30, v4
	v_cmp_eq_u32_e32 vcc, 0, v1
	v_cndmask_b32_e32 v1, v1, v4, vcc
	v_lshlrev_b32_e32 v4, 24, v23
	v_and_b32_e32 v28, 3, v28
	v_and_b32_e32 v4, 0x80000000, v4
	v_cndmask_b32_e32 v2, v2, v28, vcc
	v_lshl_add_u32 v1, v1, 23, v4
	v_lshl_or_b32 v1, v2, 21, v1
	v_add_u32_e32 v1, 0x38000000, v1
                                        ; implicit-def: $vgpr2
                                        ; implicit-def: $vgpr23
.LBB4_4795:                             ;   in Loop: Header=BB4_3167 Depth=4
	s_andn2_saveexec_b64 s[36:37], s[28:29]
; %bb.4796:                             ;   in Loop: Header=BB4_3167 Depth=4
	v_and_b32_e32 v1, 0x80, v23
	v_cmp_eq_u32_e32 vcc, 0, v2
	v_cmp_eq_u32_e64 s[28:29], 0, v1
	v_mov_b32_e32 v1, 0xff800000
	v_mov_b32_e32 v2, 0x7f800000
	v_cndmask_b32_e64 v1, v1, v2, s[28:29]
	v_mov_b32_e32 v2, 0x7f800001
	v_cndmask_b32_e32 v1, v2, v1, vcc
; %bb.4797:                             ;   in Loop: Header=BB4_3167 Depth=4
	s_or_b64 exec, exec, s[36:37]
.LBB4_4798:                             ;   in Loop: Header=BB4_3167 Depth=4
	s_or_b64 exec, exec, s[34:35]
.LBB4_4799:                             ;   in Loop: Header=BB4_3167 Depth=4
	s_or_b64 exec, exec, s[30:31]
	v_cmp_ne_u16_sdwa vcc, v9, v17 src0_sel:BYTE_0 src1_sel:DWORD
	s_and_saveexec_b64 s[28:29], vcc
	s_cbranch_execz .LBB4_4807
; %bb.4800:                             ;   in Loop: Header=BB4_3167 Depth=4
	v_cmp_ne_u16_sdwa vcc, v9, s96 src0_sel:BYTE_0 src1_sel:DWORD
	v_bfrev_b32_e32 v0, 1
	s_and_saveexec_b64 s[30:31], vcc
	s_cbranch_execz .LBB4_4806
; %bb.4801:                             ;   in Loop: Header=BB4_3167 Depth=4
	v_and_b32_e32 v0, 0x7c, v9
	v_and_b32_e32 v2, 3, v9
	v_cmp_ne_u32_e32 vcc, s85, v0
                                        ; implicit-def: $vgpr0
	s_and_saveexec_b64 s[34:35], vcc
	s_xor_b64 s[34:35], exec, s[34:35]
	s_cbranch_execz .LBB4_4803
; %bb.4802:                             ;   in Loop: Header=BB4_3167 Depth=4
	v_ffbh_u32_e32 v4, v2
	v_min_u32_e32 v4, 32, v4
	v_mov_b32_e32 v28, v9
	v_mov_b32_e32 v29, v17
	v_bfe_u32 v0, v9, 2, 5
	v_subrev_u32_e32 v23, 29, v4
	v_lshlrev_b64 v[28:29], v23, v[28:29]
	v_sub_u32_e32 v4, 30, v4
	v_cmp_eq_u32_e32 vcc, 0, v0
	v_cndmask_b32_e32 v0, v0, v4, vcc
	v_lshlrev_b32_e32 v4, 24, v9
	v_and_b32_e32 v23, 3, v28
	v_and_b32_e32 v4, 0x80000000, v4
	v_cndmask_b32_e32 v2, v2, v23, vcc
	v_lshl_add_u32 v0, v0, 23, v4
	v_lshl_or_b32 v0, v2, 21, v0
	v_add_u32_e32 v0, 0x38000000, v0
                                        ; implicit-def: $vgpr2
.LBB4_4803:                             ;   in Loop: Header=BB4_3167 Depth=4
	s_andn2_saveexec_b64 s[34:35], s[34:35]
; %bb.4804:                             ;   in Loop: Header=BB4_3167 Depth=4
	v_mov_b32_e32 v0, -1
	v_cmp_gt_i16_sdwa vcc, sext(v9), v0 src0_sel:BYTE_0 src1_sel:DWORD
	v_mov_b32_e32 v0, 0xff800000
	v_mov_b32_e32 v4, 0x7f800000
	v_cndmask_b32_e32 v0, v0, v4, vcc
	v_cmp_eq_u32_e32 vcc, 0, v2
	v_mov_b32_e32 v2, 0x7f800001
	v_cndmask_b32_e32 v0, v2, v0, vcc
; %bb.4805:                             ;   in Loop: Header=BB4_3167 Depth=4
	s_or_b64 exec, exec, s[34:35]
.LBB4_4806:                             ;   in Loop: Header=BB4_3167 Depth=4
	s_or_b64 exec, exec, s[30:31]
.LBB4_4807:                             ;   in Loop: Header=BB4_3167 Depth=4
	s_or_b64 exec, exec, s[28:29]
	v_add_f32_e32 v2, v1, v0
	v_and_b32_e32 v28, 0x7f800000, v2
	v_mov_b32_e32 v29, v17
	v_cmp_ne_u64_e32 vcc, s[76:77], v[28:29]
	v_and_b32_e32 v0, 0x7fffff, v2
	v_mov_b32_e32 v1, v17
                                        ; implicit-def: $vgpr23
	s_and_saveexec_b64 s[28:29], vcc
	s_xor_b64 s[30:31], exec, s[28:29]
	s_cbranch_execz .LBB4_4821
; %bb.4808:                             ;   in Loop: Header=BB4_3167 Depth=4
	v_and_b32_e32 v28, 0x7fffffff, v2
	v_mov_b32_e32 v29, v17
	v_cmp_gt_u64_e32 vcc, s[78:79], v[28:29]
	v_and_b32_sdwa v4, v2, s96 dst_sel:DWORD dst_unused:UNUSED_PAD src0_sel:BYTE_3 src1_sel:DWORD
                                        ; implicit-def: $vgpr23
	s_and_saveexec_b64 s[28:29], vcc
	s_xor_b64 s[34:35], exec, s[28:29]
	s_cbranch_execz .LBB4_4818
; %bb.4809:                             ;   in Loop: Header=BB4_3167 Depth=4
	v_mov_b32_e32 v23, 0
	v_cmp_ne_u32_e32 vcc, 0, v2
	s_and_saveexec_b64 s[36:37], vcc
	s_cbranch_execz .LBB4_4817
; %bb.4810:                             ;   in Loop: Header=BB4_3167 Depth=4
	v_bfe_u32 v23, v2, 23, 8
	v_cmp_gt_u32_e64 s[28:29], s46, v23
	v_sub_u32_e32 v2, 0x71, v23
	v_cmp_eq_u32_e32 vcc, 0, v23
	v_cndmask_b32_e64 v2, 0, v2, s[28:29]
	v_mov_b32_e32 v29, 0x70
	v_cndmask_b32_e32 v35, v2, v29, vcc
	v_or_b32_e32 v28, 0x800000, v0
	v_add_u32_e32 v2, 21, v35
	v_cndmask_b32_e32 v0, v28, v0, vcc
	v_lshlrev_b64 v[28:29], v2, -1
	v_add_u32_e32 v2, 20, v35
	v_bfi_b32 v28, v28, 0, v0
	v_lshlrev_b64 v[39:40], v2, 1
	v_lshrrev_b64 v[0:1], v35, v[0:1]
	v_bfi_b32 v29, v29, 0, 0
	v_cmp_eq_u64_e64 s[28:29], v[28:29], v[39:40]
	v_mov_b32_e32 v2, v1
	v_mov_b32_e32 v1, v0
	s_and_saveexec_b64 s[38:39], s[28:29]
; %bb.4811:                             ;   in Loop: Header=BB4_3167 Depth=4
	v_bfe_u32 v1, v0, 21, 1
	v_add_co_u32_e64 v1, s[28:29], v0, v1
	v_add_co_u32_e64 v1, s[28:29], -1, v1
; %bb.4812:                             ;   in Loop: Header=BB4_3167 Depth=4
	s_or_b64 exec, exec, s[38:39]
	v_add_u32_e32 v2, 0xffffff81, v23
	v_mov_b32_e32 v23, 0xffffff82
	v_cndmask_b32_e32 v2, v2, v23, vcc
	v_lshrrev_b32_e32 v23, 23, v0
	v_add3_u32 v35, v35, v2, v23
	v_add_u32_e32 v23, 14, v35
	v_and_b32_e32 v1, 0x1fffff, v1
	v_add_u32_e32 v0, v1, v0
	v_mov_b32_e32 v1, v17
	v_cmp_ne_u32_e32 vcc, 0, v23
                                        ; implicit-def: $vgpr2
	s_and_saveexec_b64 s[28:29], vcc
	s_xor_b64 s[28:29], exec, s[28:29]
; %bb.4813:                             ;   in Loop: Header=BB4_3167 Depth=4
	v_cmp_lt_u64_e32 vcc, s[88:89], v[0:1]
	v_add_u32_e32 v2, 15, v35
	v_cndmask_b32_e32 v2, v23, v2, vcc
	v_cndmask_b32_e64 v23, 0, 1, vcc
	v_lshrrev_b64 v[0:1], v23, v[0:1]
; %bb.4814:                             ;   in Loop: Header=BB4_3167 Depth=4
	s_andn2_saveexec_b64 s[28:29], s[28:29]
; %bb.4815:                             ;   in Loop: Header=BB4_3167 Depth=4
	v_bfe_u32 v2, v0, 23, 1
; %bb.4816:                             ;   in Loop: Header=BB4_3167 Depth=4
	s_or_b64 exec, exec, s[28:29]
	v_lshrrev_b64 v[0:1], 21, v[0:1]
	v_cmp_gt_i32_e32 vcc, 32, v2
	v_cndmask_b32_e32 v1, 0, v1, vcc
	v_cndmask_b32_e32 v0, 3, v0, vcc
	v_cmp_eq_u64_e64 s[28:29], 0, v[0:1]
	v_min_i32_e32 v1, 31, v2
	v_lshlrev_b32_e32 v1, 2, v1
	v_cmp_eq_u32_e32 vcc, 0, v2
	v_and_b32_e32 v1, 0xfc, v1
	v_and_or_b32 v0, v0, 3, v1
	s_and_b64 s[28:29], vcc, s[28:29]
	v_cndmask_b32_e64 v0, v0, 0, s[28:29]
	v_or_b32_e32 v23, v0, v4
.LBB4_4817:                             ;   in Loop: Header=BB4_3167 Depth=4
	s_or_b64 exec, exec, s[36:37]
                                        ; implicit-def: $vgpr4
.LBB4_4818:                             ;   in Loop: Header=BB4_3167 Depth=4
	s_andn2_saveexec_b64 s[28:29], s[34:35]
; %bb.4819:                             ;   in Loop: Header=BB4_3167 Depth=4
	v_or_b32_e32 v23, 0x7b, v4
; %bb.4820:                             ;   in Loop: Header=BB4_3167 Depth=4
	s_or_b64 exec, exec, s[28:29]
                                        ; implicit-def: $vgpr2
                                        ; implicit-def: $vgpr0_vgpr1
.LBB4_4821:                             ;   in Loop: Header=BB4_3167 Depth=4
	s_andn2_saveexec_b64 s[28:29], s[30:31]
	s_cbranch_execz .LBB4_4827
; %bb.4822:                             ;   in Loop: Header=BB4_3167 Depth=4
	v_cmp_ne_u64_e32 vcc, 0, v[0:1]
                                        ; implicit-def: $vgpr23
	s_and_saveexec_b64 s[30:31], vcc
	s_xor_b64 vcc, exec, s[30:31]
; %bb.4823:                             ;   in Loop: Header=BB4_3167 Depth=4
	v_or_b32_sdwa v23, v2, s47 dst_sel:DWORD dst_unused:UNUSED_PAD src0_sel:BYTE_3 src1_sel:DWORD
                                        ; implicit-def: $vgpr2
; %bb.4824:                             ;   in Loop: Header=BB4_3167 Depth=4
	s_andn2_saveexec_b64 s[30:31], vcc
; %bb.4825:                             ;   in Loop: Header=BB4_3167 Depth=4
	v_cmp_lt_i32_e32 vcc, -1, v2
	v_bfrev_b32_e32 v0, 0.5
	v_cndmask_b32_e32 v23, v0, v52, vcc
; %bb.4826:                             ;   in Loop: Header=BB4_3167 Depth=4
	s_or_b64 exec, exec, s[30:31]
.LBB4_4827:                             ;   in Loop: Header=BB4_3167 Depth=4
	s_or_b64 exec, exec, s[28:29]
	v_lshrrev_b16_e32 v0, 8, v31
	v_cmp_ne_u16_e32 vcc, 0, v0
	v_mov_b32_e32 v2, 0
	v_mov_b32_e32 v4, 0
	s_and_saveexec_b64 s[28:29], vcc
	s_cbranch_execz .LBB4_4835
; %bb.4828:                             ;   in Loop: Header=BB4_3167 Depth=4
	v_cmp_ne_u16_e32 vcc, s96, v0
	v_bfrev_b32_e32 v4, 1
	s_and_saveexec_b64 s[30:31], vcc
	s_cbranch_execz .LBB4_4834
; %bb.4829:                             ;   in Loop: Header=BB4_3167 Depth=4
	v_and_b32_e32 v1, 0x7c, v0
	v_and_b32_e32 v35, 3, v0
	v_cmp_ne_u32_e32 vcc, s85, v1
                                        ; implicit-def: $vgpr4
	s_and_saveexec_b64 s[34:35], vcc
	s_xor_b64 s[34:35], exec, s[34:35]
	s_cbranch_execz .LBB4_4831
; %bb.4830:                             ;   in Loop: Header=BB4_3167 Depth=4
	v_ffbh_u32_e32 v28, v35
	v_min_u32_e32 v28, 32, v28
	v_mov_b32_e32 v1, v17
	v_subrev_u32_e32 v29, 29, v28
	v_bfe_u32 v4, v0, 2, 5
	v_lshlrev_b64 v[0:1], v29, v[0:1]
	v_sub_u32_e32 v1, 30, v28
	v_cmp_eq_u32_e32 vcc, 0, v4
	v_cndmask_b32_e32 v1, v4, v1, vcc
	v_lshlrev_b32_e32 v4, 16, v31
	v_and_b32_e32 v0, 3, v0
	v_and_b32_e32 v4, 0x80000000, v4
	v_cndmask_b32_e32 v0, v35, v0, vcc
	v_lshl_add_u32 v1, v1, 23, v4
	v_lshl_or_b32 v0, v0, 21, v1
	v_add_u32_e32 v4, 0x38000000, v0
                                        ; implicit-def: $vgpr35
                                        ; implicit-def: $vgpr31
.LBB4_4831:                             ;   in Loop: Header=BB4_3167 Depth=4
	s_andn2_saveexec_b64 s[34:35], s[34:35]
; %bb.4832:                             ;   in Loop: Header=BB4_3167 Depth=4
	v_cmp_lt_i16_e32 vcc, -1, v31
	v_mov_b32_e32 v0, 0xff800000
	v_mov_b32_e32 v1, 0x7f800000
	v_cndmask_b32_e32 v0, v0, v1, vcc
	v_cmp_eq_u32_e32 vcc, 0, v35
	v_mov_b32_e32 v1, 0x7f800001
	v_cndmask_b32_e32 v4, v1, v0, vcc
; %bb.4833:                             ;   in Loop: Header=BB4_3167 Depth=4
	s_or_b64 exec, exec, s[34:35]
.LBB4_4834:                             ;   in Loop: Header=BB4_3167 Depth=4
	s_or_b64 exec, exec, s[30:31]
.LBB4_4835:                             ;   in Loop: Header=BB4_3167 Depth=4
	s_or_b64 exec, exec, s[28:29]
	v_lshrrev_b16_e32 v0, 8, v9
	v_cmp_ne_u16_e32 vcc, 0, v0
	s_and_saveexec_b64 s[28:29], vcc
	s_cbranch_execz .LBB4_4843
; %bb.4836:                             ;   in Loop: Header=BB4_3167 Depth=4
	v_cmp_ne_u16_e32 vcc, s96, v0
	v_bfrev_b32_e32 v2, 1
	s_and_saveexec_b64 s[30:31], vcc
	s_cbranch_execz .LBB4_4842
; %bb.4837:                             ;   in Loop: Header=BB4_3167 Depth=4
	v_and_b32_e32 v1, 0x7c, v0
	v_and_b32_e32 v31, 3, v0
	v_cmp_ne_u32_e32 vcc, s85, v1
                                        ; implicit-def: $vgpr2
	s_and_saveexec_b64 s[34:35], vcc
	s_xor_b64 s[34:35], exec, s[34:35]
	s_cbranch_execz .LBB4_4839
; %bb.4838:                             ;   in Loop: Header=BB4_3167 Depth=4
	v_ffbh_u32_e32 v28, v31
	v_min_u32_e32 v28, 32, v28
	v_mov_b32_e32 v1, v17
	v_subrev_u32_e32 v29, 29, v28
	v_bfe_u32 v2, v0, 2, 5
	v_lshlrev_b64 v[0:1], v29, v[0:1]
	v_sub_u32_e32 v1, 30, v28
	v_cmp_eq_u32_e32 vcc, 0, v2
	v_cndmask_b32_e32 v1, v2, v1, vcc
	v_lshlrev_b32_e32 v2, 16, v9
	v_and_b32_e32 v0, 3, v0
	v_and_b32_e32 v2, 0x80000000, v2
	v_cndmask_b32_e32 v0, v31, v0, vcc
	v_lshl_add_u32 v1, v1, 23, v2
	v_lshl_or_b32 v0, v0, 21, v1
	v_add_u32_e32 v2, 0x38000000, v0
                                        ; implicit-def: $vgpr31
.LBB4_4839:                             ;   in Loop: Header=BB4_3167 Depth=4
	s_andn2_saveexec_b64 s[34:35], s[34:35]
; %bb.4840:                             ;   in Loop: Header=BB4_3167 Depth=4
	v_cmp_lt_i16_e32 vcc, -1, v9
	v_mov_b32_e32 v0, 0xff800000
	v_mov_b32_e32 v1, 0x7f800000
	v_cndmask_b32_e32 v0, v0, v1, vcc
	v_cmp_eq_u32_e32 vcc, 0, v31
	v_mov_b32_e32 v1, 0x7f800001
	v_cndmask_b32_e32 v2, v1, v0, vcc
; %bb.4841:                             ;   in Loop: Header=BB4_3167 Depth=4
	s_or_b64 exec, exec, s[34:35]
.LBB4_4842:                             ;   in Loop: Header=BB4_3167 Depth=4
	s_or_b64 exec, exec, s[30:31]
.LBB4_4843:                             ;   in Loop: Header=BB4_3167 Depth=4
	s_or_b64 exec, exec, s[28:29]
	v_add_f32_e32 v2, v4, v2
	v_and_b32_e32 v28, 0x7f800000, v2
	v_mov_b32_e32 v29, v17
	v_cmp_ne_u64_e32 vcc, s[76:77], v[28:29]
	v_and_b32_e32 v0, 0x7fffff, v2
	v_mov_b32_e32 v1, v17
                                        ; implicit-def: $vgpr31
	s_and_saveexec_b64 s[28:29], vcc
	s_xor_b64 s[30:31], exec, s[28:29]
	s_cbranch_execz .LBB4_4857
; %bb.4844:                             ;   in Loop: Header=BB4_3167 Depth=4
	v_and_b32_e32 v28, 0x7fffffff, v2
	v_mov_b32_e32 v29, v17
	v_cmp_gt_u64_e32 vcc, s[78:79], v[28:29]
	v_and_b32_sdwa v4, v2, s96 dst_sel:DWORD dst_unused:UNUSED_PAD src0_sel:BYTE_3 src1_sel:DWORD
                                        ; implicit-def: $vgpr31
	s_and_saveexec_b64 s[28:29], vcc
	s_xor_b64 s[34:35], exec, s[28:29]
	s_cbranch_execz .LBB4_4854
; %bb.4845:                             ;   in Loop: Header=BB4_3167 Depth=4
	v_mov_b32_e32 v31, 0
	v_cmp_ne_u32_e32 vcc, 0, v2
	s_and_saveexec_b64 s[36:37], vcc
	s_cbranch_execz .LBB4_4853
; %bb.4846:                             ;   in Loop: Header=BB4_3167 Depth=4
	v_bfe_u32 v31, v2, 23, 8
	v_cmp_gt_u32_e64 s[28:29], s46, v31
	v_sub_u32_e32 v2, 0x71, v31
	v_cmp_eq_u32_e32 vcc, 0, v31
	v_cndmask_b32_e64 v2, 0, v2, s[28:29]
	v_mov_b32_e32 v29, 0x70
	v_cndmask_b32_e32 v35, v2, v29, vcc
	v_or_b32_e32 v28, 0x800000, v0
	v_add_u32_e32 v2, 21, v35
	v_cndmask_b32_e32 v0, v28, v0, vcc
	v_lshlrev_b64 v[28:29], v2, -1
	v_add_u32_e32 v2, 20, v35
	v_bfi_b32 v28, v28, 0, v0
	v_lshlrev_b64 v[39:40], v2, 1
	v_lshrrev_b64 v[0:1], v35, v[0:1]
	v_bfi_b32 v29, v29, 0, 0
	v_cmp_eq_u64_e64 s[28:29], v[28:29], v[39:40]
	v_mov_b32_e32 v2, v1
	v_mov_b32_e32 v1, v0
	s_and_saveexec_b64 s[38:39], s[28:29]
; %bb.4847:                             ;   in Loop: Header=BB4_3167 Depth=4
	v_bfe_u32 v1, v0, 21, 1
	v_add_co_u32_e64 v1, s[28:29], v0, v1
	v_add_co_u32_e64 v1, s[28:29], -1, v1
; %bb.4848:                             ;   in Loop: Header=BB4_3167 Depth=4
	s_or_b64 exec, exec, s[38:39]
	v_add_u32_e32 v2, 0xffffff81, v31
	v_mov_b32_e32 v28, 0xffffff82
	v_cndmask_b32_e32 v2, v2, v28, vcc
	v_lshrrev_b32_e32 v28, 23, v0
	v_add3_u32 v35, v35, v2, v28
	v_add_u32_e32 v31, 14, v35
	v_and_b32_e32 v1, 0x1fffff, v1
	v_add_u32_e32 v0, v1, v0
	v_mov_b32_e32 v1, v17
	v_cmp_ne_u32_e32 vcc, 0, v31
                                        ; implicit-def: $vgpr2
	s_and_saveexec_b64 s[28:29], vcc
	s_xor_b64 s[28:29], exec, s[28:29]
; %bb.4849:                             ;   in Loop: Header=BB4_3167 Depth=4
	v_cmp_lt_u64_e32 vcc, s[88:89], v[0:1]
	v_add_u32_e32 v2, 15, v35
	v_cndmask_b32_e64 v28, 0, 1, vcc
	v_lshrrev_b64 v[0:1], v28, v[0:1]
	v_cndmask_b32_e32 v2, v31, v2, vcc
; %bb.4850:                             ;   in Loop: Header=BB4_3167 Depth=4
	s_andn2_saveexec_b64 s[28:29], s[28:29]
; %bb.4851:                             ;   in Loop: Header=BB4_3167 Depth=4
	v_bfe_u32 v2, v0, 23, 1
; %bb.4852:                             ;   in Loop: Header=BB4_3167 Depth=4
	s_or_b64 exec, exec, s[28:29]
	v_lshrrev_b64 v[0:1], 21, v[0:1]
	v_cmp_gt_i32_e32 vcc, 32, v2
	v_cndmask_b32_e32 v1, 0, v1, vcc
	v_cndmask_b32_e32 v0, 3, v0, vcc
	v_cmp_eq_u64_e64 s[28:29], 0, v[0:1]
	v_min_i32_e32 v1, 31, v2
	v_lshlrev_b32_e32 v1, 2, v1
	v_cmp_eq_u32_e32 vcc, 0, v2
	v_and_b32_e32 v1, 0xfc, v1
	v_and_or_b32 v0, v0, 3, v1
	s_and_b64 s[28:29], vcc, s[28:29]
	v_cndmask_b32_e64 v0, v0, 0, s[28:29]
	v_or_b32_e32 v31, v0, v4
.LBB4_4853:                             ;   in Loop: Header=BB4_3167 Depth=4
	s_or_b64 exec, exec, s[36:37]
                                        ; implicit-def: $vgpr4
.LBB4_4854:                             ;   in Loop: Header=BB4_3167 Depth=4
	s_andn2_saveexec_b64 s[28:29], s[34:35]
; %bb.4855:                             ;   in Loop: Header=BB4_3167 Depth=4
	v_or_b32_e32 v31, 0x7b, v4
; %bb.4856:                             ;   in Loop: Header=BB4_3167 Depth=4
	s_or_b64 exec, exec, s[28:29]
                                        ; implicit-def: $vgpr2
                                        ; implicit-def: $vgpr0_vgpr1
.LBB4_4857:                             ;   in Loop: Header=BB4_3167 Depth=4
	s_andn2_saveexec_b64 s[28:29], s[30:31]
	s_cbranch_execz .LBB4_4863
; %bb.4858:                             ;   in Loop: Header=BB4_3167 Depth=4
	v_cmp_ne_u64_e32 vcc, 0, v[0:1]
                                        ; implicit-def: $vgpr31
	s_and_saveexec_b64 s[30:31], vcc
	s_xor_b64 vcc, exec, s[30:31]
; %bb.4859:                             ;   in Loop: Header=BB4_3167 Depth=4
	v_or_b32_sdwa v31, v2, s47 dst_sel:DWORD dst_unused:UNUSED_PAD src0_sel:BYTE_3 src1_sel:DWORD
                                        ; implicit-def: $vgpr2
; %bb.4860:                             ;   in Loop: Header=BB4_3167 Depth=4
	s_andn2_saveexec_b64 s[30:31], vcc
; %bb.4861:                             ;   in Loop: Header=BB4_3167 Depth=4
	v_cmp_lt_i32_e32 vcc, -1, v2
	v_bfrev_b32_e32 v0, 0.5
	v_cndmask_b32_e32 v31, v0, v52, vcc
; %bb.4862:                             ;   in Loop: Header=BB4_3167 Depth=4
	s_or_b64 exec, exec, s[30:31]
.LBB4_4863:                             ;   in Loop: Header=BB4_3167 Depth=4
	s_or_b64 exec, exec, s[28:29]
	v_and_b32_sdwa v4, v16, s87 dst_sel:DWORD dst_unused:UNUSED_PAD src0_sel:WORD_1 src1_sel:DWORD
	v_lshrrev_b32_e32 v0, 16, v16
	v_cmp_ne_u16_e32 vcc, 0, v4
	v_mov_b32_e32 v1, 0
	v_mov_b32_e32 v2, 0
	s_and_saveexec_b64 s[28:29], vcc
	s_cbranch_execz .LBB4_4871
; %bb.4864:                             ;   in Loop: Header=BB4_3167 Depth=4
	v_cmp_ne_u16_e32 vcc, s96, v4
	v_bfrev_b32_e32 v2, 1
	s_and_saveexec_b64 s[30:31], vcc
	s_cbranch_execz .LBB4_4870
; %bb.4865:                             ;   in Loop: Header=BB4_3167 Depth=4
	v_and_b32_e32 v2, 0x7c0000, v16
	v_bfe_u32 v4, v16, 16, 2
	v_cmp_ne_u32_e32 vcc, s44, v2
                                        ; implicit-def: $vgpr2
	s_and_saveexec_b64 s[34:35], vcc
	s_xor_b64 s[34:35], exec, s[34:35]
	s_cbranch_execz .LBB4_4867
; %bb.4866:                             ;   in Loop: Header=BB4_3167 Depth=4
	v_ffbh_u32_e32 v28, v4
	v_min_u32_e32 v35, 32, v28
	v_subrev_u32_e32 v28, 29, v35
	v_lshlrev_b64 v[28:29], v28, v[0:1]
	v_bfe_u32 v2, v16, 18, 5
	v_sub_u32_e32 v0, 30, v35
	v_and_b32_e32 v28, 3, v28
	v_cmp_eq_u32_e32 vcc, 0, v2
	v_cndmask_b32_e32 v0, v2, v0, vcc
	v_cndmask_b32_e32 v2, v4, v28, vcc
	v_lshlrev_b32_e32 v4, 8, v16
	v_and_b32_e32 v4, 0x80000000, v4
	v_lshl_add_u32 v0, v0, 23, v4
	v_lshl_or_b32 v0, v2, 21, v0
	v_add_u32_e32 v2, 0x38000000, v0
                                        ; implicit-def: $vgpr4
                                        ; implicit-def: $vgpr0
.LBB4_4867:                             ;   in Loop: Header=BB4_3167 Depth=4
	s_andn2_saveexec_b64 s[34:35], s[34:35]
; %bb.4868:                             ;   in Loop: Header=BB4_3167 Depth=4
	v_mov_b32_e32 v2, -1
	v_cmp_gt_i16_sdwa vcc, sext(v0), v2 src0_sel:BYTE_0 src1_sel:DWORD
	v_mov_b32_e32 v0, 0xff800000
	v_mov_b32_e32 v2, 0x7f800000
	v_cndmask_b32_e32 v0, v0, v2, vcc
	v_cmp_eq_u32_e32 vcc, 0, v4
	v_mov_b32_e32 v2, 0x7f800001
	v_cndmask_b32_e32 v2, v2, v0, vcc
; %bb.4869:                             ;   in Loop: Header=BB4_3167 Depth=4
	s_or_b64 exec, exec, s[34:35]
.LBB4_4870:                             ;   in Loop: Header=BB4_3167 Depth=4
	s_or_b64 exec, exec, s[30:31]
.LBB4_4871:                             ;   in Loop: Header=BB4_3167 Depth=4
	s_or_b64 exec, exec, s[28:29]
	v_lshrrev_b32_e32 v0, 16, v9
	v_cmp_ne_u16_sdwa vcc, v0, v17 src0_sel:BYTE_0 src1_sel:DWORD
	s_and_saveexec_b64 s[28:29], vcc
	s_cbranch_execz .LBB4_4879
; %bb.4872:                             ;   in Loop: Header=BB4_3167 Depth=4
	v_cmp_ne_u16_sdwa vcc, v0, s96 src0_sel:BYTE_0 src1_sel:DWORD
	v_bfrev_b32_e32 v1, 1
	s_and_saveexec_b64 s[30:31], vcc
	s_cbranch_execz .LBB4_4878
; %bb.4873:                             ;   in Loop: Header=BB4_3167 Depth=4
	v_and_b32_e32 v1, 0x7c0000, v9
	v_bfe_u32 v4, v9, 16, 2
	v_cmp_ne_u32_e32 vcc, s44, v1
                                        ; implicit-def: $vgpr1
	s_and_saveexec_b64 s[34:35], vcc
	s_xor_b64 s[34:35], exec, s[34:35]
	s_cbranch_execz .LBB4_4875
; %bb.4874:                             ;   in Loop: Header=BB4_3167 Depth=4
	v_ffbh_u32_e32 v1, v4
	v_min_u32_e32 v29, 32, v1
	v_subrev_u32_e32 v1, 29, v29
	v_lshlrev_b64 v[0:1], v1, v[0:1]
	v_bfe_u32 v28, v9, 18, 5
	v_and_b32_e32 v0, 3, v0
	v_cmp_eq_u32_e32 vcc, 0, v28
	v_sub_u32_e32 v1, 30, v29
	v_cndmask_b32_e32 v0, v4, v0, vcc
	v_lshlrev_b32_e32 v4, 8, v9
	v_cndmask_b32_e32 v1, v28, v1, vcc
	v_and_b32_e32 v4, 0x80000000, v4
	v_lshl_add_u32 v1, v1, 23, v4
	v_lshl_or_b32 v0, v0, 21, v1
	v_add_u32_e32 v1, 0x38000000, v0
                                        ; implicit-def: $vgpr4
                                        ; implicit-def: $vgpr0
.LBB4_4875:                             ;   in Loop: Header=BB4_3167 Depth=4
	s_andn2_saveexec_b64 s[34:35], s[34:35]
; %bb.4876:                             ;   in Loop: Header=BB4_3167 Depth=4
	v_mov_b32_e32 v1, -1
	v_cmp_gt_i16_sdwa vcc, sext(v0), v1 src0_sel:BYTE_0 src1_sel:DWORD
	v_mov_b32_e32 v0, 0xff800000
	v_mov_b32_e32 v1, 0x7f800000
	v_cndmask_b32_e32 v0, v0, v1, vcc
	v_cmp_eq_u32_e32 vcc, 0, v4
	v_mov_b32_e32 v1, 0x7f800001
	v_cndmask_b32_e32 v1, v1, v0, vcc
; %bb.4877:                             ;   in Loop: Header=BB4_3167 Depth=4
	s_or_b64 exec, exec, s[34:35]
.LBB4_4878:                             ;   in Loop: Header=BB4_3167 Depth=4
	s_or_b64 exec, exec, s[30:31]
.LBB4_4879:                             ;   in Loop: Header=BB4_3167 Depth=4
	s_or_b64 exec, exec, s[28:29]
	v_add_f32_e32 v2, v2, v1
	v_and_b32_e32 v28, 0x7f800000, v2
	v_mov_b32_e32 v29, v17
	v_cmp_ne_u64_e32 vcc, s[76:77], v[28:29]
	v_and_b32_e32 v0, 0x7fffff, v2
	v_mov_b32_e32 v1, v17
                                        ; implicit-def: $vgpr35
	s_and_saveexec_b64 s[28:29], vcc
	s_xor_b64 s[30:31], exec, s[28:29]
	s_cbranch_execz .LBB4_4893
; %bb.4880:                             ;   in Loop: Header=BB4_3167 Depth=4
	v_and_b32_e32 v28, 0x7fffffff, v2
	v_mov_b32_e32 v29, v17
	v_cmp_gt_u64_e32 vcc, s[78:79], v[28:29]
	v_and_b32_sdwa v4, v2, s96 dst_sel:DWORD dst_unused:UNUSED_PAD src0_sel:BYTE_3 src1_sel:DWORD
                                        ; implicit-def: $vgpr35
	s_and_saveexec_b64 s[28:29], vcc
	s_xor_b64 s[34:35], exec, s[28:29]
	s_cbranch_execz .LBB4_4890
; %bb.4881:                             ;   in Loop: Header=BB4_3167 Depth=4
	v_mov_b32_e32 v35, 0
	v_cmp_ne_u32_e32 vcc, 0, v2
	s_and_saveexec_b64 s[36:37], vcc
	s_cbranch_execz .LBB4_4889
; %bb.4882:                             ;   in Loop: Header=BB4_3167 Depth=4
	v_bfe_u32 v35, v2, 23, 8
	v_cmp_gt_u32_e64 s[28:29], s46, v35
	v_sub_u32_e32 v2, 0x71, v35
	v_cmp_eq_u32_e32 vcc, 0, v35
	v_cndmask_b32_e64 v2, 0, v2, s[28:29]
	v_mov_b32_e32 v29, 0x70
	v_cndmask_b32_e32 v39, v2, v29, vcc
	v_or_b32_e32 v28, 0x800000, v0
	v_add_u32_e32 v2, 21, v39
	v_cndmask_b32_e32 v0, v28, v0, vcc
	v_lshlrev_b64 v[28:29], v2, -1
	v_add_u32_e32 v2, 20, v39
	v_bfi_b32 v28, v28, 0, v0
	v_lshlrev_b64 v[40:41], v2, 1
	v_lshrrev_b64 v[0:1], v39, v[0:1]
	v_bfi_b32 v29, v29, 0, 0
	v_cmp_eq_u64_e64 s[28:29], v[28:29], v[40:41]
	v_mov_b32_e32 v2, v1
	v_mov_b32_e32 v1, v0
	s_and_saveexec_b64 s[38:39], s[28:29]
; %bb.4883:                             ;   in Loop: Header=BB4_3167 Depth=4
	v_bfe_u32 v1, v0, 21, 1
	v_add_co_u32_e64 v1, s[28:29], v0, v1
	v_add_co_u32_e64 v1, s[28:29], -1, v1
; %bb.4884:                             ;   in Loop: Header=BB4_3167 Depth=4
	s_or_b64 exec, exec, s[38:39]
	v_add_u32_e32 v2, 0xffffff81, v35
	v_mov_b32_e32 v28, 0xffffff82
	v_cndmask_b32_e32 v2, v2, v28, vcc
	v_lshrrev_b32_e32 v28, 23, v0
	v_add3_u32 v39, v39, v2, v28
	v_add_u32_e32 v35, 14, v39
	v_and_b32_e32 v1, 0x1fffff, v1
	v_add_u32_e32 v0, v1, v0
	v_mov_b32_e32 v1, v17
	v_cmp_ne_u32_e32 vcc, 0, v35
                                        ; implicit-def: $vgpr2
	s_and_saveexec_b64 s[28:29], vcc
	s_xor_b64 s[28:29], exec, s[28:29]
; %bb.4885:                             ;   in Loop: Header=BB4_3167 Depth=4
	v_cmp_lt_u64_e32 vcc, s[88:89], v[0:1]
	v_add_u32_e32 v2, 15, v39
	v_cndmask_b32_e64 v28, 0, 1, vcc
	v_lshrrev_b64 v[0:1], v28, v[0:1]
	v_cndmask_b32_e32 v2, v35, v2, vcc
; %bb.4886:                             ;   in Loop: Header=BB4_3167 Depth=4
	s_andn2_saveexec_b64 s[28:29], s[28:29]
; %bb.4887:                             ;   in Loop: Header=BB4_3167 Depth=4
	v_bfe_u32 v2, v0, 23, 1
; %bb.4888:                             ;   in Loop: Header=BB4_3167 Depth=4
	s_or_b64 exec, exec, s[28:29]
	v_lshrrev_b64 v[0:1], 21, v[0:1]
	v_cmp_gt_i32_e32 vcc, 32, v2
	v_cndmask_b32_e32 v1, 0, v1, vcc
	v_cndmask_b32_e32 v0, 3, v0, vcc
	v_cmp_eq_u64_e64 s[28:29], 0, v[0:1]
	v_min_i32_e32 v1, 31, v2
	v_lshlrev_b32_e32 v1, 2, v1
	v_cmp_eq_u32_e32 vcc, 0, v2
	v_and_b32_e32 v1, 0xfc, v1
	v_and_or_b32 v0, v0, 3, v1
	s_and_b64 s[28:29], vcc, s[28:29]
	v_cndmask_b32_e64 v0, v0, 0, s[28:29]
	v_or_b32_e32 v35, v0, v4
.LBB4_4889:                             ;   in Loop: Header=BB4_3167 Depth=4
	s_or_b64 exec, exec, s[36:37]
                                        ; implicit-def: $vgpr4
.LBB4_4890:                             ;   in Loop: Header=BB4_3167 Depth=4
	s_andn2_saveexec_b64 s[28:29], s[34:35]
; %bb.4891:                             ;   in Loop: Header=BB4_3167 Depth=4
	v_or_b32_e32 v35, 0x7b, v4
; %bb.4892:                             ;   in Loop: Header=BB4_3167 Depth=4
	s_or_b64 exec, exec, s[28:29]
                                        ; implicit-def: $vgpr2
                                        ; implicit-def: $vgpr0_vgpr1
.LBB4_4893:                             ;   in Loop: Header=BB4_3167 Depth=4
	s_andn2_saveexec_b64 s[28:29], s[30:31]
	s_cbranch_execz .LBB4_4899
; %bb.4894:                             ;   in Loop: Header=BB4_3167 Depth=4
	v_cmp_ne_u64_e32 vcc, 0, v[0:1]
                                        ; implicit-def: $vgpr35
	s_and_saveexec_b64 s[30:31], vcc
	s_xor_b64 vcc, exec, s[30:31]
; %bb.4895:                             ;   in Loop: Header=BB4_3167 Depth=4
	v_or_b32_sdwa v35, v2, s47 dst_sel:DWORD dst_unused:UNUSED_PAD src0_sel:BYTE_3 src1_sel:DWORD
                                        ; implicit-def: $vgpr2
; %bb.4896:                             ;   in Loop: Header=BB4_3167 Depth=4
	s_andn2_saveexec_b64 s[30:31], vcc
; %bb.4897:                             ;   in Loop: Header=BB4_3167 Depth=4
	v_cmp_lt_i32_e32 vcc, -1, v2
	v_bfrev_b32_e32 v0, 0.5
	v_cndmask_b32_e32 v35, v0, v52, vcc
; %bb.4898:                             ;   in Loop: Header=BB4_3167 Depth=4
	s_or_b64 exec, exec, s[30:31]
.LBB4_4899:                             ;   in Loop: Header=BB4_3167 Depth=4
	s_or_b64 exec, exec, s[28:29]
	v_cmp_lt_u32_e32 vcc, s57, v16
	v_mov_b32_e32 v1, 0
	v_mov_b32_e32 v2, 0
	s_and_saveexec_b64 s[28:29], vcc
	s_cbranch_execz .LBB4_4907
; %bb.4900:                             ;   in Loop: Header=BB4_3167 Depth=4
	v_lshrrev_b32_e32 v0, 24, v16
	v_cmp_ne_u32_e32 vcc, s96, v0
	v_bfrev_b32_e32 v2, 1
	s_and_saveexec_b64 s[30:31], vcc
	s_cbranch_execz .LBB4_4906
; %bb.4901:                             ;   in Loop: Header=BB4_3167 Depth=4
	v_and_b32_e32 v2, 0x7c000000, v16
	v_bfe_u32 v4, v16, 24, 2
	v_cmp_ne_u32_e32 vcc, s45, v2
                                        ; implicit-def: $vgpr2
	s_and_saveexec_b64 s[34:35], vcc
	s_xor_b64 s[34:35], exec, s[34:35]
	s_cbranch_execz .LBB4_4903
; %bb.4902:                             ;   in Loop: Header=BB4_3167 Depth=4
	v_ffbh_u32_e32 v28, v4
	v_min_u32_e32 v39, 32, v28
	v_subrev_u32_e32 v28, 29, v39
	v_lshlrev_b64 v[28:29], v28, v[0:1]
	v_bfe_u32 v2, v16, 26, 5
	v_sub_u32_e32 v0, 30, v39
	v_and_b32_e32 v28, 3, v28
	v_cmp_eq_u32_e32 vcc, 0, v2
	v_cndmask_b32_e32 v0, v2, v0, vcc
	v_cndmask_b32_e32 v2, v4, v28, vcc
	v_and_b32_e32 v4, 0x80000000, v16
	v_lshl_add_u32 v0, v0, 23, v4
	v_lshl_or_b32 v0, v2, 21, v0
	v_add_u32_e32 v2, 0x38000000, v0
                                        ; implicit-def: $vgpr4
.LBB4_4903:                             ;   in Loop: Header=BB4_3167 Depth=4
	s_andn2_saveexec_b64 s[34:35], s[34:35]
; %bb.4904:                             ;   in Loop: Header=BB4_3167 Depth=4
	v_cmp_lt_i32_e32 vcc, -1, v16
	v_mov_b32_e32 v0, 0xff800000
	v_mov_b32_e32 v2, 0x7f800000
	v_cndmask_b32_e32 v0, v0, v2, vcc
	v_cmp_eq_u32_e32 vcc, 0, v4
	v_mov_b32_e32 v2, 0x7f800001
	v_cndmask_b32_e32 v2, v2, v0, vcc
; %bb.4905:                             ;   in Loop: Header=BB4_3167 Depth=4
	s_or_b64 exec, exec, s[34:35]
.LBB4_4906:                             ;   in Loop: Header=BB4_3167 Depth=4
	s_or_b64 exec, exec, s[30:31]
.LBB4_4907:                             ;   in Loop: Header=BB4_3167 Depth=4
	s_or_b64 exec, exec, s[28:29]
	v_cmp_lt_u64_e32 vcc, s[56:57], v[8:9]
	s_and_saveexec_b64 s[28:29], vcc
	s_cbranch_execz .LBB4_4915
; %bb.4908:                             ;   in Loop: Header=BB4_3167 Depth=4
	v_lshrrev_b32_e32 v0, 24, v9
	v_cmp_ne_u32_e32 vcc, s96, v0
	v_bfrev_b32_e32 v1, 1
	s_and_saveexec_b64 s[30:31], vcc
	s_cbranch_execz .LBB4_4914
; %bb.4909:                             ;   in Loop: Header=BB4_3167 Depth=4
	v_and_b32_e32 v1, 0x7c000000, v9
	v_bfe_u32 v4, v9, 24, 2
	v_cmp_ne_u32_e32 vcc, s45, v1
                                        ; implicit-def: $vgpr1
	s_and_saveexec_b64 s[34:35], vcc
	s_xor_b64 s[34:35], exec, s[34:35]
	s_cbranch_execz .LBB4_4911
; %bb.4910:                             ;   in Loop: Header=BB4_3167 Depth=4
	v_ffbh_u32_e32 v1, v4
	v_min_u32_e32 v28, 32, v1
	v_subrev_u32_e32 v1, 29, v28
	v_lshlrev_b64 v[0:1], v1, v[0:1]
	v_bfe_u32 v16, v9, 26, 5
	v_sub_u32_e32 v1, 30, v28
	v_and_b32_e32 v0, 3, v0
	v_cmp_eq_u32_e32 vcc, 0, v16
	v_cndmask_b32_e32 v1, v16, v1, vcc
	v_cndmask_b32_e32 v0, v4, v0, vcc
	v_and_b32_e32 v4, 0x80000000, v9
	v_lshl_add_u32 v1, v1, 23, v4
	v_lshl_or_b32 v0, v0, 21, v1
	v_add_u32_e32 v1, 0x38000000, v0
                                        ; implicit-def: $vgpr4
.LBB4_4911:                             ;   in Loop: Header=BB4_3167 Depth=4
	s_andn2_saveexec_b64 s[34:35], s[34:35]
; %bb.4912:                             ;   in Loop: Header=BB4_3167 Depth=4
	v_cmp_lt_i64_e32 vcc, -1, v[8:9]
	v_mov_b32_e32 v0, 0xff800000
	v_mov_b32_e32 v1, 0x7f800000
	v_cndmask_b32_e32 v0, v0, v1, vcc
	v_cmp_eq_u32_e32 vcc, 0, v4
	v_mov_b32_e32 v1, 0x7f800001
	v_cndmask_b32_e32 v1, v1, v0, vcc
; %bb.4913:                             ;   in Loop: Header=BB4_3167 Depth=4
	s_or_b64 exec, exec, s[34:35]
.LBB4_4914:                             ;   in Loop: Header=BB4_3167 Depth=4
	s_or_b64 exec, exec, s[30:31]
.LBB4_4915:                             ;   in Loop: Header=BB4_3167 Depth=4
	s_or_b64 exec, exec, s[28:29]
	v_add_f32_e32 v0, v2, v1
	v_and_b32_e32 v1, 0x7f800000, v0
	v_mov_b32_e32 v2, v17
	v_cmp_ne_u64_e32 vcc, s[76:77], v[1:2]
	v_and_b32_e32 v16, 0x7fffff, v0
                                        ; implicit-def: $vgpr8
	s_and_saveexec_b64 s[28:29], vcc
	s_xor_b64 s[30:31], exec, s[28:29]
	s_cbranch_execz .LBB4_4929
; %bb.4916:                             ;   in Loop: Header=BB4_3167 Depth=4
	v_and_b32_e32 v1, 0x7fffffff, v0
	v_mov_b32_e32 v2, v17
	v_cmp_gt_u64_e32 vcc, s[78:79], v[1:2]
	v_and_b32_sdwa v4, v0, s96 dst_sel:DWORD dst_unused:UNUSED_PAD src0_sel:BYTE_3 src1_sel:DWORD
                                        ; implicit-def: $vgpr8
	s_and_saveexec_b64 s[28:29], vcc
	s_xor_b64 s[34:35], exec, s[28:29]
	s_cbranch_execz .LBB4_4926
; %bb.4917:                             ;   in Loop: Header=BB4_3167 Depth=4
	v_mov_b32_e32 v8, 0
	v_cmp_ne_u32_e32 vcc, 0, v0
	s_and_saveexec_b64 s[36:37], vcc
	s_cbranch_execz .LBB4_4925
; %bb.4918:                             ;   in Loop: Header=BB4_3167 Depth=4
	v_bfe_u32 v8, v0, 23, 8
	v_cmp_gt_u32_e64 s[28:29], s46, v8
	v_sub_u32_e32 v0, 0x71, v8
	v_cmp_eq_u32_e32 vcc, 0, v8
	v_cndmask_b32_e64 v0, 0, v0, s[28:29]
	v_mov_b32_e32 v2, 0x70
	v_cndmask_b32_e32 v9, v0, v2, vcc
	v_add_u32_e32 v2, 21, v9
	v_or_b32_e32 v1, 0x800000, v16
	v_lshlrev_b64 v[28:29], v2, -1
	v_cndmask_b32_e32 v0, v1, v16, vcc
	v_mov_b32_e32 v1, v17
	v_add_u32_e32 v2, 20, v9
	v_bfi_b32 v28, v28, 0, v0
	v_lshlrev_b64 v[39:40], v2, 1
	v_lshrrev_b64 v[0:1], v9, v[0:1]
	v_bfi_b32 v29, v29, 0, 0
	v_cmp_eq_u64_e64 s[28:29], v[28:29], v[39:40]
	v_mov_b32_e32 v2, v1
	v_mov_b32_e32 v1, v0
	s_and_saveexec_b64 s[38:39], s[28:29]
; %bb.4919:                             ;   in Loop: Header=BB4_3167 Depth=4
	v_bfe_u32 v1, v0, 21, 1
	v_add_co_u32_e64 v1, s[28:29], v0, v1
	v_add_co_u32_e64 v1, s[28:29], -1, v1
; %bb.4920:                             ;   in Loop: Header=BB4_3167 Depth=4
	s_or_b64 exec, exec, s[38:39]
	v_add_u32_e32 v2, 0xffffff81, v8
	v_mov_b32_e32 v8, 0xffffff82
	v_cndmask_b32_e32 v2, v2, v8, vcc
	v_lshrrev_b32_e32 v8, 23, v0
	v_add3_u32 v9, v9, v2, v8
	v_add_u32_e32 v8, 14, v9
	v_and_b32_e32 v1, 0x1fffff, v1
	v_add_u32_e32 v16, v1, v0
	v_cmp_ne_u32_e32 vcc, 0, v8
                                        ; implicit-def: $vgpr0_vgpr1
                                        ; implicit-def: $vgpr2
	s_and_saveexec_b64 s[28:29], vcc
	s_xor_b64 s[28:29], exec, s[28:29]
; %bb.4921:                             ;   in Loop: Header=BB4_3167 Depth=4
	v_cmp_lt_u64_e32 vcc, s[88:89], v[16:17]
	v_add_u32_e32 v0, 15, v9
	v_cndmask_b32_e32 v2, v8, v0, vcc
	v_cndmask_b32_e64 v0, 0, 1, vcc
	v_lshrrev_b64 v[0:1], v0, v[16:17]
; %bb.4922:                             ;   in Loop: Header=BB4_3167 Depth=4
	s_andn2_saveexec_b64 s[28:29], s[28:29]
; %bb.4923:                             ;   in Loop: Header=BB4_3167 Depth=4
	v_mov_b32_e32 v0, v16
	v_mov_b32_e32 v1, v17
	v_bfe_u32 v2, v16, 23, 1
; %bb.4924:                             ;   in Loop: Header=BB4_3167 Depth=4
	s_or_b64 exec, exec, s[28:29]
	v_lshrrev_b64 v[0:1], 21, v[0:1]
	v_cmp_gt_i32_e32 vcc, 32, v2
	v_cndmask_b32_e32 v1, 0, v1, vcc
	v_cndmask_b32_e32 v0, 3, v0, vcc
	v_cmp_eq_u64_e64 s[28:29], 0, v[0:1]
	v_min_i32_e32 v1, 31, v2
	v_lshlrev_b32_e32 v1, 2, v1
	v_cmp_eq_u32_e32 vcc, 0, v2
	v_and_b32_e32 v1, 0xfc, v1
	v_and_or_b32 v0, v0, 3, v1
	s_and_b64 s[28:29], vcc, s[28:29]
	v_cndmask_b32_e64 v0, v0, 0, s[28:29]
	v_or_b32_e32 v8, v0, v4
.LBB4_4925:                             ;   in Loop: Header=BB4_3167 Depth=4
	s_or_b64 exec, exec, s[36:37]
                                        ; implicit-def: $vgpr4
.LBB4_4926:                             ;   in Loop: Header=BB4_3167 Depth=4
	s_andn2_saveexec_b64 s[28:29], s[34:35]
; %bb.4927:                             ;   in Loop: Header=BB4_3167 Depth=4
	v_or_b32_e32 v8, 0x7b, v4
; %bb.4928:                             ;   in Loop: Header=BB4_3167 Depth=4
	s_or_b64 exec, exec, s[28:29]
                                        ; implicit-def: $vgpr0
.LBB4_4929:                             ;   in Loop: Header=BB4_3167 Depth=4
	s_andn2_saveexec_b64 s[28:29], s[30:31]
	s_cbranch_execz .LBB4_4935
; %bb.4930:                             ;   in Loop: Header=BB4_3167 Depth=4
	v_cmp_ne_u64_e32 vcc, 0, v[16:17]
                                        ; implicit-def: $vgpr8
	s_and_saveexec_b64 s[30:31], vcc
	s_xor_b64 vcc, exec, s[30:31]
; %bb.4931:                             ;   in Loop: Header=BB4_3167 Depth=4
	v_or_b32_sdwa v8, v0, s47 dst_sel:DWORD dst_unused:UNUSED_PAD src0_sel:BYTE_3 src1_sel:DWORD
                                        ; implicit-def: $vgpr0
; %bb.4932:                             ;   in Loop: Header=BB4_3167 Depth=4
	s_andn2_saveexec_b64 s[30:31], vcc
; %bb.4933:                             ;   in Loop: Header=BB4_3167 Depth=4
	v_cmp_lt_i32_e32 vcc, -1, v0
	v_bfrev_b32_e32 v0, 0.5
	v_cndmask_b32_e32 v8, v0, v52, vcc
; %bb.4934:                             ;   in Loop: Header=BB4_3167 Depth=4
	s_or_b64 exec, exec, s[30:31]
.LBB4_4935:                             ;   in Loop: Header=BB4_3167 Depth=4
	s_or_b64 exec, exec, s[28:29]
	v_lshl_or_b32 v25, v25, 8, v19
	v_lshlrev_b32_e32 v0, 16, v27
	v_lshlrev_b32_e32 v1, 24, v34
	v_or3_b32 v16, v0, v1, v25
	v_cmp_ne_u32_e32 vcc, 0, v19
	v_mov_b32_e32 v0, 0
	v_mov_b32_e32 v1, 0
	s_and_saveexec_b64 s[30:31], vcc
	s_cbranch_execz .LBB4_4943
; %bb.4936:                             ;   in Loop: Header=BB4_3167 Depth=4
	v_cmp_ne_u32_e32 vcc, s96, v19
	v_bfrev_b32_e32 v1, 1
	s_and_saveexec_b64 s[34:35], vcc
	s_cbranch_execz .LBB4_4942
; %bb.4937:                             ;   in Loop: Header=BB4_3167 Depth=4
	v_and_b32_e32 v1, 0x7c, v19
	v_and_b32_e32 v2, 3, v19
	v_cmp_ne_u32_e32 vcc, s85, v1
                                        ; implicit-def: $vgpr1
	s_and_saveexec_b64 s[28:29], vcc
	s_xor_b64 s[28:29], exec, s[28:29]
	s_cbranch_execz .LBB4_4939
; %bb.4938:                             ;   in Loop: Header=BB4_3167 Depth=4
	v_ffbh_u32_e32 v4, v2
	v_min_u32_e32 v4, 32, v4
	v_bfe_u32 v1, v19, 2, 5
	v_subrev_u32_e32 v9, 29, v4
	v_lshlrev_b64 v[27:28], v9, v[16:17]
	v_sub_u32_e32 v4, 30, v4
	v_cmp_eq_u32_e32 vcc, 0, v1
	v_cndmask_b32_e32 v1, v1, v4, vcc
	v_lshlrev_b32_e32 v4, 24, v19
	v_and_b32_e32 v9, 3, v27
	v_and_b32_e32 v4, 0x80000000, v4
	v_cndmask_b32_e32 v2, v2, v9, vcc
	v_lshl_add_u32 v1, v1, 23, v4
	v_lshl_or_b32 v1, v2, 21, v1
	v_add_u32_e32 v1, 0x38000000, v1
                                        ; implicit-def: $vgpr2
                                        ; implicit-def: $vgpr19
.LBB4_4939:                             ;   in Loop: Header=BB4_3167 Depth=4
	s_andn2_saveexec_b64 s[36:37], s[28:29]
; %bb.4940:                             ;   in Loop: Header=BB4_3167 Depth=4
	v_and_b32_e32 v1, 0x80, v19
	v_cmp_eq_u32_e32 vcc, 0, v2
	v_cmp_eq_u32_e64 s[28:29], 0, v1
	v_mov_b32_e32 v1, 0xff800000
	v_mov_b32_e32 v2, 0x7f800000
	v_cndmask_b32_e64 v1, v1, v2, s[28:29]
	v_mov_b32_e32 v2, 0x7f800001
	v_cndmask_b32_e32 v1, v2, v1, vcc
; %bb.4941:                             ;   in Loop: Header=BB4_3167 Depth=4
	s_or_b64 exec, exec, s[36:37]
.LBB4_4942:                             ;   in Loop: Header=BB4_3167 Depth=4
	s_or_b64 exec, exec, s[34:35]
.LBB4_4943:                             ;   in Loop: Header=BB4_3167 Depth=4
	s_or_b64 exec, exec, s[30:31]
	v_cmp_ne_u16_sdwa vcc, v10, v17 src0_sel:BYTE_0 src1_sel:DWORD
	s_and_saveexec_b64 s[28:29], vcc
	s_cbranch_execz .LBB4_4951
; %bb.4944:                             ;   in Loop: Header=BB4_3167 Depth=4
	v_cmp_ne_u16_sdwa vcc, sext(v10), s97 src0_sel:BYTE_0 src1_sel:DWORD
	v_bfrev_b32_e32 v0, 1
	s_and_saveexec_b64 s[30:31], vcc
	s_cbranch_execz .LBB4_4950
; %bb.4945:                             ;   in Loop: Header=BB4_3167 Depth=4
	v_and_b32_e32 v0, 0x7c, v10
	v_and_b32_e32 v2, 3, v10
	v_cmp_ne_u32_e32 vcc, s85, v0
                                        ; implicit-def: $vgpr0
	s_and_saveexec_b64 s[34:35], vcc
	s_xor_b64 s[34:35], exec, s[34:35]
	s_cbranch_execz .LBB4_4947
; %bb.4946:                             ;   in Loop: Header=BB4_3167 Depth=4
	v_ffbh_u32_e32 v4, v2
	v_min_u32_e32 v4, 32, v4
	v_bfe_u32 v0, v10, 2, 5
	v_subrev_u32_e32 v9, 29, v4
	v_lshlrev_b64 v[27:28], v9, v[10:11]
	v_sub_u32_e32 v4, 30, v4
	v_cmp_eq_u32_e32 vcc, 0, v0
	v_cndmask_b32_e32 v0, v0, v4, vcc
	v_lshlrev_b32_e32 v4, 24, v10
	v_and_b32_e32 v9, 3, v27
	v_and_b32_e32 v4, 0x80000000, v4
	v_cndmask_b32_e32 v2, v2, v9, vcc
	v_lshl_add_u32 v0, v0, 23, v4
	v_lshl_or_b32 v0, v2, 21, v0
	v_add_u32_e32 v0, 0x38000000, v0
                                        ; implicit-def: $vgpr2
.LBB4_4947:                             ;   in Loop: Header=BB4_3167 Depth=4
	s_andn2_saveexec_b64 s[34:35], s[34:35]
; %bb.4948:                             ;   in Loop: Header=BB4_3167 Depth=4
	v_mov_b32_e32 v0, -1
	v_cmp_gt_i16_sdwa vcc, sext(v10), v0 src0_sel:BYTE_0 src1_sel:DWORD
	v_mov_b32_e32 v0, 0xff800000
	v_mov_b32_e32 v4, 0x7f800000
	v_cndmask_b32_e32 v0, v0, v4, vcc
	v_cmp_eq_u32_e32 vcc, 0, v2
	v_mov_b32_e32 v2, 0x7f800001
	v_cndmask_b32_e32 v0, v2, v0, vcc
; %bb.4949:                             ;   in Loop: Header=BB4_3167 Depth=4
	s_or_b64 exec, exec, s[34:35]
.LBB4_4950:                             ;   in Loop: Header=BB4_3167 Depth=4
	s_or_b64 exec, exec, s[30:31]
.LBB4_4951:                             ;   in Loop: Header=BB4_3167 Depth=4
	s_or_b64 exec, exec, s[28:29]
	v_add_f32_e32 v2, v1, v0
	v_and_b32_e32 v27, 0x7f800000, v2
	v_mov_b32_e32 v28, v17
	v_cmp_ne_u64_e32 vcc, s[76:77], v[27:28]
	v_and_b32_e32 v0, 0x7fffff, v2
	v_mov_b32_e32 v1, v17
                                        ; implicit-def: $vgpr9
	s_and_saveexec_b64 s[28:29], vcc
	s_xor_b64 s[30:31], exec, s[28:29]
	s_cbranch_execz .LBB4_4965
; %bb.4952:                             ;   in Loop: Header=BB4_3167 Depth=4
	v_and_b32_e32 v27, 0x7fffffff, v2
	v_mov_b32_e32 v28, v17
	v_cmp_gt_u64_e32 vcc, s[78:79], v[27:28]
	v_and_b32_sdwa v4, v2, s96 dst_sel:DWORD dst_unused:UNUSED_PAD src0_sel:BYTE_3 src1_sel:DWORD
                                        ; implicit-def: $vgpr9
	s_and_saveexec_b64 s[28:29], vcc
	s_xor_b64 s[34:35], exec, s[28:29]
	s_cbranch_execz .LBB4_4962
; %bb.4953:                             ;   in Loop: Header=BB4_3167 Depth=4
	v_mov_b32_e32 v9, 0
	v_cmp_ne_u32_e32 vcc, 0, v2
	s_and_saveexec_b64 s[36:37], vcc
	s_cbranch_execz .LBB4_4961
; %bb.4954:                             ;   in Loop: Header=BB4_3167 Depth=4
	v_bfe_u32 v9, v2, 23, 8
	v_cmp_gt_u32_e64 s[28:29], s46, v9
	v_sub_u32_e32 v2, 0x71, v9
	v_cmp_eq_u32_e32 vcc, 0, v9
	v_cndmask_b32_e64 v2, 0, v2, s[28:29]
	v_mov_b32_e32 v19, 0x70
	v_cndmask_b32_e32 v19, v2, v19, vcc
	v_or_b32_e32 v27, 0x800000, v0
	v_add_u32_e32 v2, 21, v19
	v_cndmask_b32_e32 v0, v27, v0, vcc
	v_lshlrev_b64 v[27:28], v2, -1
	v_add_u32_e32 v2, 20, v19
	v_bfi_b32 v27, v27, 0, v0
	v_lshlrev_b64 v[39:40], v2, 1
	v_lshrrev_b64 v[0:1], v19, v[0:1]
	v_bfi_b32 v28, v28, 0, 0
	v_cmp_eq_u64_e64 s[28:29], v[27:28], v[39:40]
	v_mov_b32_e32 v2, v1
	v_mov_b32_e32 v1, v0
	s_and_saveexec_b64 s[38:39], s[28:29]
; %bb.4955:                             ;   in Loop: Header=BB4_3167 Depth=4
	v_bfe_u32 v1, v0, 21, 1
	v_add_co_u32_e64 v1, s[28:29], v0, v1
	v_add_co_u32_e64 v1, s[28:29], -1, v1
; %bb.4956:                             ;   in Loop: Header=BB4_3167 Depth=4
	s_or_b64 exec, exec, s[38:39]
	v_add_u32_e32 v2, 0xffffff81, v9
	v_mov_b32_e32 v9, 0xffffff82
	v_cndmask_b32_e32 v2, v2, v9, vcc
	v_lshrrev_b32_e32 v9, 23, v0
	v_add3_u32 v19, v19, v2, v9
	v_add_u32_e32 v9, 14, v19
	v_and_b32_e32 v1, 0x1fffff, v1
	v_add_u32_e32 v0, v1, v0
	v_mov_b32_e32 v1, v17
	v_cmp_ne_u32_e32 vcc, 0, v9
                                        ; implicit-def: $vgpr2
	s_and_saveexec_b64 s[28:29], vcc
	s_xor_b64 s[28:29], exec, s[28:29]
; %bb.4957:                             ;   in Loop: Header=BB4_3167 Depth=4
	v_cmp_lt_u64_e32 vcc, s[88:89], v[0:1]
	v_add_u32_e32 v2, 15, v19
	v_cndmask_b32_e32 v2, v9, v2, vcc
	v_cndmask_b32_e64 v9, 0, 1, vcc
	v_lshrrev_b64 v[0:1], v9, v[0:1]
; %bb.4958:                             ;   in Loop: Header=BB4_3167 Depth=4
	s_andn2_saveexec_b64 s[28:29], s[28:29]
; %bb.4959:                             ;   in Loop: Header=BB4_3167 Depth=4
	v_bfe_u32 v2, v0, 23, 1
; %bb.4960:                             ;   in Loop: Header=BB4_3167 Depth=4
	s_or_b64 exec, exec, s[28:29]
	v_lshrrev_b64 v[0:1], 21, v[0:1]
	v_cmp_gt_i32_e32 vcc, 32, v2
	v_cndmask_b32_e32 v1, 0, v1, vcc
	v_cndmask_b32_e32 v0, 3, v0, vcc
	v_cmp_eq_u64_e64 s[28:29], 0, v[0:1]
	v_min_i32_e32 v1, 31, v2
	v_lshlrev_b32_e32 v1, 2, v1
	v_cmp_eq_u32_e32 vcc, 0, v2
	v_and_b32_e32 v1, 0xfc, v1
	v_and_or_b32 v0, v0, 3, v1
	s_and_b64 s[28:29], vcc, s[28:29]
	v_cndmask_b32_e64 v0, v0, 0, s[28:29]
	v_or_b32_e32 v9, v0, v4
.LBB4_4961:                             ;   in Loop: Header=BB4_3167 Depth=4
	s_or_b64 exec, exec, s[36:37]
                                        ; implicit-def: $vgpr4
.LBB4_4962:                             ;   in Loop: Header=BB4_3167 Depth=4
	s_andn2_saveexec_b64 s[28:29], s[34:35]
; %bb.4963:                             ;   in Loop: Header=BB4_3167 Depth=4
	v_or_b32_e32 v9, 0x7b, v4
; %bb.4964:                             ;   in Loop: Header=BB4_3167 Depth=4
	s_or_b64 exec, exec, s[28:29]
                                        ; implicit-def: $vgpr2
                                        ; implicit-def: $vgpr0_vgpr1
.LBB4_4965:                             ;   in Loop: Header=BB4_3167 Depth=4
	s_andn2_saveexec_b64 s[28:29], s[30:31]
	s_cbranch_execz .LBB4_4971
; %bb.4966:                             ;   in Loop: Header=BB4_3167 Depth=4
	v_cmp_ne_u64_e32 vcc, 0, v[0:1]
                                        ; implicit-def: $vgpr9
	s_and_saveexec_b64 s[30:31], vcc
	s_xor_b64 vcc, exec, s[30:31]
; %bb.4967:                             ;   in Loop: Header=BB4_3167 Depth=4
	v_or_b32_sdwa v9, v2, s47 dst_sel:DWORD dst_unused:UNUSED_PAD src0_sel:BYTE_3 src1_sel:DWORD
                                        ; implicit-def: $vgpr2
; %bb.4968:                             ;   in Loop: Header=BB4_3167 Depth=4
	s_andn2_saveexec_b64 s[30:31], vcc
; %bb.4969:                             ;   in Loop: Header=BB4_3167 Depth=4
	v_cmp_lt_i32_e32 vcc, -1, v2
	v_bfrev_b32_e32 v0, 0.5
	v_cndmask_b32_e32 v9, v0, v52, vcc
; %bb.4970:                             ;   in Loop: Header=BB4_3167 Depth=4
	s_or_b64 exec, exec, s[30:31]
.LBB4_4971:                             ;   in Loop: Header=BB4_3167 Depth=4
	s_or_b64 exec, exec, s[28:29]
	v_lshrrev_b16_e32 v0, 8, v25
	v_cmp_ne_u16_e32 vcc, 0, v0
	v_mov_b32_e32 v2, 0
	v_mov_b32_e32 v4, 0
	s_and_saveexec_b64 s[28:29], vcc
	s_cbranch_execz .LBB4_4979
; %bb.4972:                             ;   in Loop: Header=BB4_3167 Depth=4
	v_cmp_ne_u16_e32 vcc, s96, v0
	v_bfrev_b32_e32 v4, 1
	s_and_saveexec_b64 s[30:31], vcc
	s_cbranch_execz .LBB4_4978
; %bb.4973:                             ;   in Loop: Header=BB4_3167 Depth=4
	v_and_b32_e32 v1, 0x7c, v0
	v_and_b32_e32 v19, 3, v0
	v_cmp_ne_u32_e32 vcc, s85, v1
                                        ; implicit-def: $vgpr4
	s_and_saveexec_b64 s[34:35], vcc
	s_xor_b64 s[34:35], exec, s[34:35]
	s_cbranch_execz .LBB4_4975
; %bb.4974:                             ;   in Loop: Header=BB4_3167 Depth=4
	v_ffbh_u32_e32 v27, v19
	v_min_u32_e32 v27, 32, v27
	v_mov_b32_e32 v1, v17
	v_subrev_u32_e32 v28, 29, v27
	v_bfe_u32 v4, v0, 2, 5
	v_lshlrev_b64 v[0:1], v28, v[0:1]
	v_sub_u32_e32 v1, 30, v27
	v_cmp_eq_u32_e32 vcc, 0, v4
	v_cndmask_b32_e32 v1, v4, v1, vcc
	v_lshlrev_b32_e32 v4, 16, v25
	v_and_b32_e32 v0, 3, v0
	v_and_b32_e32 v4, 0x80000000, v4
	v_cndmask_b32_e32 v0, v19, v0, vcc
	v_lshl_add_u32 v1, v1, 23, v4
	v_lshl_or_b32 v0, v0, 21, v1
	v_add_u32_e32 v4, 0x38000000, v0
                                        ; implicit-def: $vgpr19
                                        ; implicit-def: $vgpr25
.LBB4_4975:                             ;   in Loop: Header=BB4_3167 Depth=4
	s_andn2_saveexec_b64 s[34:35], s[34:35]
; %bb.4976:                             ;   in Loop: Header=BB4_3167 Depth=4
	v_cmp_lt_i16_e32 vcc, -1, v25
	v_mov_b32_e32 v0, 0xff800000
	v_mov_b32_e32 v1, 0x7f800000
	v_cndmask_b32_e32 v0, v0, v1, vcc
	v_cmp_eq_u32_e32 vcc, 0, v19
	v_mov_b32_e32 v1, 0x7f800001
	v_cndmask_b32_e32 v4, v1, v0, vcc
; %bb.4977:                             ;   in Loop: Header=BB4_3167 Depth=4
	s_or_b64 exec, exec, s[34:35]
.LBB4_4978:                             ;   in Loop: Header=BB4_3167 Depth=4
	s_or_b64 exec, exec, s[30:31]
.LBB4_4979:                             ;   in Loop: Header=BB4_3167 Depth=4
	s_or_b64 exec, exec, s[28:29]
	v_lshrrev_b16_e32 v0, 8, v10
	v_cmp_ne_u16_e32 vcc, 0, v0
	s_and_saveexec_b64 s[28:29], vcc
	s_cbranch_execz .LBB4_4987
; %bb.4980:                             ;   in Loop: Header=BB4_3167 Depth=4
	v_cmp_ne_u16_e32 vcc, s96, v0
	v_bfrev_b32_e32 v2, 1
	s_and_saveexec_b64 s[30:31], vcc
	s_cbranch_execz .LBB4_4986
; %bb.4981:                             ;   in Loop: Header=BB4_3167 Depth=4
	v_and_b32_e32 v1, 0x7c, v0
	v_and_b32_e32 v19, 3, v0
	v_cmp_ne_u32_e32 vcc, s85, v1
                                        ; implicit-def: $vgpr2
	s_and_saveexec_b64 s[34:35], vcc
	s_xor_b64 s[34:35], exec, s[34:35]
	s_cbranch_execz .LBB4_4983
; %bb.4982:                             ;   in Loop: Header=BB4_3167 Depth=4
	v_ffbh_u32_e32 v25, v19
	v_min_u32_e32 v25, 32, v25
	v_mov_b32_e32 v1, v17
	v_subrev_u32_e32 v27, 29, v25
	v_bfe_u32 v2, v0, 2, 5
	v_lshlrev_b64 v[0:1], v27, v[0:1]
	v_sub_u32_e32 v1, 30, v25
	v_cmp_eq_u32_e32 vcc, 0, v2
	v_cndmask_b32_e32 v1, v2, v1, vcc
	v_lshlrev_b32_e32 v2, 16, v10
	v_and_b32_e32 v0, 3, v0
	v_and_b32_e32 v2, 0x80000000, v2
	v_cndmask_b32_e32 v0, v19, v0, vcc
	v_lshl_add_u32 v1, v1, 23, v2
	v_lshl_or_b32 v0, v0, 21, v1
	v_add_u32_e32 v2, 0x38000000, v0
                                        ; implicit-def: $vgpr19
.LBB4_4983:                             ;   in Loop: Header=BB4_3167 Depth=4
	s_andn2_saveexec_b64 s[34:35], s[34:35]
; %bb.4984:                             ;   in Loop: Header=BB4_3167 Depth=4
	v_cmp_lt_i16_e32 vcc, -1, v10
	v_mov_b32_e32 v0, 0xff800000
	v_mov_b32_e32 v1, 0x7f800000
	v_cndmask_b32_e32 v0, v0, v1, vcc
	v_cmp_eq_u32_e32 vcc, 0, v19
	v_mov_b32_e32 v1, 0x7f800001
	v_cndmask_b32_e32 v2, v1, v0, vcc
; %bb.4985:                             ;   in Loop: Header=BB4_3167 Depth=4
	s_or_b64 exec, exec, s[34:35]
.LBB4_4986:                             ;   in Loop: Header=BB4_3167 Depth=4
	s_or_b64 exec, exec, s[30:31]
.LBB4_4987:                             ;   in Loop: Header=BB4_3167 Depth=4
	s_or_b64 exec, exec, s[28:29]
	v_add_f32_e32 v2, v4, v2
	v_and_b32_e32 v27, 0x7f800000, v2
	v_mov_b32_e32 v28, v17
	v_cmp_ne_u64_e32 vcc, s[76:77], v[27:28]
	v_and_b32_e32 v0, 0x7fffff, v2
	v_mov_b32_e32 v1, v17
                                        ; implicit-def: $vgpr19
	s_and_saveexec_b64 s[28:29], vcc
	s_xor_b64 s[30:31], exec, s[28:29]
	s_cbranch_execz .LBB4_5001
; %bb.4988:                             ;   in Loop: Header=BB4_3167 Depth=4
	v_and_b32_e32 v27, 0x7fffffff, v2
	v_mov_b32_e32 v28, v17
	v_cmp_gt_u64_e32 vcc, s[78:79], v[27:28]
	v_and_b32_sdwa v4, v2, s96 dst_sel:DWORD dst_unused:UNUSED_PAD src0_sel:BYTE_3 src1_sel:DWORD
                                        ; implicit-def: $vgpr19
	s_and_saveexec_b64 s[28:29], vcc
	s_xor_b64 s[34:35], exec, s[28:29]
	s_cbranch_execz .LBB4_4998
; %bb.4989:                             ;   in Loop: Header=BB4_3167 Depth=4
	v_mov_b32_e32 v19, 0
	v_cmp_ne_u32_e32 vcc, 0, v2
	s_and_saveexec_b64 s[36:37], vcc
	s_cbranch_execz .LBB4_4997
; %bb.4990:                             ;   in Loop: Header=BB4_3167 Depth=4
	v_bfe_u32 v19, v2, 23, 8
	v_cmp_gt_u32_e64 s[28:29], s46, v19
	v_sub_u32_e32 v2, 0x71, v19
	v_cmp_eq_u32_e32 vcc, 0, v19
	v_cndmask_b32_e64 v2, 0, v2, s[28:29]
	v_mov_b32_e32 v25, 0x70
	v_cndmask_b32_e32 v25, v2, v25, vcc
	v_or_b32_e32 v27, 0x800000, v0
	v_add_u32_e32 v2, 21, v25
	v_cndmask_b32_e32 v0, v27, v0, vcc
	v_lshlrev_b64 v[27:28], v2, -1
	v_add_u32_e32 v2, 20, v25
	v_bfi_b32 v27, v27, 0, v0
	v_lshlrev_b64 v[39:40], v2, 1
	v_lshrrev_b64 v[0:1], v25, v[0:1]
	v_bfi_b32 v28, v28, 0, 0
	v_cmp_eq_u64_e64 s[28:29], v[27:28], v[39:40]
	v_mov_b32_e32 v2, v1
	v_mov_b32_e32 v1, v0
	s_and_saveexec_b64 s[38:39], s[28:29]
; %bb.4991:                             ;   in Loop: Header=BB4_3167 Depth=4
	v_bfe_u32 v1, v0, 21, 1
	v_add_co_u32_e64 v1, s[28:29], v0, v1
	v_add_co_u32_e64 v1, s[28:29], -1, v1
; %bb.4992:                             ;   in Loop: Header=BB4_3167 Depth=4
	s_or_b64 exec, exec, s[38:39]
	v_add_u32_e32 v2, 0xffffff81, v19
	v_mov_b32_e32 v19, 0xffffff82
	v_cndmask_b32_e32 v2, v2, v19, vcc
	v_lshrrev_b32_e32 v19, 23, v0
	v_add3_u32 v25, v25, v2, v19
	v_add_u32_e32 v19, 14, v25
	v_and_b32_e32 v1, 0x1fffff, v1
	v_add_u32_e32 v0, v1, v0
	v_mov_b32_e32 v1, v17
	v_cmp_ne_u32_e32 vcc, 0, v19
                                        ; implicit-def: $vgpr2
	s_and_saveexec_b64 s[28:29], vcc
	s_xor_b64 s[28:29], exec, s[28:29]
; %bb.4993:                             ;   in Loop: Header=BB4_3167 Depth=4
	v_cmp_lt_u64_e32 vcc, s[88:89], v[0:1]
	v_add_u32_e32 v2, 15, v25
	v_cndmask_b32_e32 v2, v19, v2, vcc
	v_cndmask_b32_e64 v19, 0, 1, vcc
	v_lshrrev_b64 v[0:1], v19, v[0:1]
; %bb.4994:                             ;   in Loop: Header=BB4_3167 Depth=4
	s_andn2_saveexec_b64 s[28:29], s[28:29]
; %bb.4995:                             ;   in Loop: Header=BB4_3167 Depth=4
	v_bfe_u32 v2, v0, 23, 1
; %bb.4996:                             ;   in Loop: Header=BB4_3167 Depth=4
	s_or_b64 exec, exec, s[28:29]
	v_lshrrev_b64 v[0:1], 21, v[0:1]
	v_cmp_gt_i32_e32 vcc, 32, v2
	v_cndmask_b32_e32 v1, 0, v1, vcc
	v_cndmask_b32_e32 v0, 3, v0, vcc
	v_cmp_eq_u64_e64 s[28:29], 0, v[0:1]
	v_min_i32_e32 v1, 31, v2
	v_lshlrev_b32_e32 v1, 2, v1
	v_cmp_eq_u32_e32 vcc, 0, v2
	v_and_b32_e32 v1, 0xfc, v1
	v_and_or_b32 v0, v0, 3, v1
	s_and_b64 s[28:29], vcc, s[28:29]
	v_cndmask_b32_e64 v0, v0, 0, s[28:29]
	v_or_b32_e32 v19, v0, v4
.LBB4_4997:                             ;   in Loop: Header=BB4_3167 Depth=4
	s_or_b64 exec, exec, s[36:37]
                                        ; implicit-def: $vgpr4
.LBB4_4998:                             ;   in Loop: Header=BB4_3167 Depth=4
	s_andn2_saveexec_b64 s[28:29], s[34:35]
; %bb.4999:                             ;   in Loop: Header=BB4_3167 Depth=4
	v_or_b32_e32 v19, 0x7b, v4
; %bb.5000:                             ;   in Loop: Header=BB4_3167 Depth=4
	s_or_b64 exec, exec, s[28:29]
                                        ; implicit-def: $vgpr2
                                        ; implicit-def: $vgpr0_vgpr1
.LBB4_5001:                             ;   in Loop: Header=BB4_3167 Depth=4
	s_andn2_saveexec_b64 s[28:29], s[30:31]
	s_cbranch_execz .LBB4_5007
; %bb.5002:                             ;   in Loop: Header=BB4_3167 Depth=4
	v_cmp_ne_u64_e32 vcc, 0, v[0:1]
                                        ; implicit-def: $vgpr19
	s_and_saveexec_b64 s[30:31], vcc
	s_xor_b64 vcc, exec, s[30:31]
; %bb.5003:                             ;   in Loop: Header=BB4_3167 Depth=4
	v_or_b32_sdwa v19, v2, s47 dst_sel:DWORD dst_unused:UNUSED_PAD src0_sel:BYTE_3 src1_sel:DWORD
                                        ; implicit-def: $vgpr2
; %bb.5004:                             ;   in Loop: Header=BB4_3167 Depth=4
	s_andn2_saveexec_b64 s[30:31], vcc
; %bb.5005:                             ;   in Loop: Header=BB4_3167 Depth=4
	v_cmp_lt_i32_e32 vcc, -1, v2
	v_bfrev_b32_e32 v0, 0.5
	v_cndmask_b32_e32 v19, v0, v52, vcc
; %bb.5006:                             ;   in Loop: Header=BB4_3167 Depth=4
	s_or_b64 exec, exec, s[30:31]
.LBB4_5007:                             ;   in Loop: Header=BB4_3167 Depth=4
	s_or_b64 exec, exec, s[28:29]
	v_and_b32_sdwa v4, v16, s87 dst_sel:DWORD dst_unused:UNUSED_PAD src0_sel:WORD_1 src1_sel:DWORD
	v_lshrrev_b32_e32 v0, 16, v16
	v_cmp_ne_u16_e32 vcc, 0, v4
	v_mov_b32_e32 v1, 0
	v_mov_b32_e32 v2, 0
	s_and_saveexec_b64 s[28:29], vcc
	s_cbranch_execz .LBB4_5015
; %bb.5008:                             ;   in Loop: Header=BB4_3167 Depth=4
	v_cmp_ne_u16_e32 vcc, s96, v4
	v_bfrev_b32_e32 v2, 1
	s_and_saveexec_b64 s[30:31], vcc
	s_cbranch_execz .LBB4_5014
; %bb.5009:                             ;   in Loop: Header=BB4_3167 Depth=4
	v_and_b32_e32 v2, 0x7c0000, v16
	v_bfe_u32 v4, v16, 16, 2
	v_cmp_ne_u32_e32 vcc, s44, v2
                                        ; implicit-def: $vgpr2
	s_and_saveexec_b64 s[34:35], vcc
	s_xor_b64 s[34:35], exec, s[34:35]
	s_cbranch_execz .LBB4_5011
; %bb.5010:                             ;   in Loop: Header=BB4_3167 Depth=4
	v_ffbh_u32_e32 v25, v4
	v_min_u32_e32 v25, 32, v25
	v_subrev_u32_e32 v27, 29, v25
	v_lshlrev_b64 v[27:28], v27, v[0:1]
	v_bfe_u32 v2, v16, 18, 5
	v_sub_u32_e32 v0, 30, v25
	v_and_b32_e32 v25, 3, v27
	v_cmp_eq_u32_e32 vcc, 0, v2
	v_cndmask_b32_e32 v0, v2, v0, vcc
	v_cndmask_b32_e32 v2, v4, v25, vcc
	v_lshlrev_b32_e32 v4, 8, v16
	v_and_b32_e32 v4, 0x80000000, v4
	v_lshl_add_u32 v0, v0, 23, v4
	v_lshl_or_b32 v0, v2, 21, v0
	v_add_u32_e32 v2, 0x38000000, v0
                                        ; implicit-def: $vgpr4
                                        ; implicit-def: $vgpr0
.LBB4_5011:                             ;   in Loop: Header=BB4_3167 Depth=4
	s_andn2_saveexec_b64 s[34:35], s[34:35]
; %bb.5012:                             ;   in Loop: Header=BB4_3167 Depth=4
	v_mov_b32_e32 v2, -1
	v_cmp_gt_i16_sdwa vcc, sext(v0), v2 src0_sel:BYTE_0 src1_sel:DWORD
	v_mov_b32_e32 v0, 0xff800000
	v_mov_b32_e32 v2, 0x7f800000
	v_cndmask_b32_e32 v0, v0, v2, vcc
	v_cmp_eq_u32_e32 vcc, 0, v4
	v_mov_b32_e32 v2, 0x7f800001
	v_cndmask_b32_e32 v2, v2, v0, vcc
; %bb.5013:                             ;   in Loop: Header=BB4_3167 Depth=4
	s_or_b64 exec, exec, s[34:35]
.LBB4_5014:                             ;   in Loop: Header=BB4_3167 Depth=4
	s_or_b64 exec, exec, s[30:31]
.LBB4_5015:                             ;   in Loop: Header=BB4_3167 Depth=4
	s_or_b64 exec, exec, s[28:29]
	v_lshrrev_b32_e32 v0, 16, v10
	v_cmp_ne_u16_sdwa vcc, v0, v17 src0_sel:BYTE_0 src1_sel:DWORD
	s_and_saveexec_b64 s[28:29], vcc
	s_cbranch_execz .LBB4_5023
; %bb.5016:                             ;   in Loop: Header=BB4_3167 Depth=4
	v_cmp_ne_u16_sdwa vcc, v0, s96 src0_sel:BYTE_0 src1_sel:DWORD
	v_bfrev_b32_e32 v1, 1
	s_and_saveexec_b64 s[30:31], vcc
	s_cbranch_execz .LBB4_5022
; %bb.5017:                             ;   in Loop: Header=BB4_3167 Depth=4
	v_and_b32_e32 v1, 0x7c0000, v10
	v_bfe_u32 v4, v10, 16, 2
	v_cmp_ne_u32_e32 vcc, s44, v1
                                        ; implicit-def: $vgpr1
	s_and_saveexec_b64 s[34:35], vcc
	s_xor_b64 s[34:35], exec, s[34:35]
	s_cbranch_execz .LBB4_5019
; %bb.5018:                             ;   in Loop: Header=BB4_3167 Depth=4
	v_ffbh_u32_e32 v1, v4
	v_min_u32_e32 v27, 32, v1
	v_subrev_u32_e32 v1, 29, v27
	v_lshlrev_b64 v[0:1], v1, v[0:1]
	v_bfe_u32 v25, v10, 18, 5
	v_and_b32_e32 v0, 3, v0
	v_cmp_eq_u32_e32 vcc, 0, v25
	v_sub_u32_e32 v1, 30, v27
	v_cndmask_b32_e32 v0, v4, v0, vcc
	v_lshlrev_b32_e32 v4, 8, v10
	v_cndmask_b32_e32 v1, v25, v1, vcc
	v_and_b32_e32 v4, 0x80000000, v4
	v_lshl_add_u32 v1, v1, 23, v4
	v_lshl_or_b32 v0, v0, 21, v1
	v_add_u32_e32 v1, 0x38000000, v0
                                        ; implicit-def: $vgpr4
                                        ; implicit-def: $vgpr0
.LBB4_5019:                             ;   in Loop: Header=BB4_3167 Depth=4
	s_andn2_saveexec_b64 s[34:35], s[34:35]
; %bb.5020:                             ;   in Loop: Header=BB4_3167 Depth=4
	v_mov_b32_e32 v1, -1
	v_cmp_gt_i16_sdwa vcc, sext(v0), v1 src0_sel:BYTE_0 src1_sel:DWORD
	v_mov_b32_e32 v0, 0xff800000
	v_mov_b32_e32 v1, 0x7f800000
	v_cndmask_b32_e32 v0, v0, v1, vcc
	v_cmp_eq_u32_e32 vcc, 0, v4
	v_mov_b32_e32 v1, 0x7f800001
	v_cndmask_b32_e32 v1, v1, v0, vcc
; %bb.5021:                             ;   in Loop: Header=BB4_3167 Depth=4
	s_or_b64 exec, exec, s[34:35]
.LBB4_5022:                             ;   in Loop: Header=BB4_3167 Depth=4
	s_or_b64 exec, exec, s[30:31]
.LBB4_5023:                             ;   in Loop: Header=BB4_3167 Depth=4
	s_or_b64 exec, exec, s[28:29]
	v_add_f32_e32 v2, v2, v1
	v_and_b32_e32 v27, 0x7f800000, v2
	v_mov_b32_e32 v28, v17
	v_cmp_ne_u64_e32 vcc, s[76:77], v[27:28]
	v_and_b32_e32 v0, 0x7fffff, v2
	v_mov_b32_e32 v1, v17
                                        ; implicit-def: $vgpr25
	s_and_saveexec_b64 s[28:29], vcc
	s_xor_b64 s[30:31], exec, s[28:29]
	s_cbranch_execz .LBB4_5037
; %bb.5024:                             ;   in Loop: Header=BB4_3167 Depth=4
	v_and_b32_e32 v27, 0x7fffffff, v2
	v_mov_b32_e32 v28, v17
	v_cmp_gt_u64_e32 vcc, s[78:79], v[27:28]
	v_and_b32_sdwa v4, v2, s96 dst_sel:DWORD dst_unused:UNUSED_PAD src0_sel:BYTE_3 src1_sel:DWORD
                                        ; implicit-def: $vgpr25
	s_and_saveexec_b64 s[28:29], vcc
	s_xor_b64 s[34:35], exec, s[28:29]
	s_cbranch_execz .LBB4_5034
; %bb.5025:                             ;   in Loop: Header=BB4_3167 Depth=4
	v_mov_b32_e32 v25, 0
	v_cmp_ne_u32_e32 vcc, 0, v2
	s_and_saveexec_b64 s[36:37], vcc
	s_cbranch_execz .LBB4_5033
; %bb.5026:                             ;   in Loop: Header=BB4_3167 Depth=4
	v_bfe_u32 v25, v2, 23, 8
	v_cmp_gt_u32_e64 s[28:29], s46, v25
	v_sub_u32_e32 v2, 0x71, v25
	v_cmp_eq_u32_e32 vcc, 0, v25
	v_cndmask_b32_e64 v2, 0, v2, s[28:29]
	v_mov_b32_e32 v27, 0x70
	v_cndmask_b32_e32 v27, v2, v27, vcc
	v_or_b32_e32 v28, 0x800000, v0
	v_add_u32_e32 v2, 21, v27
	v_cndmask_b32_e32 v0, v28, v0, vcc
	v_lshlrev_b64 v[28:29], v2, -1
	v_add_u32_e32 v2, 20, v27
	v_bfi_b32 v28, v28, 0, v0
	v_lshlrev_b64 v[39:40], v2, 1
	v_lshrrev_b64 v[0:1], v27, v[0:1]
	v_bfi_b32 v29, v29, 0, 0
	v_cmp_eq_u64_e64 s[28:29], v[28:29], v[39:40]
	v_mov_b32_e32 v2, v1
	v_mov_b32_e32 v1, v0
	s_and_saveexec_b64 s[38:39], s[28:29]
; %bb.5027:                             ;   in Loop: Header=BB4_3167 Depth=4
	v_bfe_u32 v1, v0, 21, 1
	v_add_co_u32_e64 v1, s[28:29], v0, v1
	v_add_co_u32_e64 v1, s[28:29], -1, v1
; %bb.5028:                             ;   in Loop: Header=BB4_3167 Depth=4
	s_or_b64 exec, exec, s[38:39]
	v_add_u32_e32 v2, 0xffffff81, v25
	v_mov_b32_e32 v25, 0xffffff82
	v_cndmask_b32_e32 v2, v2, v25, vcc
	v_lshrrev_b32_e32 v25, 23, v0
	v_add3_u32 v27, v27, v2, v25
	v_add_u32_e32 v25, 14, v27
	v_and_b32_e32 v1, 0x1fffff, v1
	v_add_u32_e32 v0, v1, v0
	v_mov_b32_e32 v1, v17
	v_cmp_ne_u32_e32 vcc, 0, v25
                                        ; implicit-def: $vgpr2
	s_and_saveexec_b64 s[28:29], vcc
	s_xor_b64 s[28:29], exec, s[28:29]
; %bb.5029:                             ;   in Loop: Header=BB4_3167 Depth=4
	v_cmp_lt_u64_e32 vcc, s[88:89], v[0:1]
	v_add_u32_e32 v2, 15, v27
	v_cndmask_b32_e32 v2, v25, v2, vcc
	v_cndmask_b32_e64 v25, 0, 1, vcc
	v_lshrrev_b64 v[0:1], v25, v[0:1]
; %bb.5030:                             ;   in Loop: Header=BB4_3167 Depth=4
	s_andn2_saveexec_b64 s[28:29], s[28:29]
; %bb.5031:                             ;   in Loop: Header=BB4_3167 Depth=4
	v_bfe_u32 v2, v0, 23, 1
; %bb.5032:                             ;   in Loop: Header=BB4_3167 Depth=4
	s_or_b64 exec, exec, s[28:29]
	v_lshrrev_b64 v[0:1], 21, v[0:1]
	v_cmp_gt_i32_e32 vcc, 32, v2
	v_cndmask_b32_e32 v1, 0, v1, vcc
	v_cndmask_b32_e32 v0, 3, v0, vcc
	v_cmp_eq_u64_e64 s[28:29], 0, v[0:1]
	v_min_i32_e32 v1, 31, v2
	v_lshlrev_b32_e32 v1, 2, v1
	v_cmp_eq_u32_e32 vcc, 0, v2
	v_and_b32_e32 v1, 0xfc, v1
	v_and_or_b32 v0, v0, 3, v1
	s_and_b64 s[28:29], vcc, s[28:29]
	v_cndmask_b32_e64 v0, v0, 0, s[28:29]
	v_or_b32_e32 v25, v0, v4
.LBB4_5033:                             ;   in Loop: Header=BB4_3167 Depth=4
	s_or_b64 exec, exec, s[36:37]
                                        ; implicit-def: $vgpr4
.LBB4_5034:                             ;   in Loop: Header=BB4_3167 Depth=4
	s_andn2_saveexec_b64 s[28:29], s[34:35]
; %bb.5035:                             ;   in Loop: Header=BB4_3167 Depth=4
	v_or_b32_e32 v25, 0x7b, v4
; %bb.5036:                             ;   in Loop: Header=BB4_3167 Depth=4
	s_or_b64 exec, exec, s[28:29]
                                        ; implicit-def: $vgpr2
                                        ; implicit-def: $vgpr0_vgpr1
.LBB4_5037:                             ;   in Loop: Header=BB4_3167 Depth=4
	s_andn2_saveexec_b64 s[28:29], s[30:31]
	s_cbranch_execz .LBB4_5043
; %bb.5038:                             ;   in Loop: Header=BB4_3167 Depth=4
	v_cmp_ne_u64_e32 vcc, 0, v[0:1]
                                        ; implicit-def: $vgpr25
	s_and_saveexec_b64 s[30:31], vcc
	s_xor_b64 vcc, exec, s[30:31]
; %bb.5039:                             ;   in Loop: Header=BB4_3167 Depth=4
	v_or_b32_sdwa v25, v2, s47 dst_sel:DWORD dst_unused:UNUSED_PAD src0_sel:BYTE_3 src1_sel:DWORD
                                        ; implicit-def: $vgpr2
; %bb.5040:                             ;   in Loop: Header=BB4_3167 Depth=4
	s_andn2_saveexec_b64 s[30:31], vcc
; %bb.5041:                             ;   in Loop: Header=BB4_3167 Depth=4
	v_cmp_lt_i32_e32 vcc, -1, v2
	v_bfrev_b32_e32 v0, 0.5
	v_cndmask_b32_e32 v25, v0, v52, vcc
; %bb.5042:                             ;   in Loop: Header=BB4_3167 Depth=4
	s_or_b64 exec, exec, s[30:31]
.LBB4_5043:                             ;   in Loop: Header=BB4_3167 Depth=4
	s_or_b64 exec, exec, s[28:29]
	v_cmp_lt_u32_e32 vcc, s57, v16
	v_mov_b32_e32 v1, 0
	v_mov_b32_e32 v2, 0
	s_and_saveexec_b64 s[28:29], vcc
	s_cbranch_execz .LBB4_5051
; %bb.5044:                             ;   in Loop: Header=BB4_3167 Depth=4
	v_lshrrev_b32_e32 v0, 24, v16
	v_cmp_ne_u32_e32 vcc, s96, v0
	v_bfrev_b32_e32 v2, 1
	s_and_saveexec_b64 s[30:31], vcc
	s_cbranch_execz .LBB4_5050
; %bb.5045:                             ;   in Loop: Header=BB4_3167 Depth=4
	v_and_b32_e32 v2, 0x7c000000, v16
	v_bfe_u32 v4, v16, 24, 2
	v_cmp_ne_u32_e32 vcc, s45, v2
                                        ; implicit-def: $vgpr2
	s_and_saveexec_b64 s[34:35], vcc
	s_xor_b64 s[34:35], exec, s[34:35]
	s_cbranch_execz .LBB4_5047
; %bb.5046:                             ;   in Loop: Header=BB4_3167 Depth=4
	v_ffbh_u32_e32 v27, v4
	v_min_u32_e32 v29, 32, v27
	v_subrev_u32_e32 v27, 29, v29
	v_lshlrev_b64 v[27:28], v27, v[0:1]
	v_bfe_u32 v2, v16, 26, 5
	v_sub_u32_e32 v0, 30, v29
	v_and_b32_e32 v27, 3, v27
	v_cmp_eq_u32_e32 vcc, 0, v2
	v_cndmask_b32_e32 v0, v2, v0, vcc
	v_cndmask_b32_e32 v2, v4, v27, vcc
	v_and_b32_e32 v4, 0x80000000, v16
	v_lshl_add_u32 v0, v0, 23, v4
	v_lshl_or_b32 v0, v2, 21, v0
	v_add_u32_e32 v2, 0x38000000, v0
                                        ; implicit-def: $vgpr4
.LBB4_5047:                             ;   in Loop: Header=BB4_3167 Depth=4
	s_andn2_saveexec_b64 s[34:35], s[34:35]
; %bb.5048:                             ;   in Loop: Header=BB4_3167 Depth=4
	v_cmp_lt_i32_e32 vcc, -1, v16
	v_mov_b32_e32 v0, 0xff800000
	v_mov_b32_e32 v2, 0x7f800000
	v_cndmask_b32_e32 v0, v0, v2, vcc
	v_cmp_eq_u32_e32 vcc, 0, v4
	v_mov_b32_e32 v2, 0x7f800001
	v_cndmask_b32_e32 v2, v2, v0, vcc
; %bb.5049:                             ;   in Loop: Header=BB4_3167 Depth=4
	s_or_b64 exec, exec, s[34:35]
.LBB4_5050:                             ;   in Loop: Header=BB4_3167 Depth=4
	s_or_b64 exec, exec, s[30:31]
.LBB4_5051:                             ;   in Loop: Header=BB4_3167 Depth=4
	s_or_b64 exec, exec, s[28:29]
	v_cmp_lt_u32_e32 vcc, s57, v10
	s_and_saveexec_b64 s[28:29], vcc
	s_cbranch_execz .LBB4_5059
; %bb.5052:                             ;   in Loop: Header=BB4_3167 Depth=4
	v_lshrrev_b32_e32 v0, 24, v10
	v_cmp_ne_u32_e32 vcc, s96, v0
	v_bfrev_b32_e32 v1, 1
	s_and_saveexec_b64 s[30:31], vcc
	s_cbranch_execz .LBB4_5058
; %bb.5053:                             ;   in Loop: Header=BB4_3167 Depth=4
	v_and_b32_e32 v1, 0x7c000000, v10
	v_bfe_u32 v4, v10, 24, 2
	v_cmp_ne_u32_e32 vcc, s45, v1
                                        ; implicit-def: $vgpr1
	s_and_saveexec_b64 s[34:35], vcc
	s_xor_b64 s[34:35], exec, s[34:35]
	s_cbranch_execz .LBB4_5055
; %bb.5054:                             ;   in Loop: Header=BB4_3167 Depth=4
	v_ffbh_u32_e32 v1, v4
	v_min_u32_e32 v27, 32, v1
	v_subrev_u32_e32 v1, 29, v27
	v_lshlrev_b64 v[0:1], v1, v[0:1]
	v_bfe_u32 v16, v10, 26, 5
	v_sub_u32_e32 v1, 30, v27
	v_and_b32_e32 v0, 3, v0
	v_cmp_eq_u32_e32 vcc, 0, v16
	v_cndmask_b32_e32 v1, v16, v1, vcc
	v_cndmask_b32_e32 v0, v4, v0, vcc
	v_and_b32_e32 v4, 0x80000000, v10
	v_lshl_add_u32 v1, v1, 23, v4
	v_lshl_or_b32 v0, v0, 21, v1
	v_add_u32_e32 v1, 0x38000000, v0
                                        ; implicit-def: $vgpr4
.LBB4_5055:                             ;   in Loop: Header=BB4_3167 Depth=4
	s_andn2_saveexec_b64 s[34:35], s[34:35]
; %bb.5056:                             ;   in Loop: Header=BB4_3167 Depth=4
	v_cmp_lt_i32_e32 vcc, -1, v10
	v_mov_b32_e32 v0, 0xff800000
	v_mov_b32_e32 v1, 0x7f800000
	v_cndmask_b32_e32 v0, v0, v1, vcc
	v_cmp_eq_u32_e32 vcc, 0, v4
	v_mov_b32_e32 v1, 0x7f800001
	v_cndmask_b32_e32 v1, v1, v0, vcc
; %bb.5057:                             ;   in Loop: Header=BB4_3167 Depth=4
	s_or_b64 exec, exec, s[34:35]
.LBB4_5058:                             ;   in Loop: Header=BB4_3167 Depth=4
	s_or_b64 exec, exec, s[30:31]
.LBB4_5059:                             ;   in Loop: Header=BB4_3167 Depth=4
	s_or_b64 exec, exec, s[28:29]
	v_add_f32_e32 v0, v2, v1
	v_and_b32_e32 v1, 0x7f800000, v0
	v_mov_b32_e32 v2, v17
	v_cmp_ne_u64_e32 vcc, s[76:77], v[1:2]
	v_and_b32_e32 v16, 0x7fffff, v0
                                        ; implicit-def: $vgpr27
	s_and_saveexec_b64 s[28:29], vcc
	s_xor_b64 s[30:31], exec, s[28:29]
	s_cbranch_execz .LBB4_5073
; %bb.5060:                             ;   in Loop: Header=BB4_3167 Depth=4
	v_and_b32_e32 v1, 0x7fffffff, v0
	v_mov_b32_e32 v2, v17
	v_cmp_gt_u64_e32 vcc, s[78:79], v[1:2]
	v_and_b32_sdwa v4, v0, s96 dst_sel:DWORD dst_unused:UNUSED_PAD src0_sel:BYTE_3 src1_sel:DWORD
                                        ; implicit-def: $vgpr27
	s_and_saveexec_b64 s[28:29], vcc
	s_xor_b64 s[34:35], exec, s[28:29]
	s_cbranch_execz .LBB4_5070
; %bb.5061:                             ;   in Loop: Header=BB4_3167 Depth=4
	v_mov_b32_e32 v27, 0
	v_cmp_ne_u32_e32 vcc, 0, v0
	s_and_saveexec_b64 s[36:37], vcc
	s_cbranch_execz .LBB4_5069
; %bb.5062:                             ;   in Loop: Header=BB4_3167 Depth=4
	v_bfe_u32 v27, v0, 23, 8
	v_cmp_gt_u32_e64 s[28:29], s46, v27
	v_sub_u32_e32 v0, 0x71, v27
	v_cmp_eq_u32_e32 vcc, 0, v27
	v_cndmask_b32_e64 v0, 0, v0, s[28:29]
	v_mov_b32_e32 v2, 0x70
	v_cndmask_b32_e32 v34, v0, v2, vcc
	v_add_u32_e32 v2, 21, v34
	v_or_b32_e32 v1, 0x800000, v16
	v_lshlrev_b64 v[28:29], v2, -1
	v_cndmask_b32_e32 v0, v1, v16, vcc
	v_mov_b32_e32 v1, v17
	v_add_u32_e32 v2, 20, v34
	v_bfi_b32 v28, v28, 0, v0
	v_lshlrev_b64 v[39:40], v2, 1
	v_lshrrev_b64 v[0:1], v34, v[0:1]
	v_bfi_b32 v29, v29, 0, 0
	v_cmp_eq_u64_e64 s[28:29], v[28:29], v[39:40]
	v_mov_b32_e32 v2, v1
	v_mov_b32_e32 v1, v0
	s_and_saveexec_b64 s[38:39], s[28:29]
; %bb.5063:                             ;   in Loop: Header=BB4_3167 Depth=4
	v_bfe_u32 v1, v0, 21, 1
	v_add_co_u32_e64 v1, s[28:29], v0, v1
	v_add_co_u32_e64 v1, s[28:29], -1, v1
; %bb.5064:                             ;   in Loop: Header=BB4_3167 Depth=4
	s_or_b64 exec, exec, s[38:39]
	v_add_u32_e32 v2, 0xffffff81, v27
	v_mov_b32_e32 v16, 0xffffff82
	v_cndmask_b32_e32 v2, v2, v16, vcc
	v_lshrrev_b32_e32 v16, 23, v0
	v_add3_u32 v34, v34, v2, v16
	v_add_u32_e32 v27, 14, v34
	v_and_b32_e32 v1, 0x1fffff, v1
	v_add_u32_e32 v16, v1, v0
	v_cmp_ne_u32_e32 vcc, 0, v27
                                        ; implicit-def: $vgpr0_vgpr1
                                        ; implicit-def: $vgpr2
	s_and_saveexec_b64 s[28:29], vcc
	s_xor_b64 s[28:29], exec, s[28:29]
; %bb.5065:                             ;   in Loop: Header=BB4_3167 Depth=4
	v_cmp_lt_u64_e32 vcc, s[88:89], v[16:17]
	v_add_u32_e32 v0, 15, v34
	v_cndmask_b32_e32 v2, v27, v0, vcc
	v_cndmask_b32_e64 v0, 0, 1, vcc
	v_lshrrev_b64 v[0:1], v0, v[16:17]
; %bb.5066:                             ;   in Loop: Header=BB4_3167 Depth=4
	s_andn2_saveexec_b64 s[28:29], s[28:29]
; %bb.5067:                             ;   in Loop: Header=BB4_3167 Depth=4
	v_mov_b32_e32 v0, v16
	v_mov_b32_e32 v1, v17
	v_bfe_u32 v2, v16, 23, 1
; %bb.5068:                             ;   in Loop: Header=BB4_3167 Depth=4
	s_or_b64 exec, exec, s[28:29]
	v_lshrrev_b64 v[0:1], 21, v[0:1]
	v_cmp_gt_i32_e32 vcc, 32, v2
	v_cndmask_b32_e32 v1, 0, v1, vcc
	v_cndmask_b32_e32 v0, 3, v0, vcc
	v_cmp_eq_u64_e64 s[28:29], 0, v[0:1]
	v_min_i32_e32 v1, 31, v2
	v_lshlrev_b32_e32 v1, 2, v1
	v_cmp_eq_u32_e32 vcc, 0, v2
	v_and_b32_e32 v1, 0xfc, v1
	v_and_or_b32 v0, v0, 3, v1
	s_and_b64 s[28:29], vcc, s[28:29]
	v_cndmask_b32_e64 v0, v0, 0, s[28:29]
	v_or_b32_e32 v27, v0, v4
.LBB4_5069:                             ;   in Loop: Header=BB4_3167 Depth=4
	s_or_b64 exec, exec, s[36:37]
                                        ; implicit-def: $vgpr4
.LBB4_5070:                             ;   in Loop: Header=BB4_3167 Depth=4
	s_andn2_saveexec_b64 s[28:29], s[34:35]
; %bb.5071:                             ;   in Loop: Header=BB4_3167 Depth=4
	v_or_b32_e32 v27, 0x7b, v4
; %bb.5072:                             ;   in Loop: Header=BB4_3167 Depth=4
	s_or_b64 exec, exec, s[28:29]
                                        ; implicit-def: $vgpr0
.LBB4_5073:                             ;   in Loop: Header=BB4_3167 Depth=4
	s_andn2_saveexec_b64 s[28:29], s[30:31]
	s_cbranch_execz .LBB4_5079
; %bb.5074:                             ;   in Loop: Header=BB4_3167 Depth=4
	v_cmp_ne_u64_e32 vcc, 0, v[16:17]
                                        ; implicit-def: $vgpr27
	s_and_saveexec_b64 s[30:31], vcc
	s_xor_b64 vcc, exec, s[30:31]
; %bb.5075:                             ;   in Loop: Header=BB4_3167 Depth=4
	v_or_b32_sdwa v27, v0, s47 dst_sel:DWORD dst_unused:UNUSED_PAD src0_sel:BYTE_3 src1_sel:DWORD
                                        ; implicit-def: $vgpr0
; %bb.5076:                             ;   in Loop: Header=BB4_3167 Depth=4
	s_andn2_saveexec_b64 s[30:31], vcc
; %bb.5077:                             ;   in Loop: Header=BB4_3167 Depth=4
	v_cmp_lt_i32_e32 vcc, -1, v0
	v_bfrev_b32_e32 v0, 0.5
	v_cndmask_b32_e32 v27, v0, v52, vcc
; %bb.5078:                             ;   in Loop: Header=BB4_3167 Depth=4
	s_or_b64 exec, exec, s[30:31]
.LBB4_5079:                             ;   in Loop: Header=BB4_3167 Depth=4
	s_or_b64 exec, exec, s[28:29]
	v_lshlrev_b32_e32 v0, 24, v30
	v_lshlrev_b32_e32 v1, 16, v24
	v_lshl_or_b32 v20, v20, 8, v7
	v_or3_b32 v16, v1, v0, v20
	v_cmp_ne_u32_e32 vcc, 0, v7
	v_mov_b32_e32 v0, 0
	v_mov_b32_e32 v1, 0
	s_and_saveexec_b64 s[30:31], vcc
	s_cbranch_execz .LBB4_5087
; %bb.5080:                             ;   in Loop: Header=BB4_3167 Depth=4
	v_cmp_ne_u32_e32 vcc, s96, v7
	v_bfrev_b32_e32 v1, 1
	s_and_saveexec_b64 s[34:35], vcc
	s_cbranch_execz .LBB4_5086
; %bb.5081:                             ;   in Loop: Header=BB4_3167 Depth=4
	v_and_b32_e32 v1, 0x7c, v7
	v_and_b32_e32 v2, 3, v7
	v_cmp_ne_u32_e32 vcc, s85, v1
                                        ; implicit-def: $vgpr1
	s_and_saveexec_b64 s[28:29], vcc
	s_xor_b64 s[28:29], exec, s[28:29]
	s_cbranch_execz .LBB4_5083
; %bb.5082:                             ;   in Loop: Header=BB4_3167 Depth=4
	v_ffbh_u32_e32 v4, v2
	v_min_u32_e32 v4, 32, v4
	v_bfe_u32 v1, v7, 2, 5
	v_subrev_u32_e32 v24, 29, v4
	v_lshlrev_b64 v[28:29], v24, v[16:17]
	v_sub_u32_e32 v4, 30, v4
	v_cmp_eq_u32_e32 vcc, 0, v1
	v_cndmask_b32_e32 v1, v1, v4, vcc
	v_lshlrev_b32_e32 v4, 24, v7
	v_and_b32_e32 v24, 3, v28
	v_and_b32_e32 v4, 0x80000000, v4
	v_cndmask_b32_e32 v2, v2, v24, vcc
	v_lshl_add_u32 v1, v1, 23, v4
	v_lshl_or_b32 v1, v2, 21, v1
	v_add_u32_e32 v1, 0x38000000, v1
                                        ; implicit-def: $vgpr2
                                        ; implicit-def: $vgpr7
.LBB4_5083:                             ;   in Loop: Header=BB4_3167 Depth=4
	s_andn2_saveexec_b64 s[36:37], s[28:29]
; %bb.5084:                             ;   in Loop: Header=BB4_3167 Depth=4
	v_and_b32_e32 v1, 0x80, v7
	v_cmp_eq_u32_e32 vcc, 0, v2
	v_cmp_eq_u32_e64 s[28:29], 0, v1
	v_mov_b32_e32 v1, 0xff800000
	v_mov_b32_e32 v2, 0x7f800000
	v_cndmask_b32_e64 v1, v1, v2, s[28:29]
	v_mov_b32_e32 v2, 0x7f800001
	v_cndmask_b32_e32 v1, v2, v1, vcc
; %bb.5085:                             ;   in Loop: Header=BB4_3167 Depth=4
	s_or_b64 exec, exec, s[36:37]
.LBB4_5086:                             ;   in Loop: Header=BB4_3167 Depth=4
	s_or_b64 exec, exec, s[34:35]
.LBB4_5087:                             ;   in Loop: Header=BB4_3167 Depth=4
	s_or_b64 exec, exec, s[30:31]
	v_cmp_ne_u16_sdwa vcc, v11, v17 src0_sel:BYTE_0 src1_sel:DWORD
	s_and_saveexec_b64 s[28:29], vcc
	s_cbranch_execz .LBB4_5095
; %bb.5088:                             ;   in Loop: Header=BB4_3167 Depth=4
	v_cmp_ne_u16_sdwa vcc, v11, s96 src0_sel:BYTE_0 src1_sel:DWORD
	v_bfrev_b32_e32 v0, 1
	s_and_saveexec_b64 s[30:31], vcc
	s_cbranch_execz .LBB4_5094
; %bb.5089:                             ;   in Loop: Header=BB4_3167 Depth=4
	v_and_b32_e32 v0, 0x7c, v11
	v_and_b32_e32 v2, 3, v11
	v_cmp_ne_u32_e32 vcc, s85, v0
                                        ; implicit-def: $vgpr0
	s_and_saveexec_b64 s[34:35], vcc
	s_xor_b64 s[34:35], exec, s[34:35]
	s_cbranch_execz .LBB4_5091
; %bb.5090:                             ;   in Loop: Header=BB4_3167 Depth=4
	v_ffbh_u32_e32 v4, v2
	v_min_u32_e32 v4, 32, v4
	v_mov_b32_e32 v28, v11
	v_mov_b32_e32 v29, v17
	v_bfe_u32 v0, v11, 2, 5
	v_subrev_u32_e32 v7, 29, v4
	v_lshlrev_b64 v[28:29], v7, v[28:29]
	v_sub_u32_e32 v4, 30, v4
	v_cmp_eq_u32_e32 vcc, 0, v0
	v_cndmask_b32_e32 v0, v0, v4, vcc
	v_lshlrev_b32_e32 v4, 24, v11
	v_and_b32_e32 v7, 3, v28
	v_and_b32_e32 v4, 0x80000000, v4
	v_cndmask_b32_e32 v2, v2, v7, vcc
	v_lshl_add_u32 v0, v0, 23, v4
	v_lshl_or_b32 v0, v2, 21, v0
	v_add_u32_e32 v0, 0x38000000, v0
                                        ; implicit-def: $vgpr2
.LBB4_5091:                             ;   in Loop: Header=BB4_3167 Depth=4
	s_andn2_saveexec_b64 s[34:35], s[34:35]
; %bb.5092:                             ;   in Loop: Header=BB4_3167 Depth=4
	v_mov_b32_e32 v0, -1
	v_cmp_gt_i16_sdwa vcc, sext(v11), v0 src0_sel:BYTE_0 src1_sel:DWORD
	v_mov_b32_e32 v0, 0xff800000
	v_mov_b32_e32 v4, 0x7f800000
	v_cndmask_b32_e32 v0, v0, v4, vcc
	v_cmp_eq_u32_e32 vcc, 0, v2
	v_mov_b32_e32 v2, 0x7f800001
	v_cndmask_b32_e32 v0, v2, v0, vcc
; %bb.5093:                             ;   in Loop: Header=BB4_3167 Depth=4
	s_or_b64 exec, exec, s[34:35]
.LBB4_5094:                             ;   in Loop: Header=BB4_3167 Depth=4
	s_or_b64 exec, exec, s[30:31]
.LBB4_5095:                             ;   in Loop: Header=BB4_3167 Depth=4
	s_or_b64 exec, exec, s[28:29]
	v_add_f32_e32 v2, v1, v0
	v_and_b32_e32 v28, 0x7f800000, v2
	v_mov_b32_e32 v29, v17
	v_cmp_ne_u64_e32 vcc, s[76:77], v[28:29]
	v_and_b32_e32 v0, 0x7fffff, v2
	v_mov_b32_e32 v1, v17
                                        ; implicit-def: $vgpr7
	s_and_saveexec_b64 s[28:29], vcc
	s_xor_b64 s[30:31], exec, s[28:29]
	s_cbranch_execz .LBB4_5109
; %bb.5096:                             ;   in Loop: Header=BB4_3167 Depth=4
	v_and_b32_e32 v28, 0x7fffffff, v2
	v_mov_b32_e32 v29, v17
	v_cmp_gt_u64_e32 vcc, s[78:79], v[28:29]
	v_and_b32_sdwa v4, v2, s96 dst_sel:DWORD dst_unused:UNUSED_PAD src0_sel:BYTE_3 src1_sel:DWORD
                                        ; implicit-def: $vgpr7
	s_and_saveexec_b64 s[28:29], vcc
	s_xor_b64 s[34:35], exec, s[28:29]
	s_cbranch_execz .LBB4_5106
; %bb.5097:                             ;   in Loop: Header=BB4_3167 Depth=4
	v_mov_b32_e32 v7, 0
	v_cmp_ne_u32_e32 vcc, 0, v2
	s_and_saveexec_b64 s[36:37], vcc
	s_cbranch_execz .LBB4_5105
; %bb.5098:                             ;   in Loop: Header=BB4_3167 Depth=4
	v_bfe_u32 v7, v2, 23, 8
	v_cmp_gt_u32_e64 s[28:29], s46, v7
	v_sub_u32_e32 v2, 0x71, v7
	v_cmp_eq_u32_e32 vcc, 0, v7
	v_cndmask_b32_e64 v2, 0, v2, s[28:29]
	v_mov_b32_e32 v24, 0x70
	v_cndmask_b32_e32 v24, v2, v24, vcc
	v_or_b32_e32 v28, 0x800000, v0
	v_add_u32_e32 v2, 21, v24
	v_cndmask_b32_e32 v0, v28, v0, vcc
	v_lshlrev_b64 v[28:29], v2, -1
	v_add_u32_e32 v2, 20, v24
	v_bfi_b32 v28, v28, 0, v0
	v_lshlrev_b64 v[39:40], v2, 1
	v_lshrrev_b64 v[0:1], v24, v[0:1]
	v_bfi_b32 v29, v29, 0, 0
	v_cmp_eq_u64_e64 s[28:29], v[28:29], v[39:40]
	v_mov_b32_e32 v2, v1
	v_mov_b32_e32 v1, v0
	s_and_saveexec_b64 s[38:39], s[28:29]
; %bb.5099:                             ;   in Loop: Header=BB4_3167 Depth=4
	v_bfe_u32 v1, v0, 21, 1
	v_add_co_u32_e64 v1, s[28:29], v0, v1
	v_add_co_u32_e64 v1, s[28:29], -1, v1
; %bb.5100:                             ;   in Loop: Header=BB4_3167 Depth=4
	s_or_b64 exec, exec, s[38:39]
	v_add_u32_e32 v2, 0xffffff81, v7
	v_mov_b32_e32 v7, 0xffffff82
	v_cndmask_b32_e32 v2, v2, v7, vcc
	v_lshrrev_b32_e32 v7, 23, v0
	v_add3_u32 v24, v24, v2, v7
	v_add_u32_e32 v7, 14, v24
	v_and_b32_e32 v1, 0x1fffff, v1
	v_add_u32_e32 v0, v1, v0
	v_mov_b32_e32 v1, v17
	v_cmp_ne_u32_e32 vcc, 0, v7
                                        ; implicit-def: $vgpr2
	s_and_saveexec_b64 s[28:29], vcc
	s_xor_b64 s[28:29], exec, s[28:29]
; %bb.5101:                             ;   in Loop: Header=BB4_3167 Depth=4
	v_cmp_lt_u64_e32 vcc, s[88:89], v[0:1]
	v_add_u32_e32 v2, 15, v24
	v_cndmask_b32_e32 v2, v7, v2, vcc
	v_cndmask_b32_e64 v7, 0, 1, vcc
	v_lshrrev_b64 v[0:1], v7, v[0:1]
; %bb.5102:                             ;   in Loop: Header=BB4_3167 Depth=4
	s_andn2_saveexec_b64 s[28:29], s[28:29]
; %bb.5103:                             ;   in Loop: Header=BB4_3167 Depth=4
	v_bfe_u32 v2, v0, 23, 1
; %bb.5104:                             ;   in Loop: Header=BB4_3167 Depth=4
	s_or_b64 exec, exec, s[28:29]
	v_lshrrev_b64 v[0:1], 21, v[0:1]
	v_cmp_gt_i32_e32 vcc, 32, v2
	v_cndmask_b32_e32 v1, 0, v1, vcc
	v_cndmask_b32_e32 v0, 3, v0, vcc
	v_cmp_eq_u64_e64 s[28:29], 0, v[0:1]
	v_min_i32_e32 v1, 31, v2
	v_lshlrev_b32_e32 v1, 2, v1
	v_cmp_eq_u32_e32 vcc, 0, v2
	v_and_b32_e32 v1, 0xfc, v1
	v_and_or_b32 v0, v0, 3, v1
	s_and_b64 s[28:29], vcc, s[28:29]
	v_cndmask_b32_e64 v0, v0, 0, s[28:29]
	v_or_b32_e32 v7, v0, v4
.LBB4_5105:                             ;   in Loop: Header=BB4_3167 Depth=4
	s_or_b64 exec, exec, s[36:37]
                                        ; implicit-def: $vgpr4
.LBB4_5106:                             ;   in Loop: Header=BB4_3167 Depth=4
	s_andn2_saveexec_b64 s[28:29], s[34:35]
; %bb.5107:                             ;   in Loop: Header=BB4_3167 Depth=4
	v_or_b32_e32 v7, 0x7b, v4
; %bb.5108:                             ;   in Loop: Header=BB4_3167 Depth=4
	s_or_b64 exec, exec, s[28:29]
                                        ; implicit-def: $vgpr2
                                        ; implicit-def: $vgpr0_vgpr1
.LBB4_5109:                             ;   in Loop: Header=BB4_3167 Depth=4
	s_andn2_saveexec_b64 s[28:29], s[30:31]
	s_cbranch_execz .LBB4_5115
; %bb.5110:                             ;   in Loop: Header=BB4_3167 Depth=4
	v_cmp_ne_u64_e32 vcc, 0, v[0:1]
                                        ; implicit-def: $vgpr7
	s_and_saveexec_b64 s[30:31], vcc
	s_xor_b64 vcc, exec, s[30:31]
; %bb.5111:                             ;   in Loop: Header=BB4_3167 Depth=4
	v_or_b32_sdwa v7, v2, s47 dst_sel:DWORD dst_unused:UNUSED_PAD src0_sel:BYTE_3 src1_sel:DWORD
                                        ; implicit-def: $vgpr2
; %bb.5112:                             ;   in Loop: Header=BB4_3167 Depth=4
	s_andn2_saveexec_b64 s[30:31], vcc
; %bb.5113:                             ;   in Loop: Header=BB4_3167 Depth=4
	v_cmp_lt_i32_e32 vcc, -1, v2
	v_bfrev_b32_e32 v0, 0.5
	v_cndmask_b32_e32 v7, v0, v52, vcc
; %bb.5114:                             ;   in Loop: Header=BB4_3167 Depth=4
	s_or_b64 exec, exec, s[30:31]
.LBB4_5115:                             ;   in Loop: Header=BB4_3167 Depth=4
	s_or_b64 exec, exec, s[28:29]
	v_lshrrev_b16_e32 v0, 8, v20
	v_cmp_ne_u16_e32 vcc, 0, v0
	v_mov_b32_e32 v2, 0
	v_mov_b32_e32 v4, 0
	s_and_saveexec_b64 s[28:29], vcc
	s_cbranch_execz .LBB4_5123
; %bb.5116:                             ;   in Loop: Header=BB4_3167 Depth=4
	v_cmp_ne_u16_e32 vcc, s96, v0
	v_bfrev_b32_e32 v4, 1
	s_and_saveexec_b64 s[30:31], vcc
	s_cbranch_execz .LBB4_5122
; %bb.5117:                             ;   in Loop: Header=BB4_3167 Depth=4
	v_and_b32_e32 v1, 0x7c, v0
	v_and_b32_e32 v24, 3, v0
	v_cmp_ne_u32_e32 vcc, s85, v1
                                        ; implicit-def: $vgpr4
	s_and_saveexec_b64 s[34:35], vcc
	s_xor_b64 s[34:35], exec, s[34:35]
	s_cbranch_execz .LBB4_5119
; %bb.5118:                             ;   in Loop: Header=BB4_3167 Depth=4
	v_ffbh_u32_e32 v28, v24
	v_min_u32_e32 v28, 32, v28
	v_mov_b32_e32 v1, v17
	v_subrev_u32_e32 v29, 29, v28
	v_bfe_u32 v4, v0, 2, 5
	v_lshlrev_b64 v[0:1], v29, v[0:1]
	v_sub_u32_e32 v1, 30, v28
	v_cmp_eq_u32_e32 vcc, 0, v4
	v_cndmask_b32_e32 v1, v4, v1, vcc
	v_lshlrev_b32_e32 v4, 16, v20
	v_and_b32_e32 v0, 3, v0
	v_and_b32_e32 v4, 0x80000000, v4
	v_cndmask_b32_e32 v0, v24, v0, vcc
	v_lshl_add_u32 v1, v1, 23, v4
	v_lshl_or_b32 v0, v0, 21, v1
	v_add_u32_e32 v4, 0x38000000, v0
                                        ; implicit-def: $vgpr24
                                        ; implicit-def: $vgpr20
.LBB4_5119:                             ;   in Loop: Header=BB4_3167 Depth=4
	s_andn2_saveexec_b64 s[34:35], s[34:35]
; %bb.5120:                             ;   in Loop: Header=BB4_3167 Depth=4
	v_cmp_lt_i16_e32 vcc, -1, v20
	v_mov_b32_e32 v0, 0xff800000
	v_mov_b32_e32 v1, 0x7f800000
	v_cndmask_b32_e32 v0, v0, v1, vcc
	v_cmp_eq_u32_e32 vcc, 0, v24
	v_mov_b32_e32 v1, 0x7f800001
	v_cndmask_b32_e32 v4, v1, v0, vcc
; %bb.5121:                             ;   in Loop: Header=BB4_3167 Depth=4
	s_or_b64 exec, exec, s[34:35]
.LBB4_5122:                             ;   in Loop: Header=BB4_3167 Depth=4
	s_or_b64 exec, exec, s[30:31]
.LBB4_5123:                             ;   in Loop: Header=BB4_3167 Depth=4
	s_or_b64 exec, exec, s[28:29]
	v_lshrrev_b16_e32 v0, 8, v11
	v_cmp_ne_u16_e32 vcc, 0, v0
	s_and_saveexec_b64 s[28:29], vcc
	s_cbranch_execz .LBB4_5131
; %bb.5124:                             ;   in Loop: Header=BB4_3167 Depth=4
	v_cmp_ne_u16_e32 vcc, s96, v0
	v_bfrev_b32_e32 v2, 1
	s_and_saveexec_b64 s[30:31], vcc
	s_cbranch_execz .LBB4_5130
; %bb.5125:                             ;   in Loop: Header=BB4_3167 Depth=4
	v_and_b32_e32 v1, 0x7c, v0
	v_and_b32_e32 v20, 3, v0
	v_cmp_ne_u32_e32 vcc, s85, v1
                                        ; implicit-def: $vgpr2
	s_and_saveexec_b64 s[34:35], vcc
	s_xor_b64 s[34:35], exec, s[34:35]
	s_cbranch_execz .LBB4_5127
; %bb.5126:                             ;   in Loop: Header=BB4_3167 Depth=4
	v_ffbh_u32_e32 v24, v20
	v_min_u32_e32 v24, 32, v24
	v_mov_b32_e32 v1, v17
	v_subrev_u32_e32 v28, 29, v24
	v_bfe_u32 v2, v0, 2, 5
	v_lshlrev_b64 v[0:1], v28, v[0:1]
	v_sub_u32_e32 v1, 30, v24
	v_cmp_eq_u32_e32 vcc, 0, v2
	v_cndmask_b32_e32 v1, v2, v1, vcc
	v_lshlrev_b32_e32 v2, 16, v11
	v_and_b32_e32 v0, 3, v0
	v_and_b32_e32 v2, 0x80000000, v2
	v_cndmask_b32_e32 v0, v20, v0, vcc
	v_lshl_add_u32 v1, v1, 23, v2
	v_lshl_or_b32 v0, v0, 21, v1
	v_add_u32_e32 v2, 0x38000000, v0
                                        ; implicit-def: $vgpr20
.LBB4_5127:                             ;   in Loop: Header=BB4_3167 Depth=4
	s_andn2_saveexec_b64 s[34:35], s[34:35]
; %bb.5128:                             ;   in Loop: Header=BB4_3167 Depth=4
	v_cmp_lt_i16_e32 vcc, -1, v11
	v_mov_b32_e32 v0, 0xff800000
	v_mov_b32_e32 v1, 0x7f800000
	v_cndmask_b32_e32 v0, v0, v1, vcc
	v_cmp_eq_u32_e32 vcc, 0, v20
	v_mov_b32_e32 v1, 0x7f800001
	v_cndmask_b32_e32 v2, v1, v0, vcc
; %bb.5129:                             ;   in Loop: Header=BB4_3167 Depth=4
	s_or_b64 exec, exec, s[34:35]
.LBB4_5130:                             ;   in Loop: Header=BB4_3167 Depth=4
	s_or_b64 exec, exec, s[30:31]
.LBB4_5131:                             ;   in Loop: Header=BB4_3167 Depth=4
	s_or_b64 exec, exec, s[28:29]
	v_add_f32_e32 v2, v4, v2
	v_and_b32_e32 v28, 0x7f800000, v2
	v_mov_b32_e32 v29, v17
	v_cmp_ne_u64_e32 vcc, s[76:77], v[28:29]
	v_and_b32_e32 v0, 0x7fffff, v2
	v_mov_b32_e32 v1, v17
                                        ; implicit-def: $vgpr20
	s_and_saveexec_b64 s[28:29], vcc
	s_xor_b64 s[30:31], exec, s[28:29]
	s_cbranch_execz .LBB4_5145
; %bb.5132:                             ;   in Loop: Header=BB4_3167 Depth=4
	v_and_b32_e32 v28, 0x7fffffff, v2
	v_mov_b32_e32 v29, v17
	v_cmp_gt_u64_e32 vcc, s[78:79], v[28:29]
	v_and_b32_sdwa v4, v2, s96 dst_sel:DWORD dst_unused:UNUSED_PAD src0_sel:BYTE_3 src1_sel:DWORD
                                        ; implicit-def: $vgpr20
	s_and_saveexec_b64 s[28:29], vcc
	s_xor_b64 s[34:35], exec, s[28:29]
	s_cbranch_execz .LBB4_5142
; %bb.5133:                             ;   in Loop: Header=BB4_3167 Depth=4
	v_mov_b32_e32 v20, 0
	v_cmp_ne_u32_e32 vcc, 0, v2
	s_and_saveexec_b64 s[36:37], vcc
	s_cbranch_execz .LBB4_5141
; %bb.5134:                             ;   in Loop: Header=BB4_3167 Depth=4
	v_bfe_u32 v20, v2, 23, 8
	v_cmp_gt_u32_e64 s[28:29], s46, v20
	v_sub_u32_e32 v2, 0x71, v20
	v_cmp_eq_u32_e32 vcc, 0, v20
	v_cndmask_b32_e64 v2, 0, v2, s[28:29]
	v_mov_b32_e32 v24, 0x70
	v_cndmask_b32_e32 v24, v2, v24, vcc
	v_or_b32_e32 v28, 0x800000, v0
	v_add_u32_e32 v2, 21, v24
	v_cndmask_b32_e32 v0, v28, v0, vcc
	v_lshlrev_b64 v[28:29], v2, -1
	v_add_u32_e32 v2, 20, v24
	v_bfi_b32 v28, v28, 0, v0
	v_lshlrev_b64 v[39:40], v2, 1
	v_lshrrev_b64 v[0:1], v24, v[0:1]
	v_bfi_b32 v29, v29, 0, 0
	v_cmp_eq_u64_e64 s[28:29], v[28:29], v[39:40]
	v_mov_b32_e32 v2, v1
	v_mov_b32_e32 v1, v0
	s_and_saveexec_b64 s[38:39], s[28:29]
; %bb.5135:                             ;   in Loop: Header=BB4_3167 Depth=4
	v_bfe_u32 v1, v0, 21, 1
	v_add_co_u32_e64 v1, s[28:29], v0, v1
	v_add_co_u32_e64 v1, s[28:29], -1, v1
; %bb.5136:                             ;   in Loop: Header=BB4_3167 Depth=4
	s_or_b64 exec, exec, s[38:39]
	v_add_u32_e32 v2, 0xffffff81, v20
	v_mov_b32_e32 v20, 0xffffff82
	v_cndmask_b32_e32 v2, v2, v20, vcc
	v_lshrrev_b32_e32 v20, 23, v0
	v_add3_u32 v24, v24, v2, v20
	v_add_u32_e32 v20, 14, v24
	v_and_b32_e32 v1, 0x1fffff, v1
	v_add_u32_e32 v0, v1, v0
	v_mov_b32_e32 v1, v17
	v_cmp_ne_u32_e32 vcc, 0, v20
                                        ; implicit-def: $vgpr2
	s_and_saveexec_b64 s[28:29], vcc
	s_xor_b64 s[28:29], exec, s[28:29]
; %bb.5137:                             ;   in Loop: Header=BB4_3167 Depth=4
	v_cmp_lt_u64_e32 vcc, s[88:89], v[0:1]
	v_add_u32_e32 v2, 15, v24
	v_cndmask_b32_e32 v2, v20, v2, vcc
	v_cndmask_b32_e64 v20, 0, 1, vcc
	v_lshrrev_b64 v[0:1], v20, v[0:1]
; %bb.5138:                             ;   in Loop: Header=BB4_3167 Depth=4
	s_andn2_saveexec_b64 s[28:29], s[28:29]
; %bb.5139:                             ;   in Loop: Header=BB4_3167 Depth=4
	v_bfe_u32 v2, v0, 23, 1
; %bb.5140:                             ;   in Loop: Header=BB4_3167 Depth=4
	s_or_b64 exec, exec, s[28:29]
	v_lshrrev_b64 v[0:1], 21, v[0:1]
	v_cmp_gt_i32_e32 vcc, 32, v2
	v_cndmask_b32_e32 v1, 0, v1, vcc
	v_cndmask_b32_e32 v0, 3, v0, vcc
	v_cmp_eq_u64_e64 s[28:29], 0, v[0:1]
	v_min_i32_e32 v1, 31, v2
	v_lshlrev_b32_e32 v1, 2, v1
	v_cmp_eq_u32_e32 vcc, 0, v2
	v_and_b32_e32 v1, 0xfc, v1
	v_and_or_b32 v0, v0, 3, v1
	s_and_b64 s[28:29], vcc, s[28:29]
	v_cndmask_b32_e64 v0, v0, 0, s[28:29]
	v_or_b32_e32 v20, v0, v4
.LBB4_5141:                             ;   in Loop: Header=BB4_3167 Depth=4
	s_or_b64 exec, exec, s[36:37]
                                        ; implicit-def: $vgpr4
.LBB4_5142:                             ;   in Loop: Header=BB4_3167 Depth=4
	s_andn2_saveexec_b64 s[28:29], s[34:35]
; %bb.5143:                             ;   in Loop: Header=BB4_3167 Depth=4
	v_or_b32_e32 v20, 0x7b, v4
; %bb.5144:                             ;   in Loop: Header=BB4_3167 Depth=4
	s_or_b64 exec, exec, s[28:29]
                                        ; implicit-def: $vgpr2
                                        ; implicit-def: $vgpr0_vgpr1
.LBB4_5145:                             ;   in Loop: Header=BB4_3167 Depth=4
	s_andn2_saveexec_b64 s[28:29], s[30:31]
	s_cbranch_execz .LBB4_5151
; %bb.5146:                             ;   in Loop: Header=BB4_3167 Depth=4
	v_cmp_ne_u64_e32 vcc, 0, v[0:1]
                                        ; implicit-def: $vgpr20
	s_and_saveexec_b64 s[30:31], vcc
	s_xor_b64 vcc, exec, s[30:31]
; %bb.5147:                             ;   in Loop: Header=BB4_3167 Depth=4
	v_or_b32_sdwa v20, v2, s47 dst_sel:DWORD dst_unused:UNUSED_PAD src0_sel:BYTE_3 src1_sel:DWORD
                                        ; implicit-def: $vgpr2
; %bb.5148:                             ;   in Loop: Header=BB4_3167 Depth=4
	s_andn2_saveexec_b64 s[30:31], vcc
; %bb.5149:                             ;   in Loop: Header=BB4_3167 Depth=4
	v_cmp_lt_i32_e32 vcc, -1, v2
	v_bfrev_b32_e32 v0, 0.5
	v_cndmask_b32_e32 v20, v0, v52, vcc
; %bb.5150:                             ;   in Loop: Header=BB4_3167 Depth=4
	s_or_b64 exec, exec, s[30:31]
.LBB4_5151:                             ;   in Loop: Header=BB4_3167 Depth=4
	s_or_b64 exec, exec, s[28:29]
	v_and_b32_sdwa v4, v16, s87 dst_sel:DWORD dst_unused:UNUSED_PAD src0_sel:WORD_1 src1_sel:DWORD
	v_lshrrev_b32_e32 v0, 16, v16
	v_cmp_ne_u16_e32 vcc, 0, v4
	v_mov_b32_e32 v1, 0
	v_mov_b32_e32 v2, 0
	s_and_saveexec_b64 s[28:29], vcc
	s_cbranch_execz .LBB4_5159
; %bb.5152:                             ;   in Loop: Header=BB4_3167 Depth=4
	v_cmp_ne_u16_e32 vcc, s96, v4
	v_bfrev_b32_e32 v2, 1
	s_and_saveexec_b64 s[30:31], vcc
	s_cbranch_execz .LBB4_5158
; %bb.5153:                             ;   in Loop: Header=BB4_3167 Depth=4
	v_and_b32_e32 v2, 0x7c0000, v16
	v_bfe_u32 v4, v16, 16, 2
	v_cmp_ne_u32_e32 vcc, s44, v2
                                        ; implicit-def: $vgpr2
	s_and_saveexec_b64 s[34:35], vcc
	s_xor_b64 s[34:35], exec, s[34:35]
	s_cbranch_execz .LBB4_5155
; %bb.5154:                             ;   in Loop: Header=BB4_3167 Depth=4
	v_ffbh_u32_e32 v24, v4
	v_min_u32_e32 v24, 32, v24
	v_subrev_u32_e32 v28, 29, v24
	v_lshlrev_b64 v[28:29], v28, v[0:1]
	v_bfe_u32 v2, v16, 18, 5
	v_sub_u32_e32 v0, 30, v24
	v_and_b32_e32 v24, 3, v28
	v_cmp_eq_u32_e32 vcc, 0, v2
	v_cndmask_b32_e32 v0, v2, v0, vcc
	v_cndmask_b32_e32 v2, v4, v24, vcc
	v_lshlrev_b32_e32 v4, 8, v16
	v_and_b32_e32 v4, 0x80000000, v4
	v_lshl_add_u32 v0, v0, 23, v4
	v_lshl_or_b32 v0, v2, 21, v0
	v_add_u32_e32 v2, 0x38000000, v0
                                        ; implicit-def: $vgpr4
                                        ; implicit-def: $vgpr0
.LBB4_5155:                             ;   in Loop: Header=BB4_3167 Depth=4
	s_andn2_saveexec_b64 s[34:35], s[34:35]
; %bb.5156:                             ;   in Loop: Header=BB4_3167 Depth=4
	v_mov_b32_e32 v2, -1
	v_cmp_gt_i16_sdwa vcc, sext(v0), v2 src0_sel:BYTE_0 src1_sel:DWORD
	v_mov_b32_e32 v0, 0xff800000
	v_mov_b32_e32 v2, 0x7f800000
	v_cndmask_b32_e32 v0, v0, v2, vcc
	v_cmp_eq_u32_e32 vcc, 0, v4
	v_mov_b32_e32 v2, 0x7f800001
	v_cndmask_b32_e32 v2, v2, v0, vcc
; %bb.5157:                             ;   in Loop: Header=BB4_3167 Depth=4
	s_or_b64 exec, exec, s[34:35]
.LBB4_5158:                             ;   in Loop: Header=BB4_3167 Depth=4
	s_or_b64 exec, exec, s[30:31]
.LBB4_5159:                             ;   in Loop: Header=BB4_3167 Depth=4
	s_or_b64 exec, exec, s[28:29]
	v_lshrrev_b32_e32 v0, 16, v11
	v_cmp_ne_u16_sdwa vcc, v0, v17 src0_sel:BYTE_0 src1_sel:DWORD
	s_and_saveexec_b64 s[28:29], vcc
	s_cbranch_execz .LBB4_5167
; %bb.5160:                             ;   in Loop: Header=BB4_3167 Depth=4
	v_cmp_ne_u16_sdwa vcc, v0, s96 src0_sel:BYTE_0 src1_sel:DWORD
	v_bfrev_b32_e32 v1, 1
	s_and_saveexec_b64 s[30:31], vcc
	s_cbranch_execz .LBB4_5166
; %bb.5161:                             ;   in Loop: Header=BB4_3167 Depth=4
	v_and_b32_e32 v1, 0x7c0000, v11
	v_bfe_u32 v4, v11, 16, 2
	v_cmp_ne_u32_e32 vcc, s44, v1
                                        ; implicit-def: $vgpr1
	s_and_saveexec_b64 s[34:35], vcc
	s_xor_b64 s[34:35], exec, s[34:35]
	s_cbranch_execz .LBB4_5163
; %bb.5162:                             ;   in Loop: Header=BB4_3167 Depth=4
	v_ffbh_u32_e32 v1, v4
	v_min_u32_e32 v28, 32, v1
	v_subrev_u32_e32 v1, 29, v28
	v_lshlrev_b64 v[0:1], v1, v[0:1]
	v_bfe_u32 v24, v11, 18, 5
	v_and_b32_e32 v0, 3, v0
	v_cmp_eq_u32_e32 vcc, 0, v24
	v_sub_u32_e32 v1, 30, v28
	v_cndmask_b32_e32 v0, v4, v0, vcc
	v_lshlrev_b32_e32 v4, 8, v11
	v_cndmask_b32_e32 v1, v24, v1, vcc
	v_and_b32_e32 v4, 0x80000000, v4
	v_lshl_add_u32 v1, v1, 23, v4
	v_lshl_or_b32 v0, v0, 21, v1
	v_add_u32_e32 v1, 0x38000000, v0
                                        ; implicit-def: $vgpr4
                                        ; implicit-def: $vgpr0
.LBB4_5163:                             ;   in Loop: Header=BB4_3167 Depth=4
	s_andn2_saveexec_b64 s[34:35], s[34:35]
; %bb.5164:                             ;   in Loop: Header=BB4_3167 Depth=4
	v_mov_b32_e32 v1, -1
	v_cmp_gt_i16_sdwa vcc, sext(v0), v1 src0_sel:BYTE_0 src1_sel:DWORD
	v_mov_b32_e32 v0, 0xff800000
	v_mov_b32_e32 v1, 0x7f800000
	v_cndmask_b32_e32 v0, v0, v1, vcc
	v_cmp_eq_u32_e32 vcc, 0, v4
	v_mov_b32_e32 v1, 0x7f800001
	v_cndmask_b32_e32 v1, v1, v0, vcc
; %bb.5165:                             ;   in Loop: Header=BB4_3167 Depth=4
	s_or_b64 exec, exec, s[34:35]
.LBB4_5166:                             ;   in Loop: Header=BB4_3167 Depth=4
	s_or_b64 exec, exec, s[30:31]
.LBB4_5167:                             ;   in Loop: Header=BB4_3167 Depth=4
	s_or_b64 exec, exec, s[28:29]
	v_add_f32_e32 v2, v2, v1
	v_and_b32_e32 v28, 0x7f800000, v2
	v_mov_b32_e32 v29, v17
	v_cmp_ne_u64_e32 vcc, s[76:77], v[28:29]
	v_and_b32_e32 v0, 0x7fffff, v2
	v_mov_b32_e32 v1, v17
                                        ; implicit-def: $vgpr24
	s_and_saveexec_b64 s[28:29], vcc
	s_xor_b64 s[30:31], exec, s[28:29]
	s_cbranch_execz .LBB4_5181
; %bb.5168:                             ;   in Loop: Header=BB4_3167 Depth=4
	v_and_b32_e32 v28, 0x7fffffff, v2
	v_mov_b32_e32 v29, v17
	v_cmp_gt_u64_e32 vcc, s[78:79], v[28:29]
	v_and_b32_sdwa v4, v2, s96 dst_sel:DWORD dst_unused:UNUSED_PAD src0_sel:BYTE_3 src1_sel:DWORD
                                        ; implicit-def: $vgpr24
	s_and_saveexec_b64 s[28:29], vcc
	s_xor_b64 s[34:35], exec, s[28:29]
	s_cbranch_execz .LBB4_5178
; %bb.5169:                             ;   in Loop: Header=BB4_3167 Depth=4
	v_mov_b32_e32 v24, 0
	v_cmp_ne_u32_e32 vcc, 0, v2
	s_and_saveexec_b64 s[36:37], vcc
	s_cbranch_execz .LBB4_5177
; %bb.5170:                             ;   in Loop: Header=BB4_3167 Depth=4
	v_bfe_u32 v24, v2, 23, 8
	v_cmp_gt_u32_e64 s[28:29], s46, v24
	v_sub_u32_e32 v2, 0x71, v24
	v_cmp_eq_u32_e32 vcc, 0, v24
	v_cndmask_b32_e64 v2, 0, v2, s[28:29]
	v_mov_b32_e32 v29, 0x70
	v_cndmask_b32_e32 v30, v2, v29, vcc
	v_or_b32_e32 v28, 0x800000, v0
	v_add_u32_e32 v2, 21, v30
	v_cndmask_b32_e32 v0, v28, v0, vcc
	v_lshlrev_b64 v[28:29], v2, -1
	v_add_u32_e32 v2, 20, v30
	v_bfi_b32 v28, v28, 0, v0
	v_lshlrev_b64 v[39:40], v2, 1
	v_lshrrev_b64 v[0:1], v30, v[0:1]
	v_bfi_b32 v29, v29, 0, 0
	v_cmp_eq_u64_e64 s[28:29], v[28:29], v[39:40]
	v_mov_b32_e32 v2, v1
	v_mov_b32_e32 v1, v0
	s_and_saveexec_b64 s[38:39], s[28:29]
; %bb.5171:                             ;   in Loop: Header=BB4_3167 Depth=4
	v_bfe_u32 v1, v0, 21, 1
	v_add_co_u32_e64 v1, s[28:29], v0, v1
	v_add_co_u32_e64 v1, s[28:29], -1, v1
; %bb.5172:                             ;   in Loop: Header=BB4_3167 Depth=4
	s_or_b64 exec, exec, s[38:39]
	v_add_u32_e32 v2, 0xffffff81, v24
	v_mov_b32_e32 v24, 0xffffff82
	v_cndmask_b32_e32 v2, v2, v24, vcc
	v_lshrrev_b32_e32 v24, 23, v0
	v_add3_u32 v30, v30, v2, v24
	v_add_u32_e32 v24, 14, v30
	v_and_b32_e32 v1, 0x1fffff, v1
	v_add_u32_e32 v0, v1, v0
	v_mov_b32_e32 v1, v17
	v_cmp_ne_u32_e32 vcc, 0, v24
                                        ; implicit-def: $vgpr2
	s_and_saveexec_b64 s[28:29], vcc
	s_xor_b64 s[28:29], exec, s[28:29]
; %bb.5173:                             ;   in Loop: Header=BB4_3167 Depth=4
	v_cmp_lt_u64_e32 vcc, s[88:89], v[0:1]
	v_add_u32_e32 v2, 15, v30
	v_cndmask_b32_e32 v2, v24, v2, vcc
	v_cndmask_b32_e64 v24, 0, 1, vcc
	v_lshrrev_b64 v[0:1], v24, v[0:1]
; %bb.5174:                             ;   in Loop: Header=BB4_3167 Depth=4
	s_andn2_saveexec_b64 s[28:29], s[28:29]
; %bb.5175:                             ;   in Loop: Header=BB4_3167 Depth=4
	v_bfe_u32 v2, v0, 23, 1
; %bb.5176:                             ;   in Loop: Header=BB4_3167 Depth=4
	s_or_b64 exec, exec, s[28:29]
	v_lshrrev_b64 v[0:1], 21, v[0:1]
	v_cmp_gt_i32_e32 vcc, 32, v2
	v_cndmask_b32_e32 v1, 0, v1, vcc
	v_cndmask_b32_e32 v0, 3, v0, vcc
	v_cmp_eq_u64_e64 s[28:29], 0, v[0:1]
	v_min_i32_e32 v1, 31, v2
	v_lshlrev_b32_e32 v1, 2, v1
	v_cmp_eq_u32_e32 vcc, 0, v2
	v_and_b32_e32 v1, 0xfc, v1
	v_and_or_b32 v0, v0, 3, v1
	s_and_b64 s[28:29], vcc, s[28:29]
	v_cndmask_b32_e64 v0, v0, 0, s[28:29]
	v_or_b32_e32 v24, v0, v4
.LBB4_5177:                             ;   in Loop: Header=BB4_3167 Depth=4
	s_or_b64 exec, exec, s[36:37]
                                        ; implicit-def: $vgpr4
.LBB4_5178:                             ;   in Loop: Header=BB4_3167 Depth=4
	s_andn2_saveexec_b64 s[28:29], s[34:35]
; %bb.5179:                             ;   in Loop: Header=BB4_3167 Depth=4
	v_or_b32_e32 v24, 0x7b, v4
; %bb.5180:                             ;   in Loop: Header=BB4_3167 Depth=4
	s_or_b64 exec, exec, s[28:29]
                                        ; implicit-def: $vgpr2
                                        ; implicit-def: $vgpr0_vgpr1
.LBB4_5181:                             ;   in Loop: Header=BB4_3167 Depth=4
	s_andn2_saveexec_b64 s[28:29], s[30:31]
	s_cbranch_execz .LBB4_5187
; %bb.5182:                             ;   in Loop: Header=BB4_3167 Depth=4
	v_cmp_ne_u64_e32 vcc, 0, v[0:1]
                                        ; implicit-def: $vgpr24
	s_and_saveexec_b64 s[30:31], vcc
	s_xor_b64 vcc, exec, s[30:31]
; %bb.5183:                             ;   in Loop: Header=BB4_3167 Depth=4
	v_or_b32_sdwa v24, v2, s47 dst_sel:DWORD dst_unused:UNUSED_PAD src0_sel:BYTE_3 src1_sel:DWORD
                                        ; implicit-def: $vgpr2
; %bb.5184:                             ;   in Loop: Header=BB4_3167 Depth=4
	s_andn2_saveexec_b64 s[30:31], vcc
; %bb.5185:                             ;   in Loop: Header=BB4_3167 Depth=4
	v_cmp_lt_i32_e32 vcc, -1, v2
	v_bfrev_b32_e32 v0, 0.5
	v_cndmask_b32_e32 v24, v0, v52, vcc
; %bb.5186:                             ;   in Loop: Header=BB4_3167 Depth=4
	s_or_b64 exec, exec, s[30:31]
.LBB4_5187:                             ;   in Loop: Header=BB4_3167 Depth=4
	s_or_b64 exec, exec, s[28:29]
	v_cmp_lt_u32_e32 vcc, s57, v16
	v_mov_b32_e32 v1, 0
	v_mov_b32_e32 v2, 0
	s_and_saveexec_b64 s[28:29], vcc
	s_cbranch_execz .LBB4_5195
; %bb.5188:                             ;   in Loop: Header=BB4_3167 Depth=4
	v_lshrrev_b32_e32 v0, 24, v16
	v_cmp_ne_u32_e32 vcc, s96, v0
	v_bfrev_b32_e32 v2, 1
	s_and_saveexec_b64 s[30:31], vcc
	s_cbranch_execz .LBB4_5194
; %bb.5189:                             ;   in Loop: Header=BB4_3167 Depth=4
	v_and_b32_e32 v2, 0x7c000000, v16
	v_bfe_u32 v4, v16, 24, 2
	v_cmp_ne_u32_e32 vcc, s45, v2
                                        ; implicit-def: $vgpr2
	s_and_saveexec_b64 s[34:35], vcc
	s_xor_b64 s[34:35], exec, s[34:35]
	s_cbranch_execz .LBB4_5191
; %bb.5190:                             ;   in Loop: Header=BB4_3167 Depth=4
	v_ffbh_u32_e32 v28, v4
	v_min_u32_e32 v30, 32, v28
	v_subrev_u32_e32 v28, 29, v30
	v_lshlrev_b64 v[28:29], v28, v[0:1]
	v_bfe_u32 v2, v16, 26, 5
	v_sub_u32_e32 v0, 30, v30
	v_and_b32_e32 v28, 3, v28
	v_cmp_eq_u32_e32 vcc, 0, v2
	v_cndmask_b32_e32 v0, v2, v0, vcc
	v_cndmask_b32_e32 v2, v4, v28, vcc
	v_and_b32_e32 v4, 0x80000000, v16
	v_lshl_add_u32 v0, v0, 23, v4
	v_lshl_or_b32 v0, v2, 21, v0
	v_add_u32_e32 v2, 0x38000000, v0
                                        ; implicit-def: $vgpr4
.LBB4_5191:                             ;   in Loop: Header=BB4_3167 Depth=4
	s_andn2_saveexec_b64 s[34:35], s[34:35]
; %bb.5192:                             ;   in Loop: Header=BB4_3167 Depth=4
	v_cmp_lt_i32_e32 vcc, -1, v16
	v_mov_b32_e32 v0, 0xff800000
	v_mov_b32_e32 v2, 0x7f800000
	v_cndmask_b32_e32 v0, v0, v2, vcc
	v_cmp_eq_u32_e32 vcc, 0, v4
	v_mov_b32_e32 v2, 0x7f800001
	v_cndmask_b32_e32 v2, v2, v0, vcc
; %bb.5193:                             ;   in Loop: Header=BB4_3167 Depth=4
	s_or_b64 exec, exec, s[34:35]
.LBB4_5194:                             ;   in Loop: Header=BB4_3167 Depth=4
	s_or_b64 exec, exec, s[30:31]
.LBB4_5195:                             ;   in Loop: Header=BB4_3167 Depth=4
	s_or_b64 exec, exec, s[28:29]
	v_cmp_lt_u64_e32 vcc, s[56:57], v[10:11]
	s_and_saveexec_b64 s[28:29], vcc
	s_cbranch_execz .LBB4_5203
; %bb.5196:                             ;   in Loop: Header=BB4_3167 Depth=4
	v_lshrrev_b32_e32 v0, 24, v11
	v_cmp_ne_u32_e32 vcc, s96, v0
	v_bfrev_b32_e32 v1, 1
	s_and_saveexec_b64 s[30:31], vcc
	s_cbranch_execz .LBB4_5202
; %bb.5197:                             ;   in Loop: Header=BB4_3167 Depth=4
	v_and_b32_e32 v1, 0x7c000000, v11
	v_bfe_u32 v4, v11, 24, 2
	v_cmp_ne_u32_e32 vcc, s45, v1
                                        ; implicit-def: $vgpr1
	s_and_saveexec_b64 s[34:35], vcc
	s_xor_b64 s[34:35], exec, s[34:35]
	s_cbranch_execz .LBB4_5199
; %bb.5198:                             ;   in Loop: Header=BB4_3167 Depth=4
	v_ffbh_u32_e32 v1, v4
	v_min_u32_e32 v16, 32, v1
	v_subrev_u32_e32 v1, 29, v16
	v_lshlrev_b64 v[0:1], v1, v[0:1]
	v_bfe_u32 v10, v11, 26, 5
	v_sub_u32_e32 v1, 30, v16
	v_and_b32_e32 v0, 3, v0
	v_cmp_eq_u32_e32 vcc, 0, v10
	v_cndmask_b32_e32 v1, v10, v1, vcc
	v_cndmask_b32_e32 v0, v4, v0, vcc
	v_and_b32_e32 v4, 0x80000000, v11
	v_lshl_add_u32 v1, v1, 23, v4
	v_lshl_or_b32 v0, v0, 21, v1
	v_add_u32_e32 v1, 0x38000000, v0
                                        ; implicit-def: $vgpr4
                                        ; implicit-def: $vgpr10_vgpr11
.LBB4_5199:                             ;   in Loop: Header=BB4_3167 Depth=4
	s_andn2_saveexec_b64 s[34:35], s[34:35]
; %bb.5200:                             ;   in Loop: Header=BB4_3167 Depth=4
	v_cmp_lt_i64_e32 vcc, -1, v[10:11]
	v_mov_b32_e32 v0, 0xff800000
	v_mov_b32_e32 v1, 0x7f800000
	v_cndmask_b32_e32 v0, v0, v1, vcc
	v_cmp_eq_u32_e32 vcc, 0, v4
	v_mov_b32_e32 v1, 0x7f800001
	v_cndmask_b32_e32 v1, v1, v0, vcc
; %bb.5201:                             ;   in Loop: Header=BB4_3167 Depth=4
	s_or_b64 exec, exec, s[34:35]
.LBB4_5202:                             ;   in Loop: Header=BB4_3167 Depth=4
	s_or_b64 exec, exec, s[30:31]
.LBB4_5203:                             ;   in Loop: Header=BB4_3167 Depth=4
	s_or_b64 exec, exec, s[28:29]
	v_add_f32_e32 v1, v2, v1
	v_and_b32_e32 v10, 0x7f800000, v1
	v_mov_b32_e32 v11, v17
	v_cmp_ne_u64_e32 vcc, s[76:77], v[10:11]
	v_and_b32_e32 v16, 0x7fffff, v1
                                        ; implicit-def: $vgpr0
	s_and_saveexec_b64 s[28:29], vcc
	s_xor_b64 s[30:31], exec, s[28:29]
	s_cbranch_execz .LBB4_5217
; %bb.5204:                             ;   in Loop: Header=BB4_3167 Depth=4
	v_and_b32_e32 v10, 0x7fffffff, v1
	v_mov_b32_e32 v11, v17
	v_cmp_gt_u64_e32 vcc, s[78:79], v[10:11]
	v_and_b32_sdwa v4, v1, s96 dst_sel:DWORD dst_unused:UNUSED_PAD src0_sel:BYTE_3 src1_sel:DWORD
                                        ; implicit-def: $vgpr0
	s_and_saveexec_b64 s[28:29], vcc
	s_xor_b64 s[34:35], exec, s[28:29]
	s_cbranch_execz .LBB4_5214
; %bb.5205:                             ;   in Loop: Header=BB4_3167 Depth=4
	v_mov_b32_e32 v0, 0
	v_cmp_ne_u32_e32 vcc, 0, v1
	s_and_saveexec_b64 s[36:37], vcc
	s_cbranch_execz .LBB4_5213
; %bb.5206:                             ;   in Loop: Header=BB4_3167 Depth=4
	v_bfe_u32 v10, v1, 23, 8
	v_cmp_gt_u32_e64 s[28:29], s46, v10
	v_sub_u32_e32 v0, 0x71, v10
	v_cmp_eq_u32_e32 vcc, 0, v10
	v_cndmask_b32_e64 v0, 0, v0, s[28:29]
	v_mov_b32_e32 v2, 0x70
	v_cndmask_b32_e32 v11, v0, v2, vcc
	v_add_u32_e32 v2, 21, v11
	v_or_b32_e32 v1, 0x800000, v16
	v_lshlrev_b64 v[28:29], v2, -1
	v_cndmask_b32_e32 v0, v1, v16, vcc
	v_mov_b32_e32 v1, v17
	v_add_u32_e32 v2, 20, v11
	v_bfi_b32 v28, v28, 0, v0
	v_lshlrev_b64 v[39:40], v2, 1
	v_lshrrev_b64 v[0:1], v11, v[0:1]
	v_bfi_b32 v29, v29, 0, 0
	v_cmp_eq_u64_e64 s[28:29], v[28:29], v[39:40]
	v_mov_b32_e32 v2, v1
	v_mov_b32_e32 v1, v0
	s_and_saveexec_b64 s[38:39], s[28:29]
; %bb.5207:                             ;   in Loop: Header=BB4_3167 Depth=4
	v_bfe_u32 v1, v0, 21, 1
	v_add_co_u32_e64 v1, s[28:29], v0, v1
	v_add_co_u32_e64 v1, s[28:29], -1, v1
; %bb.5208:                             ;   in Loop: Header=BB4_3167 Depth=4
	s_or_b64 exec, exec, s[38:39]
	v_add_u32_e32 v2, 0xffffff81, v10
	v_mov_b32_e32 v10, 0xffffff82
	v_cndmask_b32_e32 v2, v2, v10, vcc
	v_lshrrev_b32_e32 v10, 23, v0
	v_add3_u32 v11, v11, v2, v10
	v_add_u32_e32 v10, 14, v11
	v_and_b32_e32 v1, 0x1fffff, v1
	v_add_u32_e32 v16, v1, v0
	v_cmp_ne_u32_e32 vcc, 0, v10
                                        ; implicit-def: $vgpr0_vgpr1
                                        ; implicit-def: $vgpr2
	s_and_saveexec_b64 s[28:29], vcc
	s_xor_b64 s[28:29], exec, s[28:29]
; %bb.5209:                             ;   in Loop: Header=BB4_3167 Depth=4
	v_cmp_lt_u64_e32 vcc, s[88:89], v[16:17]
	v_add_u32_e32 v0, 15, v11
	v_cndmask_b32_e32 v2, v10, v0, vcc
	v_cndmask_b32_e64 v0, 0, 1, vcc
	v_lshrrev_b64 v[0:1], v0, v[16:17]
; %bb.5210:                             ;   in Loop: Header=BB4_3167 Depth=4
	s_andn2_saveexec_b64 s[28:29], s[28:29]
; %bb.5211:                             ;   in Loop: Header=BB4_3167 Depth=4
	v_mov_b32_e32 v0, v16
	v_mov_b32_e32 v1, v17
	v_bfe_u32 v2, v16, 23, 1
; %bb.5212:                             ;   in Loop: Header=BB4_3167 Depth=4
	s_or_b64 exec, exec, s[28:29]
	v_lshrrev_b64 v[0:1], 21, v[0:1]
	v_cmp_gt_i32_e32 vcc, 32, v2
	v_cndmask_b32_e32 v1, 0, v1, vcc
	v_cndmask_b32_e32 v0, 3, v0, vcc
	v_cmp_eq_u64_e64 s[28:29], 0, v[0:1]
	v_min_i32_e32 v1, 31, v2
	v_lshlrev_b32_e32 v1, 2, v1
	v_cmp_eq_u32_e32 vcc, 0, v2
	v_and_b32_e32 v1, 0xfc, v1
	v_and_or_b32 v0, v0, 3, v1
	s_and_b64 s[28:29], vcc, s[28:29]
	v_cndmask_b32_e64 v0, v0, 0, s[28:29]
	v_or_b32_e32 v0, v0, v4
.LBB4_5213:                             ;   in Loop: Header=BB4_3167 Depth=4
	s_or_b64 exec, exec, s[36:37]
                                        ; implicit-def: $vgpr4
.LBB4_5214:                             ;   in Loop: Header=BB4_3167 Depth=4
	s_andn2_saveexec_b64 s[28:29], s[34:35]
; %bb.5215:                             ;   in Loop: Header=BB4_3167 Depth=4
	v_or_b32_e32 v0, 0x7b, v4
; %bb.5216:                             ;   in Loop: Header=BB4_3167 Depth=4
	s_or_b64 exec, exec, s[28:29]
                                        ; implicit-def: $vgpr1
.LBB4_5217:                             ;   in Loop: Header=BB4_3167 Depth=4
	s_andn2_saveexec_b64 s[28:29], s[30:31]
	s_cbranch_execz .LBB4_3166
; %bb.5218:                             ;   in Loop: Header=BB4_3167 Depth=4
	v_cmp_ne_u64_e32 vcc, 0, v[16:17]
                                        ; implicit-def: $vgpr0
	s_and_saveexec_b64 s[30:31], vcc
	s_xor_b64 vcc, exec, s[30:31]
; %bb.5219:                             ;   in Loop: Header=BB4_3167 Depth=4
	v_or_b32_sdwa v0, v1, s47 dst_sel:DWORD dst_unused:UNUSED_PAD src0_sel:BYTE_3 src1_sel:DWORD
                                        ; implicit-def: $vgpr1
; %bb.5220:                             ;   in Loop: Header=BB4_3167 Depth=4
	s_andn2_saveexec_b64 s[30:31], vcc
	s_cbranch_execz .LBB4_3165
; %bb.5221:                             ;   in Loop: Header=BB4_3167 Depth=4
	v_cmp_lt_i32_e32 vcc, -1, v1
	v_bfrev_b32_e32 v0, 0.5
	v_cndmask_b32_e32 v0, v0, v52, vcc
	s_branch .LBB4_3165
.LBB4_5222:                             ;   in Loop: Header=BB4_3084 Depth=3
	s_or_b64 exec, exec, s[40:41]
	buffer_load_dword v47, off, s[0:3], s33 offset:212 ; 4-byte Folded Reload
	buffer_load_dword v53, off, s[0:3], s33 offset:228 ; 4-byte Folded Reload
	;; [unrolled: 1-line block ×6, first 2 shown]
.LBB4_5223:                             ;   in Loop: Header=BB4_3084 Depth=3
	s_or_b64 exec, exec, s[42:43]
	buffer_load_dword v0, off, s[0:3], s33 offset:148 ; 4-byte Folded Reload
	s_waitcnt vmcnt(1)
	v_lshlrev_b32_e32 v4, 11, v1
	s_mov_b64 s[28:29], 0
	v_mov_b32_e32 v6, 0
                                        ; implicit-def: $vgpr7
                                        ; implicit-def: $vgpr2
	s_waitcnt vmcnt(0)
	v_cmp_ne_u32_e32 vcc, v0, v4
	s_and_saveexec_b64 s[30:31], vcc
	s_cbranch_execz .LBB4_6229
; %bb.5224:                             ;   in Loop: Header=BB4_3084 Depth=3
	buffer_load_dword v0, off, s[0:3], s33 offset:148 ; 4-byte Folded Reload
	buffer_load_dword v2, off, s[0:3], s33 offset:340 ; 4-byte Folded Reload
	s_waitcnt vmcnt(1)
	v_sub_u32_e32 v1, v0, v4
	v_lshlrev_b32_e32 v0, 6, v3
	s_waitcnt vmcnt(0)
	v_sub_u32_e32 v0, v2, v0
	v_ashrrev_i32_e32 v2, 31, v0
	v_lshrrev_b32_e32 v2, 26, v2
	v_add_u32_e32 v2, v0, v2
	v_ashrrev_i32_e32 v3, 6, v2
	v_and_b32_e32 v2, 0xffffffc0, v2
	v_sub_u32_e32 v5, v0, v2
	v_ashrrev_i32_e32 v2, 31, v1
	v_lshrrev_b32_e32 v2, 22, v2
	v_add_u32_e32 v2, v1, v2
	v_and_b32_e32 v6, 0xfffffc00, v2
	v_lshlrev_b32_e32 v0, 4, v5
	v_sub_u32_e32 v7, v1, v6
	v_lshl_add_u32 v0, v3, 10, v0
	v_ashrrev_i32_e32 v8, 10, v2
	v_cmp_lt_i32_e64 s[28:29], 15, v7
	v_sub_u32_e32 v19, v1, v0
	v_addc_co_u32_e64 v1, vcc, 0, v8, s[28:29]
	v_sub_u32_e32 v18, v1, v3
	v_cmp_lt_i32_e32 vcc, 15, v19
	s_and_saveexec_b64 s[34:35], vcc
	s_cbranch_execz .LBB4_6228
; %bb.5225:                             ;   in Loop: Header=BB4_3084 Depth=3
	v_add_u32_e32 v2, v0, v4
	s_trap 2
	ds_read_b64 v[0:1], v0
	v_ashrrev_i32_e32 v3, 31, v2
	v_add_co_u32_e32 v12, vcc, v2, v40
	v_addc_co_u32_e32 v13, vcc, v3, v41, vcc
	s_waitcnt lgkmcnt(0)
	v_add_co_u32_e32 v14, vcc, v0, v2
	v_addc_co_u32_e32 v15, vcc, v1, v3, vcc
	v_readfirstlane_b32 s42, v0
	v_add_co_u32_e32 v44, vcc, v2, v53
	s_bfe_i32 s38, s42, 0x80000
	s_and_b32 s43, s42, 3
	s_bfe_u32 s40, s42, 0x50002
	s_and_b32 s41, s42, 0x7c
	v_addc_co_u32_e32 v45, vcc, v3, v54, vcc
	s_cmpk_eq_i32 s41, 0x7c
	s_flbit_i32_b32 s41, s43
	s_cselect_b64 vcc, -1, 0
	s_min_u32 s41, s41, 32
	s_sub_i32 s36, s41, 29
	v_lshlrev_b64 v[0:1], s36, v[0:1]
	s_sub_i32 s41, 30, s41
	s_cmp_eq_u32 s40, 0
	v_and_b32_e32 v0, 3, v0
	s_cselect_b32 s36, s41, s40
	v_mov_b32_e32 v1, s43
	s_cselect_b64 s[40:41], -1, 0
	v_cndmask_b32_e64 v0, v1, v0, s[40:41]
	s_lshl_b32 s40, s42, 24
	s_and_b32 s40, s40, 0x80000000
	s_lshl_b32 s41, s36, 23
	s_add_i32 s41, s41, s40
	v_lshlrev_b32_e32 v0, 21, v0
	s_cmp_eq_u32 s43, 0
	s_sext_i32_i8 s42, s42
	v_or_b32_e32 v0, s41, v0
	s_cselect_b64 s[40:41], -1, 0
	s_cmp_gt_i32 s42, -1
	s_cselect_b64 s[42:43], -1, 0
	v_mov_b32_e32 v1, 0xff800000
	v_mov_b32_e32 v2, 0x7f800000
	v_cndmask_b32_e64 v1, v1, v2, s[42:43]
	v_mov_b32_e32 v2, 0x7f800001
	v_add_u32_e32 v0, 0x38000000, v0
	v_cndmask_b32_e64 v1, v2, v1, s[40:41]
	v_cndmask_b32_e32 v20, v0, v1, vcc
	s_mov_b64 s[36:37], 0
	s_and_b32 s52, s38, 0xff
	s_branch .LBB4_5228
.LBB4_5226:                             ;   in Loop: Header=BB4_5228 Depth=4
	s_or_b64 exec, exec, s[42:43]
.LBB4_5227:                             ;   in Loop: Header=BB4_5228 Depth=4
	s_or_b64 exec, exec, s[40:41]
	v_lshl_or_b32 v1, v37, 8, v35
	v_lshlrev_b32_e32 v2, 16, v38
	v_lshlrev_b32_e32 v8, 24, v8
	v_or3_b32 v36, v1, v2, v8
	v_lshl_or_b32 v1, v24, 8, v21
	v_lshlrev_b32_e32 v2, 16, v27
	v_lshlrev_b32_e32 v8, 24, v33
	v_or3_b32 v35, v1, v2, v8
	;; [unrolled: 4-line block ×3, first 2 shown]
	v_lshlrev_b32_e32 v0, 24, v0
	v_lshlrev_b32_e32 v1, 16, v26
	v_lshl_or_b32 v2, v23, 8, v3
	v_or3_b32 v38, v2, v1, v0
	buffer_load_dword v0, off, s[0:3], s33 offset:96 ; 4-byte Folded Reload
	s_waitcnt vmcnt(0)
	v_add_co_u32_e32 v12, vcc, v12, v0
	v_addc_co_u32_e32 v13, vcc, 0, v13, vcc
	v_add_co_u32_e32 v14, vcc, v14, v0
	v_addc_co_u32_e32 v15, vcc, 0, v15, vcc
	global_store_dwordx4 v[44:45], v[35:38], off glc slc
	v_add_co_u32_e32 v44, vcc, v44, v0
	v_sub_u32_e32 v19, v19, v0
	buffer_load_dword v0, off, s[0:3], s33 offset:92 ; 4-byte Folded Reload
	v_addc_co_u32_e32 v45, vcc, 0, v45, vcc
	v_cmp_gt_i32_e32 vcc, 16, v19
	s_or_b64 s[36:37], vcc, s[36:37]
	s_waitcnt vmcnt(0)
	v_sub_u32_e32 v18, v18, v0
	s_andn2_b64 exec, exec, s[36:37]
	s_cbranch_execz .LBB4_6227
.LBB4_5228:                             ;   Parent Loop BB4_47 Depth=1
                                        ;     Parent Loop BB4_3081 Depth=2
                                        ;       Parent Loop BB4_3084 Depth=3
                                        ; =>      This Inner Loop Header: Depth=4
	s_cmpk_lt_i32 s52, 0x80
	s_cbranch_scc1 .LBB4_5232
; %bb.5229:                             ;   in Loop: Header=BB4_5228 Depth=4
	s_and_b32 s42, 0xffff, s52
	s_mov_b64 s[40:41], -1
	s_cmpk_eq_i32 s42, 0x80
	s_cbranch_scc0 .LBB4_5231
; %bb.5230:                             ;   in Loop: Header=BB4_5228 Depth=4
	s_mov_b64 s[40:41], 0
.LBB4_5231:                             ;   in Loop: Header=BB4_5228 Depth=4
	s_brev_b32 s38, 1
	s_branch .LBB4_5234
.LBB4_5232:                             ;   in Loop: Header=BB4_5228 Depth=4
	s_mov_b64 s[40:41], 0
	s_brev_b32 s38, 1
	s_cbranch_execz .LBB4_5234
; %bb.5233:                             ;   in Loop: Header=BB4_5228 Depth=4
	s_and_b32 s40, 0xffff, s52
	s_cmp_lg_u32 s40, 0
	s_mov_b32 s38, 0
	s_cselect_b64 s[40:41], -1, 0
.LBB4_5234:                             ;   in Loop: Header=BB4_5228 Depth=4
	s_andn2_b64 vcc, exec, s[40:41]
	v_mov_b32_e32 v24, s38
	s_cbranch_vccnz .LBB4_5236
; %bb.5235:                             ;   in Loop: Header=BB4_5228 Depth=4
	v_mov_b32_e32 v24, v20
.LBB4_5236:                             ;   in Loop: Header=BB4_5228 Depth=4
	global_load_dwordx4 v[8:11], v[12:13], off glc slc
	v_mov_b32_e32 v0, 0
	s_waitcnt vmcnt(0)
	v_cmp_ne_u16_sdwa s[42:43], v8, v17 src0_sel:BYTE_0 src1_sel:DWORD
	s_and_saveexec_b64 s[40:41], s[42:43]
	s_cbranch_execz .LBB4_5244
; %bb.5237:                             ;   in Loop: Header=BB4_5228 Depth=4
	v_cmp_ne_u16_sdwa vcc, sext(v8), s97 src0_sel:BYTE_0 src1_sel:DWORD
	v_bfrev_b32_e32 v0, 1
	s_and_saveexec_b64 s[42:43], vcc
	s_cbranch_execz .LBB4_5243
; %bb.5238:                             ;   in Loop: Header=BB4_5228 Depth=4
	v_and_b32_e32 v0, 0x7c, v8
	v_and_b32_e32 v1, 3, v8
	v_cmp_ne_u32_e32 vcc, s85, v0
                                        ; implicit-def: $vgpr0
	s_and_saveexec_b64 s[38:39], vcc
	s_xor_b64 s[38:39], exec, s[38:39]
	s_cbranch_execz .LBB4_5240
; %bb.5239:                             ;   in Loop: Header=BB4_5228 Depth=4
	v_ffbh_u32_e32 v2, v1
	v_min_u32_e32 v16, 32, v2
	v_subrev_u32_e32 v2, 29, v16
	v_lshlrev_b64 v[2:3], v2, v[8:9]
	v_bfe_u32 v0, v8, 2, 5
	v_and_b32_e32 v2, 3, v2
	v_cmp_eq_u32_e32 vcc, 0, v0
	v_sub_u32_e32 v3, 30, v16
	v_cndmask_b32_e32 v1, v1, v2, vcc
	v_lshlrev_b32_e32 v2, 24, v8
	v_cndmask_b32_e32 v0, v0, v3, vcc
	v_and_b32_e32 v2, 0x80000000, v2
	v_lshl_add_u32 v0, v0, 23, v2
	v_lshl_or_b32 v0, v1, 21, v0
	v_add_u32_e32 v0, 0x38000000, v0
                                        ; implicit-def: $vgpr1
.LBB4_5240:                             ;   in Loop: Header=BB4_5228 Depth=4
	s_andn2_saveexec_b64 s[38:39], s[38:39]
; %bb.5241:                             ;   in Loop: Header=BB4_5228 Depth=4
	v_mov_b32_e32 v0, -1
	v_cmp_gt_i16_sdwa vcc, sext(v8), v0 src0_sel:BYTE_0 src1_sel:DWORD
	v_mov_b32_e32 v0, 0xff800000
	v_mov_b32_e32 v2, 0x7f800000
	v_cndmask_b32_e32 v0, v0, v2, vcc
	v_cmp_eq_u32_e32 vcc, 0, v1
	v_mov_b32_e32 v1, 0x7f800001
	v_cndmask_b32_e32 v0, v1, v0, vcc
; %bb.5242:                             ;   in Loop: Header=BB4_5228 Depth=4
	s_or_b64 exec, exec, s[38:39]
.LBB4_5243:                             ;   in Loop: Header=BB4_5228 Depth=4
	s_or_b64 exec, exec, s[42:43]
.LBB4_5244:                             ;   in Loop: Header=BB4_5228 Depth=4
	s_or_b64 exec, exec, s[40:41]
	v_mul_f32_e32 v0, v24, v0
	v_and_b32_e32 v1, 0x7f800000, v0
	v_mov_b32_e32 v2, v17
	v_cmp_ne_u64_e32 vcc, s[76:77], v[1:2]
	v_and_b32_e32 v16, 0x7fffff, v0
                                        ; implicit-def: $vgpr21
	s_and_saveexec_b64 s[40:41], vcc
	s_xor_b64 s[42:43], exec, s[40:41]
	s_cbranch_execz .LBB4_5258
; %bb.5245:                             ;   in Loop: Header=BB4_5228 Depth=4
	v_and_b32_e32 v1, 0x7fffffff, v0
	v_mov_b32_e32 v2, v17
	v_cmp_gt_u64_e32 vcc, s[78:79], v[1:2]
	v_and_b32_sdwa v3, v0, s96 dst_sel:DWORD dst_unused:UNUSED_PAD src0_sel:BYTE_3 src1_sel:DWORD
                                        ; implicit-def: $vgpr21
	s_and_saveexec_b64 s[40:41], vcc
	s_xor_b64 s[38:39], exec, s[40:41]
	s_cbranch_execz .LBB4_5255
; %bb.5246:                             ;   in Loop: Header=BB4_5228 Depth=4
	v_mov_b32_e32 v21, 0
	v_cmp_ne_u32_e32 vcc, 0, v0
	s_and_saveexec_b64 s[48:49], vcc
	s_cbranch_execz .LBB4_5254
; %bb.5247:                             ;   in Loop: Header=BB4_5228 Depth=4
	v_bfe_u32 v21, v0, 23, 8
	v_cmp_gt_u32_e64 s[40:41], s46, v21
	v_sub_u32_e32 v0, 0x71, v21
	v_cmp_eq_u32_e32 vcc, 0, v21
	v_cndmask_b32_e64 v0, 0, v0, s[40:41]
	v_mov_b32_e32 v2, 0x70
	v_cndmask_b32_e32 v23, v0, v2, vcc
	v_add_u32_e32 v2, 21, v23
	v_or_b32_e32 v1, 0x800000, v16
	v_lshlrev_b64 v[25:26], v2, -1
	v_cndmask_b32_e32 v0, v1, v16, vcc
	v_mov_b32_e32 v1, v17
	v_add_u32_e32 v2, 20, v23
	v_bfi_b32 v25, v25, 0, v0
	v_lshlrev_b64 v[27:28], v2, 1
	v_lshrrev_b64 v[0:1], v23, v[0:1]
	v_bfi_b32 v26, v26, 0, 0
	v_cmp_eq_u64_e64 s[40:41], v[25:26], v[27:28]
	v_mov_b32_e32 v2, v1
	v_mov_b32_e32 v1, v0
	s_and_saveexec_b64 s[50:51], s[40:41]
; %bb.5248:                             ;   in Loop: Header=BB4_5228 Depth=4
	v_bfe_u32 v1, v0, 21, 1
	v_add_co_u32_e64 v1, s[40:41], v0, v1
	v_add_co_u32_e64 v1, s[40:41], -1, v1
; %bb.5249:                             ;   in Loop: Header=BB4_5228 Depth=4
	s_or_b64 exec, exec, s[50:51]
	v_add_u32_e32 v2, 0xffffff81, v21
	v_mov_b32_e32 v16, 0xffffff82
	v_cndmask_b32_e32 v2, v2, v16, vcc
	v_lshrrev_b32_e32 v16, 23, v0
	v_add3_u32 v23, v23, v2, v16
	v_add_u32_e32 v21, 14, v23
	v_and_b32_e32 v1, 0x1fffff, v1
	v_add_u32_e32 v16, v1, v0
	v_cmp_ne_u32_e32 vcc, 0, v21
                                        ; implicit-def: $vgpr0_vgpr1
                                        ; implicit-def: $vgpr2
	s_and_saveexec_b64 s[40:41], vcc
	s_xor_b64 s[40:41], exec, s[40:41]
; %bb.5250:                             ;   in Loop: Header=BB4_5228 Depth=4
	v_cmp_lt_u64_e32 vcc, s[88:89], v[16:17]
	v_add_u32_e32 v0, 15, v23
	v_cndmask_b32_e32 v2, v21, v0, vcc
	v_cndmask_b32_e64 v0, 0, 1, vcc
	v_lshrrev_b64 v[0:1], v0, v[16:17]
; %bb.5251:                             ;   in Loop: Header=BB4_5228 Depth=4
	s_andn2_saveexec_b64 s[40:41], s[40:41]
; %bb.5252:                             ;   in Loop: Header=BB4_5228 Depth=4
	v_mov_b32_e32 v0, v16
	v_mov_b32_e32 v1, v17
	v_bfe_u32 v2, v16, 23, 1
; %bb.5253:                             ;   in Loop: Header=BB4_5228 Depth=4
	s_or_b64 exec, exec, s[40:41]
	v_lshrrev_b64 v[0:1], 21, v[0:1]
	v_cmp_gt_i32_e32 vcc, 32, v2
	v_cndmask_b32_e32 v1, 0, v1, vcc
	v_cndmask_b32_e32 v0, 3, v0, vcc
	v_cmp_eq_u64_e64 s[40:41], 0, v[0:1]
	v_min_i32_e32 v1, 31, v2
	v_lshlrev_b32_e32 v1, 2, v1
	v_cmp_eq_u32_e32 vcc, 0, v2
	v_and_b32_e32 v1, 0xfc, v1
	v_and_or_b32 v0, v0, 3, v1
	s_and_b64 s[40:41], vcc, s[40:41]
	v_cndmask_b32_e64 v0, v0, 0, s[40:41]
	v_or_b32_e32 v21, v0, v3
.LBB4_5254:                             ;   in Loop: Header=BB4_5228 Depth=4
	s_or_b64 exec, exec, s[48:49]
                                        ; implicit-def: $vgpr3
.LBB4_5255:                             ;   in Loop: Header=BB4_5228 Depth=4
	s_andn2_saveexec_b64 s[40:41], s[38:39]
; %bb.5256:                             ;   in Loop: Header=BB4_5228 Depth=4
	v_or_b32_e32 v21, 0x7b, v3
; %bb.5257:                             ;   in Loop: Header=BB4_5228 Depth=4
	s_or_b64 exec, exec, s[40:41]
                                        ; implicit-def: $vgpr0
.LBB4_5258:                             ;   in Loop: Header=BB4_5228 Depth=4
	s_andn2_saveexec_b64 s[40:41], s[42:43]
	s_cbranch_execz .LBB4_5264
; %bb.5259:                             ;   in Loop: Header=BB4_5228 Depth=4
	v_cmp_ne_u64_e32 vcc, 0, v[16:17]
                                        ; implicit-def: $vgpr21
	s_and_saveexec_b64 s[42:43], vcc
	s_xor_b64 s[42:43], exec, s[42:43]
; %bb.5260:                             ;   in Loop: Header=BB4_5228 Depth=4
	v_or_b32_sdwa v21, v0, s47 dst_sel:DWORD dst_unused:UNUSED_PAD src0_sel:BYTE_3 src1_sel:DWORD
                                        ; implicit-def: $vgpr0
; %bb.5261:                             ;   in Loop: Header=BB4_5228 Depth=4
	s_andn2_saveexec_b64 s[42:43], s[42:43]
; %bb.5262:                             ;   in Loop: Header=BB4_5228 Depth=4
	v_cmp_lt_i32_e32 vcc, -1, v0
	v_bfrev_b32_e32 v0, 0.5
	v_cndmask_b32_e32 v21, v0, v52, vcc
; %bb.5263:                             ;   in Loop: Header=BB4_5228 Depth=4
	s_or_b64 exec, exec, s[42:43]
.LBB4_5264:                             ;   in Loop: Header=BB4_5228 Depth=4
	s_or_b64 exec, exec, s[40:41]
	v_lshrrev_b16_e32 v0, 8, v8
	v_cmp_ne_u16_e32 vcc, 0, v0
	v_mov_b32_e32 v1, 0
	s_and_saveexec_b64 s[40:41], vcc
	s_cbranch_execz .LBB4_5272
; %bb.5265:                             ;   in Loop: Header=BB4_5228 Depth=4
	v_cmp_ne_u16_e32 vcc, s96, v0
	v_bfrev_b32_e32 v1, 1
	s_and_saveexec_b64 s[42:43], vcc
	s_cbranch_execz .LBB4_5271
; %bb.5266:                             ;   in Loop: Header=BB4_5228 Depth=4
	v_and_b32_e32 v1, 0x7c, v0
	v_and_b32_e32 v2, 3, v0
	v_cmp_ne_u32_e32 vcc, s85, v1
                                        ; implicit-def: $vgpr1
	s_and_saveexec_b64 s[38:39], vcc
	s_xor_b64 s[38:39], exec, s[38:39]
	s_cbranch_execz .LBB4_5268
; %bb.5267:                             ;   in Loop: Header=BB4_5228 Depth=4
	v_ffbh_u32_e32 v16, v2
	v_min_u32_e32 v16, 32, v16
	v_mov_b32_e32 v1, v17
	v_subrev_u32_e32 v23, 29, v16
	v_bfe_u32 v3, v0, 2, 5
	v_lshlrev_b64 v[0:1], v23, v[0:1]
	v_cmp_eq_u32_e32 vcc, 0, v3
	v_and_b32_e32 v0, 3, v0
	v_sub_u32_e32 v1, 30, v16
	v_cndmask_b32_e32 v0, v2, v0, vcc
	v_lshlrev_b32_e32 v2, 16, v8
	v_cndmask_b32_e32 v1, v3, v1, vcc
	v_and_b32_e32 v2, 0x80000000, v2
	v_lshl_add_u32 v1, v1, 23, v2
	v_lshl_or_b32 v0, v0, 21, v1
	v_add_u32_e32 v1, 0x38000000, v0
                                        ; implicit-def: $vgpr2
.LBB4_5268:                             ;   in Loop: Header=BB4_5228 Depth=4
	s_andn2_saveexec_b64 s[38:39], s[38:39]
; %bb.5269:                             ;   in Loop: Header=BB4_5228 Depth=4
	v_cmp_lt_i16_e32 vcc, -1, v8
	v_mov_b32_e32 v0, 0xff800000
	v_mov_b32_e32 v1, 0x7f800000
	v_cndmask_b32_e32 v0, v0, v1, vcc
	v_cmp_eq_u32_e32 vcc, 0, v2
	v_mov_b32_e32 v1, 0x7f800001
	v_cndmask_b32_e32 v1, v1, v0, vcc
; %bb.5270:                             ;   in Loop: Header=BB4_5228 Depth=4
	s_or_b64 exec, exec, s[38:39]
.LBB4_5271:                             ;   in Loop: Header=BB4_5228 Depth=4
	s_or_b64 exec, exec, s[42:43]
.LBB4_5272:                             ;   in Loop: Header=BB4_5228 Depth=4
	s_or_b64 exec, exec, s[40:41]
	v_mul_f32_e32 v0, v24, v1
	v_and_b32_e32 v1, 0x7f800000, v0
	v_mov_b32_e32 v2, v17
	v_cmp_ne_u64_e32 vcc, s[76:77], v[1:2]
	v_and_b32_e32 v16, 0x7fffff, v0
                                        ; implicit-def: $vgpr27
	s_and_saveexec_b64 s[40:41], vcc
	s_xor_b64 s[42:43], exec, s[40:41]
	s_cbranch_execz .LBB4_5286
; %bb.5273:                             ;   in Loop: Header=BB4_5228 Depth=4
	v_and_b32_e32 v1, 0x7fffffff, v0
	v_mov_b32_e32 v2, v17
	v_cmp_gt_u64_e32 vcc, s[78:79], v[1:2]
	v_and_b32_sdwa v3, v0, s96 dst_sel:DWORD dst_unused:UNUSED_PAD src0_sel:BYTE_3 src1_sel:DWORD
                                        ; implicit-def: $vgpr27
	s_and_saveexec_b64 s[40:41], vcc
	s_xor_b64 s[38:39], exec, s[40:41]
	s_cbranch_execz .LBB4_5283
; %bb.5274:                             ;   in Loop: Header=BB4_5228 Depth=4
	v_mov_b32_e32 v27, 0
	v_cmp_ne_u32_e32 vcc, 0, v0
	s_and_saveexec_b64 s[48:49], vcc
	s_cbranch_execz .LBB4_5282
; %bb.5275:                             ;   in Loop: Header=BB4_5228 Depth=4
	v_bfe_u32 v23, v0, 23, 8
	v_cmp_gt_u32_e64 s[40:41], s46, v23
	v_sub_u32_e32 v0, 0x71, v23
	v_cmp_eq_u32_e32 vcc, 0, v23
	v_cndmask_b32_e64 v0, 0, v0, s[40:41]
	v_mov_b32_e32 v2, 0x70
	v_cndmask_b32_e32 v25, v0, v2, vcc
	v_add_u32_e32 v2, 21, v25
	v_or_b32_e32 v1, 0x800000, v16
	v_lshlrev_b64 v[26:27], v2, -1
	v_cndmask_b32_e32 v0, v1, v16, vcc
	v_mov_b32_e32 v1, v17
	v_add_u32_e32 v2, 20, v25
	v_bfi_b32 v26, v26, 0, v0
	v_lshlrev_b64 v[28:29], v2, 1
	v_lshrrev_b64 v[0:1], v25, v[0:1]
	v_bfi_b32 v27, v27, 0, 0
	v_cmp_eq_u64_e64 s[40:41], v[26:27], v[28:29]
	v_mov_b32_e32 v2, v1
	v_mov_b32_e32 v1, v0
	s_and_saveexec_b64 s[50:51], s[40:41]
; %bb.5276:                             ;   in Loop: Header=BB4_5228 Depth=4
	v_bfe_u32 v1, v0, 21, 1
	v_add_co_u32_e64 v1, s[40:41], v0, v1
	v_add_co_u32_e64 v1, s[40:41], -1, v1
; %bb.5277:                             ;   in Loop: Header=BB4_5228 Depth=4
	s_or_b64 exec, exec, s[50:51]
	v_add_u32_e32 v2, 0xffffff81, v23
	v_mov_b32_e32 v16, 0xffffff82
	v_cndmask_b32_e32 v2, v2, v16, vcc
	v_lshrrev_b32_e32 v16, 23, v0
	v_add3_u32 v25, v25, v2, v16
	v_add_u32_e32 v23, 14, v25
	v_and_b32_e32 v1, 0x1fffff, v1
	v_add_u32_e32 v16, v1, v0
	v_cmp_ne_u32_e32 vcc, 0, v23
                                        ; implicit-def: $vgpr0_vgpr1
                                        ; implicit-def: $vgpr2
	s_and_saveexec_b64 s[40:41], vcc
	s_xor_b64 s[40:41], exec, s[40:41]
; %bb.5278:                             ;   in Loop: Header=BB4_5228 Depth=4
	v_cmp_lt_u64_e32 vcc, s[88:89], v[16:17]
	v_add_u32_e32 v0, 15, v25
	v_cndmask_b32_e32 v2, v23, v0, vcc
	v_cndmask_b32_e64 v0, 0, 1, vcc
	v_lshrrev_b64 v[0:1], v0, v[16:17]
; %bb.5279:                             ;   in Loop: Header=BB4_5228 Depth=4
	s_andn2_saveexec_b64 s[40:41], s[40:41]
; %bb.5280:                             ;   in Loop: Header=BB4_5228 Depth=4
	v_mov_b32_e32 v0, v16
	v_mov_b32_e32 v1, v17
	v_bfe_u32 v2, v16, 23, 1
; %bb.5281:                             ;   in Loop: Header=BB4_5228 Depth=4
	s_or_b64 exec, exec, s[40:41]
	v_lshrrev_b64 v[0:1], 21, v[0:1]
	v_cmp_gt_i32_e32 vcc, 32, v2
	v_cndmask_b32_e32 v1, 0, v1, vcc
	v_cndmask_b32_e32 v0, 3, v0, vcc
	v_cmp_eq_u64_e64 s[40:41], 0, v[0:1]
	v_min_i32_e32 v1, 31, v2
	v_lshlrev_b32_e32 v1, 2, v1
	v_cmp_eq_u32_e32 vcc, 0, v2
	v_and_b32_e32 v1, 0xfc, v1
	v_and_or_b32 v0, v0, 3, v1
	s_and_b64 s[40:41], vcc, s[40:41]
	v_cndmask_b32_e64 v0, v0, 0, s[40:41]
	v_or_b32_e32 v27, v0, v3
.LBB4_5282:                             ;   in Loop: Header=BB4_5228 Depth=4
	s_or_b64 exec, exec, s[48:49]
                                        ; implicit-def: $vgpr3
.LBB4_5283:                             ;   in Loop: Header=BB4_5228 Depth=4
	s_andn2_saveexec_b64 s[40:41], s[38:39]
; %bb.5284:                             ;   in Loop: Header=BB4_5228 Depth=4
	v_or_b32_e32 v27, 0x7b, v3
; %bb.5285:                             ;   in Loop: Header=BB4_5228 Depth=4
	s_or_b64 exec, exec, s[40:41]
                                        ; implicit-def: $vgpr0
.LBB4_5286:                             ;   in Loop: Header=BB4_5228 Depth=4
	s_andn2_saveexec_b64 s[40:41], s[42:43]
	s_cbranch_execz .LBB4_5292
; %bb.5287:                             ;   in Loop: Header=BB4_5228 Depth=4
	v_cmp_ne_u64_e32 vcc, 0, v[16:17]
                                        ; implicit-def: $vgpr27
	s_and_saveexec_b64 s[42:43], vcc
	s_xor_b64 s[42:43], exec, s[42:43]
; %bb.5288:                             ;   in Loop: Header=BB4_5228 Depth=4
	v_or_b32_sdwa v27, v0, s47 dst_sel:DWORD dst_unused:UNUSED_PAD src0_sel:BYTE_3 src1_sel:DWORD
                                        ; implicit-def: $vgpr0
; %bb.5289:                             ;   in Loop: Header=BB4_5228 Depth=4
	s_andn2_saveexec_b64 s[42:43], s[42:43]
; %bb.5290:                             ;   in Loop: Header=BB4_5228 Depth=4
	v_cmp_lt_i32_e32 vcc, -1, v0
	v_bfrev_b32_e32 v0, 0.5
	v_cndmask_b32_e32 v27, v0, v52, vcc
; %bb.5291:                             ;   in Loop: Header=BB4_5228 Depth=4
	s_or_b64 exec, exec, s[42:43]
.LBB4_5292:                             ;   in Loop: Header=BB4_5228 Depth=4
	s_or_b64 exec, exec, s[40:41]
	v_lshrrev_b32_e32 v0, 16, v8
	v_cmp_ne_u16_sdwa s[42:43], v0, v17 src0_sel:BYTE_0 src1_sel:DWORD
	v_mov_b32_e32 v1, 0
	s_and_saveexec_b64 s[40:41], s[42:43]
	s_cbranch_execz .LBB4_5300
; %bb.5293:                             ;   in Loop: Header=BB4_5228 Depth=4
	v_cmp_ne_u16_sdwa vcc, v0, s96 src0_sel:BYTE_0 src1_sel:DWORD
	v_bfrev_b32_e32 v1, 1
	s_and_saveexec_b64 s[42:43], vcc
	s_cbranch_execz .LBB4_5299
; %bb.5294:                             ;   in Loop: Header=BB4_5228 Depth=4
	v_and_b32_e32 v1, 0x7c0000, v8
	v_bfe_u32 v2, v8, 16, 2
	v_cmp_ne_u32_e32 vcc, s44, v1
                                        ; implicit-def: $vgpr1
	s_and_saveexec_b64 s[38:39], vcc
	s_xor_b64 s[38:39], exec, s[38:39]
	s_cbranch_execz .LBB4_5296
; %bb.5295:                             ;   in Loop: Header=BB4_5228 Depth=4
	v_ffbh_u32_e32 v1, v2
	v_min_u32_e32 v16, 32, v1
	v_subrev_u32_e32 v1, 29, v16
	v_lshlrev_b64 v[0:1], v1, v[0:1]
	v_bfe_u32 v3, v8, 18, 5
	v_and_b32_e32 v0, 3, v0
	v_cmp_eq_u32_e32 vcc, 0, v3
	v_sub_u32_e32 v1, 30, v16
	v_cndmask_b32_e32 v0, v2, v0, vcc
	v_lshlrev_b32_e32 v2, 8, v8
	v_cndmask_b32_e32 v1, v3, v1, vcc
	v_and_b32_e32 v2, 0x80000000, v2
	v_lshl_add_u32 v1, v1, 23, v2
	v_lshl_or_b32 v0, v0, 21, v1
	v_add_u32_e32 v1, 0x38000000, v0
                                        ; implicit-def: $vgpr2
                                        ; implicit-def: $vgpr0
.LBB4_5296:                             ;   in Loop: Header=BB4_5228 Depth=4
	s_andn2_saveexec_b64 s[38:39], s[38:39]
; %bb.5297:                             ;   in Loop: Header=BB4_5228 Depth=4
	v_mov_b32_e32 v1, -1
	v_cmp_gt_i16_sdwa vcc, sext(v0), v1 src0_sel:BYTE_0 src1_sel:DWORD
	v_mov_b32_e32 v0, 0xff800000
	v_mov_b32_e32 v1, 0x7f800000
	v_cndmask_b32_e32 v0, v0, v1, vcc
	v_cmp_eq_u32_e32 vcc, 0, v2
	v_mov_b32_e32 v1, 0x7f800001
	v_cndmask_b32_e32 v1, v1, v0, vcc
; %bb.5298:                             ;   in Loop: Header=BB4_5228 Depth=4
	s_or_b64 exec, exec, s[38:39]
.LBB4_5299:                             ;   in Loop: Header=BB4_5228 Depth=4
	s_or_b64 exec, exec, s[42:43]
.LBB4_5300:                             ;   in Loop: Header=BB4_5228 Depth=4
	s_or_b64 exec, exec, s[40:41]
	v_mul_f32_e32 v0, v24, v1
	v_and_b32_e32 v1, 0x7f800000, v0
	v_mov_b32_e32 v2, v17
	v_cmp_ne_u64_e32 vcc, s[76:77], v[1:2]
	v_and_b32_e32 v16, 0x7fffff, v0
                                        ; implicit-def: $vgpr33
	s_and_saveexec_b64 s[40:41], vcc
	s_xor_b64 s[42:43], exec, s[40:41]
	s_cbranch_execz .LBB4_5314
; %bb.5301:                             ;   in Loop: Header=BB4_5228 Depth=4
	v_and_b32_e32 v1, 0x7fffffff, v0
	v_mov_b32_e32 v2, v17
	v_cmp_gt_u64_e32 vcc, s[78:79], v[1:2]
	v_and_b32_sdwa v3, v0, s96 dst_sel:DWORD dst_unused:UNUSED_PAD src0_sel:BYTE_3 src1_sel:DWORD
                                        ; implicit-def: $vgpr33
	s_and_saveexec_b64 s[40:41], vcc
	s_xor_b64 s[38:39], exec, s[40:41]
	s_cbranch_execz .LBB4_5311
; %bb.5302:                             ;   in Loop: Header=BB4_5228 Depth=4
	v_mov_b32_e32 v33, 0
	v_cmp_ne_u32_e32 vcc, 0, v0
	s_and_saveexec_b64 s[48:49], vcc
	s_cbranch_execz .LBB4_5310
; %bb.5303:                             ;   in Loop: Header=BB4_5228 Depth=4
	v_bfe_u32 v23, v0, 23, 8
	v_cmp_gt_u32_e64 s[40:41], s46, v23
	v_sub_u32_e32 v0, 0x71, v23
	v_cmp_eq_u32_e32 vcc, 0, v23
	v_cndmask_b32_e64 v0, 0, v0, s[40:41]
	v_mov_b32_e32 v2, 0x70
	v_cndmask_b32_e32 v25, v0, v2, vcc
	v_add_u32_e32 v2, 21, v25
	v_or_b32_e32 v1, 0x800000, v16
	v_lshlrev_b64 v[28:29], v2, -1
	v_cndmask_b32_e32 v0, v1, v16, vcc
	v_mov_b32_e32 v1, v17
	v_add_u32_e32 v2, 20, v25
	v_bfi_b32 v28, v28, 0, v0
	v_lshlrev_b64 v[30:31], v2, 1
	v_lshrrev_b64 v[0:1], v25, v[0:1]
	v_bfi_b32 v29, v29, 0, 0
	v_cmp_eq_u64_e64 s[40:41], v[28:29], v[30:31]
	v_mov_b32_e32 v2, v1
	v_mov_b32_e32 v1, v0
	s_and_saveexec_b64 s[50:51], s[40:41]
; %bb.5304:                             ;   in Loop: Header=BB4_5228 Depth=4
	v_bfe_u32 v1, v0, 21, 1
	v_add_co_u32_e64 v1, s[40:41], v0, v1
	v_add_co_u32_e64 v1, s[40:41], -1, v1
; %bb.5305:                             ;   in Loop: Header=BB4_5228 Depth=4
	s_or_b64 exec, exec, s[50:51]
	v_add_u32_e32 v2, 0xffffff81, v23
	v_mov_b32_e32 v16, 0xffffff82
	v_cndmask_b32_e32 v2, v2, v16, vcc
	v_lshrrev_b32_e32 v16, 23, v0
	v_add3_u32 v25, v25, v2, v16
	v_add_u32_e32 v23, 14, v25
	v_and_b32_e32 v1, 0x1fffff, v1
	v_add_u32_e32 v16, v1, v0
	v_cmp_ne_u32_e32 vcc, 0, v23
                                        ; implicit-def: $vgpr0_vgpr1
                                        ; implicit-def: $vgpr2
	s_and_saveexec_b64 s[40:41], vcc
	s_xor_b64 s[40:41], exec, s[40:41]
; %bb.5306:                             ;   in Loop: Header=BB4_5228 Depth=4
	v_cmp_lt_u64_e32 vcc, s[88:89], v[16:17]
	v_add_u32_e32 v0, 15, v25
	v_cndmask_b32_e32 v2, v23, v0, vcc
	v_cndmask_b32_e64 v0, 0, 1, vcc
	v_lshrrev_b64 v[0:1], v0, v[16:17]
; %bb.5307:                             ;   in Loop: Header=BB4_5228 Depth=4
	s_andn2_saveexec_b64 s[40:41], s[40:41]
; %bb.5308:                             ;   in Loop: Header=BB4_5228 Depth=4
	v_mov_b32_e32 v0, v16
	v_mov_b32_e32 v1, v17
	v_bfe_u32 v2, v16, 23, 1
; %bb.5309:                             ;   in Loop: Header=BB4_5228 Depth=4
	s_or_b64 exec, exec, s[40:41]
	v_lshrrev_b64 v[0:1], 21, v[0:1]
	v_cmp_gt_i32_e32 vcc, 32, v2
	v_cndmask_b32_e32 v1, 0, v1, vcc
	v_cndmask_b32_e32 v0, 3, v0, vcc
	v_cmp_eq_u64_e64 s[40:41], 0, v[0:1]
	v_min_i32_e32 v1, 31, v2
	v_lshlrev_b32_e32 v1, 2, v1
	v_cmp_eq_u32_e32 vcc, 0, v2
	v_and_b32_e32 v1, 0xfc, v1
	v_and_or_b32 v0, v0, 3, v1
	s_and_b64 s[40:41], vcc, s[40:41]
	v_cndmask_b32_e64 v0, v0, 0, s[40:41]
	v_or_b32_e32 v33, v0, v3
.LBB4_5310:                             ;   in Loop: Header=BB4_5228 Depth=4
	s_or_b64 exec, exec, s[48:49]
                                        ; implicit-def: $vgpr3
.LBB4_5311:                             ;   in Loop: Header=BB4_5228 Depth=4
	s_andn2_saveexec_b64 s[40:41], s[38:39]
; %bb.5312:                             ;   in Loop: Header=BB4_5228 Depth=4
	v_or_b32_e32 v33, 0x7b, v3
; %bb.5313:                             ;   in Loop: Header=BB4_5228 Depth=4
	s_or_b64 exec, exec, s[40:41]
                                        ; implicit-def: $vgpr0
.LBB4_5314:                             ;   in Loop: Header=BB4_5228 Depth=4
	s_andn2_saveexec_b64 s[40:41], s[42:43]
	s_cbranch_execz .LBB4_5320
; %bb.5315:                             ;   in Loop: Header=BB4_5228 Depth=4
	v_cmp_ne_u64_e32 vcc, 0, v[16:17]
                                        ; implicit-def: $vgpr33
	s_and_saveexec_b64 s[42:43], vcc
	s_xor_b64 s[42:43], exec, s[42:43]
; %bb.5316:                             ;   in Loop: Header=BB4_5228 Depth=4
	v_or_b32_sdwa v33, v0, s47 dst_sel:DWORD dst_unused:UNUSED_PAD src0_sel:BYTE_3 src1_sel:DWORD
                                        ; implicit-def: $vgpr0
; %bb.5317:                             ;   in Loop: Header=BB4_5228 Depth=4
	s_andn2_saveexec_b64 s[42:43], s[42:43]
; %bb.5318:                             ;   in Loop: Header=BB4_5228 Depth=4
	v_cmp_lt_i32_e32 vcc, -1, v0
	v_bfrev_b32_e32 v0, 0.5
	v_cndmask_b32_e32 v33, v0, v52, vcc
; %bb.5319:                             ;   in Loop: Header=BB4_5228 Depth=4
	s_or_b64 exec, exec, s[42:43]
.LBB4_5320:                             ;   in Loop: Header=BB4_5228 Depth=4
	s_or_b64 exec, exec, s[40:41]
	v_cmp_lt_u32_e32 vcc, s57, v8
	v_mov_b32_e32 v1, 0
	s_and_saveexec_b64 s[40:41], vcc
	s_cbranch_execz .LBB4_5328
; %bb.5321:                             ;   in Loop: Header=BB4_5228 Depth=4
	v_lshrrev_b32_e32 v0, 24, v8
	v_cmp_ne_u32_e32 vcc, s96, v0
	v_bfrev_b32_e32 v1, 1
	s_and_saveexec_b64 s[42:43], vcc
	s_cbranch_execz .LBB4_5327
; %bb.5322:                             ;   in Loop: Header=BB4_5228 Depth=4
	v_and_b32_e32 v1, 0x7c000000, v8
	v_bfe_u32 v2, v8, 24, 2
	v_cmp_ne_u32_e32 vcc, s45, v1
                                        ; implicit-def: $vgpr1
	s_and_saveexec_b64 s[38:39], vcc
	s_xor_b64 s[38:39], exec, s[38:39]
	s_cbranch_execz .LBB4_5324
; %bb.5323:                             ;   in Loop: Header=BB4_5228 Depth=4
	v_ffbh_u32_e32 v1, v2
	v_min_u32_e32 v16, 32, v1
	v_subrev_u32_e32 v1, 29, v16
	v_lshlrev_b64 v[0:1], v1, v[0:1]
	v_bfe_u32 v3, v8, 26, 5
	v_sub_u32_e32 v1, 30, v16
	v_and_b32_e32 v0, 3, v0
	v_cmp_eq_u32_e32 vcc, 0, v3
	v_cndmask_b32_e32 v1, v3, v1, vcc
	v_cndmask_b32_e32 v0, v2, v0, vcc
	v_and_b32_e32 v2, 0x80000000, v8
	v_lshl_add_u32 v1, v1, 23, v2
	v_lshl_or_b32 v0, v0, 21, v1
	v_add_u32_e32 v1, 0x38000000, v0
                                        ; implicit-def: $vgpr2
.LBB4_5324:                             ;   in Loop: Header=BB4_5228 Depth=4
	s_andn2_saveexec_b64 s[38:39], s[38:39]
; %bb.5325:                             ;   in Loop: Header=BB4_5228 Depth=4
	v_cmp_lt_i32_e32 vcc, -1, v8
	v_mov_b32_e32 v0, 0xff800000
	v_mov_b32_e32 v1, 0x7f800000
	v_cndmask_b32_e32 v0, v0, v1, vcc
	v_cmp_eq_u32_e32 vcc, 0, v2
	v_mov_b32_e32 v1, 0x7f800001
	v_cndmask_b32_e32 v1, v1, v0, vcc
; %bb.5326:                             ;   in Loop: Header=BB4_5228 Depth=4
	s_or_b64 exec, exec, s[38:39]
.LBB4_5327:                             ;   in Loop: Header=BB4_5228 Depth=4
	s_or_b64 exec, exec, s[42:43]
.LBB4_5328:                             ;   in Loop: Header=BB4_5228 Depth=4
	s_or_b64 exec, exec, s[40:41]
	v_mul_f32_e32 v0, v24, v1
	v_and_b32_e32 v1, 0x7f800000, v0
	v_mov_b32_e32 v2, v17
	v_cmp_ne_u64_e32 vcc, s[76:77], v[1:2]
	v_and_b32_e32 v16, 0x7fffff, v0
                                        ; implicit-def: $vgpr39
	s_and_saveexec_b64 s[40:41], vcc
	s_xor_b64 s[42:43], exec, s[40:41]
	s_cbranch_execz .LBB4_5342
; %bb.5329:                             ;   in Loop: Header=BB4_5228 Depth=4
	v_and_b32_e32 v1, 0x7fffffff, v0
	v_mov_b32_e32 v2, v17
	v_cmp_gt_u64_e32 vcc, s[78:79], v[1:2]
	v_and_b32_sdwa v3, v0, s96 dst_sel:DWORD dst_unused:UNUSED_PAD src0_sel:BYTE_3 src1_sel:DWORD
                                        ; implicit-def: $vgpr39
	s_and_saveexec_b64 s[40:41], vcc
	s_xor_b64 s[38:39], exec, s[40:41]
	s_cbranch_execz .LBB4_5339
; %bb.5330:                             ;   in Loop: Header=BB4_5228 Depth=4
	v_mov_b32_e32 v39, 0
	v_cmp_ne_u32_e32 vcc, 0, v0
	s_and_saveexec_b64 s[48:49], vcc
	s_cbranch_execz .LBB4_5338
; %bb.5331:                             ;   in Loop: Header=BB4_5228 Depth=4
	v_bfe_u32 v23, v0, 23, 8
	v_cmp_gt_u32_e64 s[40:41], s46, v23
	v_sub_u32_e32 v0, 0x71, v23
	v_cmp_eq_u32_e32 vcc, 0, v23
	v_cndmask_b32_e64 v0, 0, v0, s[40:41]
	v_mov_b32_e32 v2, 0x70
	v_cndmask_b32_e32 v25, v0, v2, vcc
	v_add_u32_e32 v2, 21, v25
	v_or_b32_e32 v1, 0x800000, v16
	v_lshlrev_b64 v[28:29], v2, -1
	v_cndmask_b32_e32 v0, v1, v16, vcc
	v_mov_b32_e32 v1, v17
	v_add_u32_e32 v2, 20, v25
	v_bfi_b32 v28, v28, 0, v0
	v_lshlrev_b64 v[30:31], v2, 1
	v_lshrrev_b64 v[0:1], v25, v[0:1]
	v_bfi_b32 v29, v29, 0, 0
	v_cmp_eq_u64_e64 s[40:41], v[28:29], v[30:31]
	v_mov_b32_e32 v2, v1
	v_mov_b32_e32 v1, v0
	s_and_saveexec_b64 s[50:51], s[40:41]
; %bb.5332:                             ;   in Loop: Header=BB4_5228 Depth=4
	v_bfe_u32 v1, v0, 21, 1
	v_add_co_u32_e64 v1, s[40:41], v0, v1
	v_add_co_u32_e64 v1, s[40:41], -1, v1
; %bb.5333:                             ;   in Loop: Header=BB4_5228 Depth=4
	s_or_b64 exec, exec, s[50:51]
	v_add_u32_e32 v2, 0xffffff81, v23
	v_mov_b32_e32 v16, 0xffffff82
	v_cndmask_b32_e32 v2, v2, v16, vcc
	v_lshrrev_b32_e32 v16, 23, v0
	v_add3_u32 v25, v25, v2, v16
	v_add_u32_e32 v23, 14, v25
	v_and_b32_e32 v1, 0x1fffff, v1
	v_add_u32_e32 v16, v1, v0
	v_cmp_ne_u32_e32 vcc, 0, v23
                                        ; implicit-def: $vgpr0_vgpr1
                                        ; implicit-def: $vgpr2
	s_and_saveexec_b64 s[40:41], vcc
	s_xor_b64 s[40:41], exec, s[40:41]
; %bb.5334:                             ;   in Loop: Header=BB4_5228 Depth=4
	v_cmp_lt_u64_e32 vcc, s[88:89], v[16:17]
	v_add_u32_e32 v0, 15, v25
	v_cndmask_b32_e32 v2, v23, v0, vcc
	v_cndmask_b32_e64 v0, 0, 1, vcc
	v_lshrrev_b64 v[0:1], v0, v[16:17]
; %bb.5335:                             ;   in Loop: Header=BB4_5228 Depth=4
	s_andn2_saveexec_b64 s[40:41], s[40:41]
; %bb.5336:                             ;   in Loop: Header=BB4_5228 Depth=4
	v_mov_b32_e32 v0, v16
	v_mov_b32_e32 v1, v17
	v_bfe_u32 v2, v16, 23, 1
; %bb.5337:                             ;   in Loop: Header=BB4_5228 Depth=4
	s_or_b64 exec, exec, s[40:41]
	v_lshrrev_b64 v[0:1], 21, v[0:1]
	v_cmp_gt_i32_e32 vcc, 32, v2
	v_cndmask_b32_e32 v1, 0, v1, vcc
	v_cndmask_b32_e32 v0, 3, v0, vcc
	v_cmp_eq_u64_e64 s[40:41], 0, v[0:1]
	v_min_i32_e32 v1, 31, v2
	v_lshlrev_b32_e32 v1, 2, v1
	v_cmp_eq_u32_e32 vcc, 0, v2
	v_and_b32_e32 v1, 0xfc, v1
	v_and_or_b32 v0, v0, 3, v1
	s_and_b64 s[40:41], vcc, s[40:41]
	v_cndmask_b32_e64 v0, v0, 0, s[40:41]
	v_or_b32_e32 v39, v0, v3
.LBB4_5338:                             ;   in Loop: Header=BB4_5228 Depth=4
	s_or_b64 exec, exec, s[48:49]
                                        ; implicit-def: $vgpr3
.LBB4_5339:                             ;   in Loop: Header=BB4_5228 Depth=4
	s_andn2_saveexec_b64 s[40:41], s[38:39]
; %bb.5340:                             ;   in Loop: Header=BB4_5228 Depth=4
	v_or_b32_e32 v39, 0x7b, v3
; %bb.5341:                             ;   in Loop: Header=BB4_5228 Depth=4
	s_or_b64 exec, exec, s[40:41]
                                        ; implicit-def: $vgpr0
.LBB4_5342:                             ;   in Loop: Header=BB4_5228 Depth=4
	s_andn2_saveexec_b64 s[40:41], s[42:43]
	s_cbranch_execz .LBB4_5348
; %bb.5343:                             ;   in Loop: Header=BB4_5228 Depth=4
	v_cmp_ne_u64_e32 vcc, 0, v[16:17]
                                        ; implicit-def: $vgpr39
	s_and_saveexec_b64 s[42:43], vcc
	s_xor_b64 s[42:43], exec, s[42:43]
; %bb.5344:                             ;   in Loop: Header=BB4_5228 Depth=4
	v_or_b32_sdwa v39, v0, s47 dst_sel:DWORD dst_unused:UNUSED_PAD src0_sel:BYTE_3 src1_sel:DWORD
                                        ; implicit-def: $vgpr0
; %bb.5345:                             ;   in Loop: Header=BB4_5228 Depth=4
	s_andn2_saveexec_b64 s[42:43], s[42:43]
; %bb.5346:                             ;   in Loop: Header=BB4_5228 Depth=4
	v_cmp_lt_i32_e32 vcc, -1, v0
	v_bfrev_b32_e32 v0, 0.5
	v_cndmask_b32_e32 v39, v0, v52, vcc
; %bb.5347:                             ;   in Loop: Header=BB4_5228 Depth=4
	s_or_b64 exec, exec, s[42:43]
.LBB4_5348:                             ;   in Loop: Header=BB4_5228 Depth=4
	s_or_b64 exec, exec, s[40:41]
	v_mov_b32_e32 v16, v9
	v_cmp_ne_u16_sdwa s[42:43], v9, v17 src0_sel:BYTE_0 src1_sel:DWORD
	v_mov_b32_e32 v0, 0
	s_and_saveexec_b64 s[40:41], s[42:43]
	s_cbranch_execz .LBB4_5356
; %bb.5349:                             ;   in Loop: Header=BB4_5228 Depth=4
	v_cmp_ne_u16_sdwa vcc, v9, s96 src0_sel:BYTE_0 src1_sel:DWORD
	v_bfrev_b32_e32 v0, 1
	s_and_saveexec_b64 s[42:43], vcc
	s_cbranch_execz .LBB4_5355
; %bb.5350:                             ;   in Loop: Header=BB4_5228 Depth=4
	v_and_b32_e32 v0, 0x7c, v9
	v_and_b32_e32 v1, 3, v9
	v_cmp_ne_u32_e32 vcc, s85, v0
                                        ; implicit-def: $vgpr0
	s_and_saveexec_b64 s[38:39], vcc
	s_xor_b64 s[38:39], exec, s[38:39]
	s_cbranch_execz .LBB4_5352
; %bb.5351:                             ;   in Loop: Header=BB4_5228 Depth=4
	v_ffbh_u32_e32 v2, v1
	v_min_u32_e32 v23, 32, v2
	v_subrev_u32_e32 v2, 29, v23
	v_lshlrev_b64 v[2:3], v2, v[16:17]
	v_bfe_u32 v0, v9, 2, 5
	v_and_b32_e32 v2, 3, v2
	v_cmp_eq_u32_e32 vcc, 0, v0
	v_sub_u32_e32 v3, 30, v23
	v_cndmask_b32_e32 v1, v1, v2, vcc
	v_lshlrev_b32_e32 v2, 24, v9
	v_cndmask_b32_e32 v0, v0, v3, vcc
	v_and_b32_e32 v2, 0x80000000, v2
	v_lshl_add_u32 v0, v0, 23, v2
	v_lshl_or_b32 v0, v1, 21, v0
	v_add_u32_e32 v0, 0x38000000, v0
                                        ; implicit-def: $vgpr1
.LBB4_5352:                             ;   in Loop: Header=BB4_5228 Depth=4
	s_andn2_saveexec_b64 s[38:39], s[38:39]
; %bb.5353:                             ;   in Loop: Header=BB4_5228 Depth=4
	v_mov_b32_e32 v0, -1
	v_cmp_gt_i16_sdwa vcc, sext(v9), v0 src0_sel:BYTE_0 src1_sel:DWORD
	v_mov_b32_e32 v0, 0xff800000
	v_mov_b32_e32 v2, 0x7f800000
	v_cndmask_b32_e32 v0, v0, v2, vcc
	v_cmp_eq_u32_e32 vcc, 0, v1
	v_mov_b32_e32 v1, 0x7f800001
	v_cndmask_b32_e32 v0, v1, v0, vcc
; %bb.5354:                             ;   in Loop: Header=BB4_5228 Depth=4
	s_or_b64 exec, exec, s[38:39]
.LBB4_5355:                             ;   in Loop: Header=BB4_5228 Depth=4
	s_or_b64 exec, exec, s[42:43]
.LBB4_5356:                             ;   in Loop: Header=BB4_5228 Depth=4
	s_or_b64 exec, exec, s[40:41]
	v_mul_f32_e32 v2, v24, v0
	v_and_b32_e32 v25, 0x7f800000, v2
	v_mov_b32_e32 v26, v17
	v_cmp_ne_u64_e32 vcc, s[76:77], v[25:26]
	v_and_b32_e32 v0, 0x7fffff, v2
	v_mov_b32_e32 v1, v17
                                        ; implicit-def: $vgpr3
	s_and_saveexec_b64 s[40:41], vcc
	s_xor_b64 s[42:43], exec, s[40:41]
	s_cbranch_execz .LBB4_5370
; %bb.5357:                             ;   in Loop: Header=BB4_5228 Depth=4
	v_and_b32_e32 v25, 0x7fffffff, v2
	v_mov_b32_e32 v26, v17
	v_cmp_gt_u64_e32 vcc, s[78:79], v[25:26]
	v_and_b32_sdwa v23, v2, s96 dst_sel:DWORD dst_unused:UNUSED_PAD src0_sel:BYTE_3 src1_sel:DWORD
                                        ; implicit-def: $vgpr3
	s_and_saveexec_b64 s[40:41], vcc
	s_xor_b64 s[38:39], exec, s[40:41]
	s_cbranch_execz .LBB4_5367
; %bb.5358:                             ;   in Loop: Header=BB4_5228 Depth=4
	v_mov_b32_e32 v3, 0
	v_cmp_ne_u32_e32 vcc, 0, v2
	s_and_saveexec_b64 s[48:49], vcc
	s_cbranch_execz .LBB4_5366
; %bb.5359:                             ;   in Loop: Header=BB4_5228 Depth=4
	v_bfe_u32 v3, v2, 23, 8
	v_cmp_gt_u32_e64 s[40:41], s46, v3
	v_sub_u32_e32 v2, 0x71, v3
	v_cmp_eq_u32_e32 vcc, 0, v3
	v_cndmask_b32_e64 v2, 0, v2, s[40:41]
	v_mov_b32_e32 v25, 0x70
	v_cndmask_b32_e32 v25, v2, v25, vcc
	v_add_u32_e32 v2, 21, v25
	v_or_b32_e32 v26, 0x800000, v0
	v_lshlrev_b64 v[28:29], v2, -1
	v_cndmask_b32_e32 v0, v26, v0, vcc
	v_add_u32_e32 v2, 20, v25
	v_bfi_b32 v28, v28, 0, v0
	v_lshlrev_b64 v[30:31], v2, 1
	v_lshrrev_b64 v[0:1], v25, v[0:1]
	v_bfi_b32 v29, v29, 0, 0
	v_cmp_eq_u64_e64 s[40:41], v[28:29], v[30:31]
	v_mov_b32_e32 v2, v1
	v_mov_b32_e32 v1, v0
	s_and_saveexec_b64 s[50:51], s[40:41]
; %bb.5360:                             ;   in Loop: Header=BB4_5228 Depth=4
	v_bfe_u32 v1, v0, 21, 1
	v_add_co_u32_e64 v1, s[40:41], v0, v1
	v_add_co_u32_e64 v1, s[40:41], -1, v1
; %bb.5361:                             ;   in Loop: Header=BB4_5228 Depth=4
	s_or_b64 exec, exec, s[50:51]
	v_add_u32_e32 v2, 0xffffff81, v3
	v_mov_b32_e32 v3, 0xffffff82
	v_cndmask_b32_e32 v2, v2, v3, vcc
	v_lshrrev_b32_e32 v3, 23, v0
	v_add3_u32 v25, v25, v2, v3
	v_add_u32_e32 v3, 14, v25
	v_and_b32_e32 v1, 0x1fffff, v1
	v_add_u32_e32 v0, v1, v0
	v_mov_b32_e32 v1, v17
	v_cmp_ne_u32_e32 vcc, 0, v3
                                        ; implicit-def: $vgpr2
	s_and_saveexec_b64 s[40:41], vcc
	s_xor_b64 s[40:41], exec, s[40:41]
; %bb.5362:                             ;   in Loop: Header=BB4_5228 Depth=4
	v_cmp_lt_u64_e32 vcc, s[88:89], v[0:1]
	v_add_u32_e32 v2, 15, v25
	v_cndmask_b32_e32 v2, v3, v2, vcc
	v_cndmask_b32_e64 v3, 0, 1, vcc
	v_lshrrev_b64 v[0:1], v3, v[0:1]
; %bb.5363:                             ;   in Loop: Header=BB4_5228 Depth=4
	s_andn2_saveexec_b64 s[40:41], s[40:41]
; %bb.5364:                             ;   in Loop: Header=BB4_5228 Depth=4
	v_bfe_u32 v2, v0, 23, 1
; %bb.5365:                             ;   in Loop: Header=BB4_5228 Depth=4
	s_or_b64 exec, exec, s[40:41]
	v_lshrrev_b64 v[0:1], 21, v[0:1]
	v_cmp_gt_i32_e32 vcc, 32, v2
	v_cndmask_b32_e32 v1, 0, v1, vcc
	v_cndmask_b32_e32 v0, 3, v0, vcc
	v_cmp_eq_u64_e64 s[40:41], 0, v[0:1]
	v_min_i32_e32 v1, 31, v2
	v_lshlrev_b32_e32 v1, 2, v1
	v_cmp_eq_u32_e32 vcc, 0, v2
	v_and_b32_e32 v1, 0xfc, v1
	v_and_or_b32 v0, v0, 3, v1
	s_and_b64 s[40:41], vcc, s[40:41]
	v_cndmask_b32_e64 v0, v0, 0, s[40:41]
	v_or_b32_e32 v3, v0, v23
.LBB4_5366:                             ;   in Loop: Header=BB4_5228 Depth=4
	s_or_b64 exec, exec, s[48:49]
                                        ; implicit-def: $vgpr23
.LBB4_5367:                             ;   in Loop: Header=BB4_5228 Depth=4
	s_andn2_saveexec_b64 s[40:41], s[38:39]
; %bb.5368:                             ;   in Loop: Header=BB4_5228 Depth=4
	v_or_b32_e32 v3, 0x7b, v23
; %bb.5369:                             ;   in Loop: Header=BB4_5228 Depth=4
	s_or_b64 exec, exec, s[40:41]
                                        ; implicit-def: $vgpr2
                                        ; implicit-def: $vgpr0_vgpr1
.LBB4_5370:                             ;   in Loop: Header=BB4_5228 Depth=4
	s_andn2_saveexec_b64 s[40:41], s[42:43]
	s_cbranch_execz .LBB4_5376
; %bb.5371:                             ;   in Loop: Header=BB4_5228 Depth=4
	v_cmp_ne_u64_e32 vcc, 0, v[0:1]
                                        ; implicit-def: $vgpr3
	s_and_saveexec_b64 s[42:43], vcc
	s_xor_b64 s[42:43], exec, s[42:43]
; %bb.5372:                             ;   in Loop: Header=BB4_5228 Depth=4
	v_or_b32_sdwa v3, v2, s47 dst_sel:DWORD dst_unused:UNUSED_PAD src0_sel:BYTE_3 src1_sel:DWORD
                                        ; implicit-def: $vgpr2
; %bb.5373:                             ;   in Loop: Header=BB4_5228 Depth=4
	s_andn2_saveexec_b64 s[42:43], s[42:43]
; %bb.5374:                             ;   in Loop: Header=BB4_5228 Depth=4
	v_cmp_lt_i32_e32 vcc, -1, v2
	v_bfrev_b32_e32 v0, 0.5
	v_cndmask_b32_e32 v3, v0, v52, vcc
; %bb.5375:                             ;   in Loop: Header=BB4_5228 Depth=4
	s_or_b64 exec, exec, s[42:43]
.LBB4_5376:                             ;   in Loop: Header=BB4_5228 Depth=4
	s_or_b64 exec, exec, s[40:41]
	v_lshrrev_b16_e32 v0, 8, v16
	v_cmp_ne_u16_e32 vcc, 0, v0
	v_mov_b32_e32 v1, 0
	s_and_saveexec_b64 s[40:41], vcc
	s_cbranch_execz .LBB4_5384
; %bb.5377:                             ;   in Loop: Header=BB4_5228 Depth=4
	v_cmp_ne_u16_e32 vcc, s96, v0
	v_bfrev_b32_e32 v1, 1
	s_and_saveexec_b64 s[42:43], vcc
	s_cbranch_execz .LBB4_5383
; %bb.5378:                             ;   in Loop: Header=BB4_5228 Depth=4
	v_and_b32_e32 v1, 0x7c, v0
	v_and_b32_e32 v2, 3, v0
	v_cmp_ne_u32_e32 vcc, s85, v1
                                        ; implicit-def: $vgpr1
	s_and_saveexec_b64 s[38:39], vcc
	s_xor_b64 s[38:39], exec, s[38:39]
	s_cbranch_execz .LBB4_5380
; %bb.5379:                             ;   in Loop: Header=BB4_5228 Depth=4
	v_ffbh_u32_e32 v25, v2
	v_min_u32_e32 v25, 32, v25
	v_mov_b32_e32 v1, v17
	v_subrev_u32_e32 v26, 29, v25
	v_bfe_u32 v23, v0, 2, 5
	v_lshlrev_b64 v[0:1], v26, v[0:1]
	v_cmp_eq_u32_e32 vcc, 0, v23
	v_and_b32_e32 v0, 3, v0
	v_sub_u32_e32 v1, 30, v25
	v_cndmask_b32_e32 v0, v2, v0, vcc
	v_lshlrev_b32_e32 v2, 16, v16
	v_cndmask_b32_e32 v1, v23, v1, vcc
	v_and_b32_e32 v2, 0x80000000, v2
	v_lshl_add_u32 v1, v1, 23, v2
	v_lshl_or_b32 v0, v0, 21, v1
	v_add_u32_e32 v1, 0x38000000, v0
                                        ; implicit-def: $vgpr2
.LBB4_5380:                             ;   in Loop: Header=BB4_5228 Depth=4
	s_andn2_saveexec_b64 s[38:39], s[38:39]
; %bb.5381:                             ;   in Loop: Header=BB4_5228 Depth=4
	v_cmp_lt_i16_e32 vcc, -1, v16
	v_mov_b32_e32 v0, 0xff800000
	v_mov_b32_e32 v1, 0x7f800000
	v_cndmask_b32_e32 v0, v0, v1, vcc
	v_cmp_eq_u32_e32 vcc, 0, v2
	v_mov_b32_e32 v1, 0x7f800001
	v_cndmask_b32_e32 v1, v1, v0, vcc
; %bb.5382:                             ;   in Loop: Header=BB4_5228 Depth=4
	s_or_b64 exec, exec, s[38:39]
.LBB4_5383:                             ;   in Loop: Header=BB4_5228 Depth=4
	s_or_b64 exec, exec, s[42:43]
.LBB4_5384:                             ;   in Loop: Header=BB4_5228 Depth=4
	s_or_b64 exec, exec, s[40:41]
	v_mul_f32_e32 v0, v24, v1
	v_and_b32_e32 v1, 0x7f800000, v0
	v_mov_b32_e32 v2, v17
	v_cmp_ne_u64_e32 vcc, s[76:77], v[1:2]
	v_and_b32_e32 v16, 0x7fffff, v0
                                        ; implicit-def: $vgpr35
	s_and_saveexec_b64 s[40:41], vcc
	s_xor_b64 s[42:43], exec, s[40:41]
	s_cbranch_execz .LBB4_5398
; %bb.5385:                             ;   in Loop: Header=BB4_5228 Depth=4
	v_and_b32_e32 v1, 0x7fffffff, v0
	v_mov_b32_e32 v2, v17
	v_cmp_gt_u64_e32 vcc, s[78:79], v[1:2]
	v_and_b32_sdwa v23, v0, s96 dst_sel:DWORD dst_unused:UNUSED_PAD src0_sel:BYTE_3 src1_sel:DWORD
                                        ; implicit-def: $vgpr35
	s_and_saveexec_b64 s[40:41], vcc
	s_xor_b64 s[38:39], exec, s[40:41]
	s_cbranch_execz .LBB4_5395
; %bb.5386:                             ;   in Loop: Header=BB4_5228 Depth=4
	v_mov_b32_e32 v35, 0
	v_cmp_ne_u32_e32 vcc, 0, v0
	s_and_saveexec_b64 s[48:49], vcc
	s_cbranch_execz .LBB4_5394
; %bb.5387:                             ;   in Loop: Header=BB4_5228 Depth=4
	v_bfe_u32 v25, v0, 23, 8
	v_cmp_gt_u32_e64 s[40:41], s46, v25
	v_sub_u32_e32 v0, 0x71, v25
	v_cmp_eq_u32_e32 vcc, 0, v25
	v_cndmask_b32_e64 v0, 0, v0, s[40:41]
	v_mov_b32_e32 v2, 0x70
	v_cndmask_b32_e32 v26, v0, v2, vcc
	v_add_u32_e32 v2, 21, v26
	v_or_b32_e32 v1, 0x800000, v16
	v_lshlrev_b64 v[28:29], v2, -1
	v_cndmask_b32_e32 v0, v1, v16, vcc
	v_mov_b32_e32 v1, v17
	v_add_u32_e32 v2, 20, v26
	v_bfi_b32 v28, v28, 0, v0
	v_lshlrev_b64 v[30:31], v2, 1
	v_lshrrev_b64 v[0:1], v26, v[0:1]
	v_bfi_b32 v29, v29, 0, 0
	v_cmp_eq_u64_e64 s[40:41], v[28:29], v[30:31]
	v_mov_b32_e32 v2, v1
	v_mov_b32_e32 v1, v0
	s_and_saveexec_b64 s[50:51], s[40:41]
; %bb.5388:                             ;   in Loop: Header=BB4_5228 Depth=4
	v_bfe_u32 v1, v0, 21, 1
	v_add_co_u32_e64 v1, s[40:41], v0, v1
	v_add_co_u32_e64 v1, s[40:41], -1, v1
; %bb.5389:                             ;   in Loop: Header=BB4_5228 Depth=4
	s_or_b64 exec, exec, s[50:51]
	v_add_u32_e32 v2, 0xffffff81, v25
	v_mov_b32_e32 v16, 0xffffff82
	v_cndmask_b32_e32 v2, v2, v16, vcc
	v_lshrrev_b32_e32 v16, 23, v0
	v_add3_u32 v26, v26, v2, v16
	v_add_u32_e32 v25, 14, v26
	v_and_b32_e32 v1, 0x1fffff, v1
	v_add_u32_e32 v16, v1, v0
	v_cmp_ne_u32_e32 vcc, 0, v25
                                        ; implicit-def: $vgpr0_vgpr1
                                        ; implicit-def: $vgpr2
	s_and_saveexec_b64 s[40:41], vcc
	s_xor_b64 s[40:41], exec, s[40:41]
; %bb.5390:                             ;   in Loop: Header=BB4_5228 Depth=4
	v_cmp_lt_u64_e32 vcc, s[88:89], v[16:17]
	v_add_u32_e32 v0, 15, v26
	v_cndmask_b32_e32 v2, v25, v0, vcc
	v_cndmask_b32_e64 v0, 0, 1, vcc
	v_lshrrev_b64 v[0:1], v0, v[16:17]
; %bb.5391:                             ;   in Loop: Header=BB4_5228 Depth=4
	s_andn2_saveexec_b64 s[40:41], s[40:41]
; %bb.5392:                             ;   in Loop: Header=BB4_5228 Depth=4
	v_mov_b32_e32 v0, v16
	v_mov_b32_e32 v1, v17
	v_bfe_u32 v2, v16, 23, 1
; %bb.5393:                             ;   in Loop: Header=BB4_5228 Depth=4
	s_or_b64 exec, exec, s[40:41]
	v_lshrrev_b64 v[0:1], 21, v[0:1]
	v_cmp_gt_i32_e32 vcc, 32, v2
	v_cndmask_b32_e32 v1, 0, v1, vcc
	v_cndmask_b32_e32 v0, 3, v0, vcc
	v_cmp_eq_u64_e64 s[40:41], 0, v[0:1]
	v_min_i32_e32 v1, 31, v2
	v_lshlrev_b32_e32 v1, 2, v1
	v_cmp_eq_u32_e32 vcc, 0, v2
	v_and_b32_e32 v1, 0xfc, v1
	v_and_or_b32 v0, v0, 3, v1
	s_and_b64 s[40:41], vcc, s[40:41]
	v_cndmask_b32_e64 v0, v0, 0, s[40:41]
	v_or_b32_e32 v35, v0, v23
.LBB4_5394:                             ;   in Loop: Header=BB4_5228 Depth=4
	s_or_b64 exec, exec, s[48:49]
                                        ; implicit-def: $vgpr23
.LBB4_5395:                             ;   in Loop: Header=BB4_5228 Depth=4
	s_andn2_saveexec_b64 s[40:41], s[38:39]
; %bb.5396:                             ;   in Loop: Header=BB4_5228 Depth=4
	v_or_b32_e32 v35, 0x7b, v23
; %bb.5397:                             ;   in Loop: Header=BB4_5228 Depth=4
	s_or_b64 exec, exec, s[40:41]
                                        ; implicit-def: $vgpr0
.LBB4_5398:                             ;   in Loop: Header=BB4_5228 Depth=4
	s_andn2_saveexec_b64 s[40:41], s[42:43]
	s_cbranch_execz .LBB4_5404
; %bb.5399:                             ;   in Loop: Header=BB4_5228 Depth=4
	v_cmp_ne_u64_e32 vcc, 0, v[16:17]
                                        ; implicit-def: $vgpr35
	s_and_saveexec_b64 s[42:43], vcc
	s_xor_b64 s[42:43], exec, s[42:43]
; %bb.5400:                             ;   in Loop: Header=BB4_5228 Depth=4
	v_or_b32_sdwa v35, v0, s47 dst_sel:DWORD dst_unused:UNUSED_PAD src0_sel:BYTE_3 src1_sel:DWORD
                                        ; implicit-def: $vgpr0
; %bb.5401:                             ;   in Loop: Header=BB4_5228 Depth=4
	s_andn2_saveexec_b64 s[42:43], s[42:43]
; %bb.5402:                             ;   in Loop: Header=BB4_5228 Depth=4
	v_cmp_lt_i32_e32 vcc, -1, v0
	v_bfrev_b32_e32 v0, 0.5
	v_cndmask_b32_e32 v35, v0, v52, vcc
; %bb.5403:                             ;   in Loop: Header=BB4_5228 Depth=4
	s_or_b64 exec, exec, s[42:43]
.LBB4_5404:                             ;   in Loop: Header=BB4_5228 Depth=4
	s_or_b64 exec, exec, s[40:41]
	v_lshrrev_b32_e32 v0, 16, v9
	v_cmp_ne_u16_sdwa s[42:43], v0, v17 src0_sel:BYTE_0 src1_sel:DWORD
	v_mov_b32_e32 v1, 0
	s_and_saveexec_b64 s[40:41], s[42:43]
	s_cbranch_execz .LBB4_5412
; %bb.5405:                             ;   in Loop: Header=BB4_5228 Depth=4
	v_cmp_ne_u16_sdwa vcc, v0, s96 src0_sel:BYTE_0 src1_sel:DWORD
	v_bfrev_b32_e32 v1, 1
	s_and_saveexec_b64 s[42:43], vcc
	s_cbranch_execz .LBB4_5411
; %bb.5406:                             ;   in Loop: Header=BB4_5228 Depth=4
	v_and_b32_e32 v1, 0x7c0000, v9
	v_bfe_u32 v2, v9, 16, 2
	v_cmp_ne_u32_e32 vcc, s44, v1
                                        ; implicit-def: $vgpr1
	s_and_saveexec_b64 s[38:39], vcc
	s_xor_b64 s[38:39], exec, s[38:39]
	s_cbranch_execz .LBB4_5408
; %bb.5407:                             ;   in Loop: Header=BB4_5228 Depth=4
	v_ffbh_u32_e32 v1, v2
	v_min_u32_e32 v23, 32, v1
	v_subrev_u32_e32 v1, 29, v23
	v_lshlrev_b64 v[0:1], v1, v[0:1]
	v_bfe_u32 v16, v9, 18, 5
	v_and_b32_e32 v0, 3, v0
	v_cmp_eq_u32_e32 vcc, 0, v16
	v_sub_u32_e32 v1, 30, v23
	v_cndmask_b32_e32 v0, v2, v0, vcc
	v_lshlrev_b32_e32 v2, 8, v9
	v_cndmask_b32_e32 v1, v16, v1, vcc
	v_and_b32_e32 v2, 0x80000000, v2
	v_lshl_add_u32 v1, v1, 23, v2
	v_lshl_or_b32 v0, v0, 21, v1
	v_add_u32_e32 v1, 0x38000000, v0
                                        ; implicit-def: $vgpr2
                                        ; implicit-def: $vgpr0
.LBB4_5408:                             ;   in Loop: Header=BB4_5228 Depth=4
	s_andn2_saveexec_b64 s[38:39], s[38:39]
; %bb.5409:                             ;   in Loop: Header=BB4_5228 Depth=4
	v_mov_b32_e32 v1, -1
	v_cmp_gt_i16_sdwa vcc, sext(v0), v1 src0_sel:BYTE_0 src1_sel:DWORD
	v_mov_b32_e32 v0, 0xff800000
	v_mov_b32_e32 v1, 0x7f800000
	v_cndmask_b32_e32 v0, v0, v1, vcc
	v_cmp_eq_u32_e32 vcc, 0, v2
	v_mov_b32_e32 v1, 0x7f800001
	v_cndmask_b32_e32 v1, v1, v0, vcc
; %bb.5410:                             ;   in Loop: Header=BB4_5228 Depth=4
	s_or_b64 exec, exec, s[38:39]
.LBB4_5411:                             ;   in Loop: Header=BB4_5228 Depth=4
	s_or_b64 exec, exec, s[42:43]
.LBB4_5412:                             ;   in Loop: Header=BB4_5228 Depth=4
	s_or_b64 exec, exec, s[40:41]
	v_mul_f32_e32 v0, v24, v1
	v_and_b32_e32 v1, 0x7f800000, v0
	v_mov_b32_e32 v2, v17
	v_cmp_ne_u64_e32 vcc, s[76:77], v[1:2]
	v_and_b32_e32 v16, 0x7fffff, v0
                                        ; implicit-def: $vgpr37
	s_and_saveexec_b64 s[40:41], vcc
	s_xor_b64 s[42:43], exec, s[40:41]
	s_cbranch_execz .LBB4_5426
; %bb.5413:                             ;   in Loop: Header=BB4_5228 Depth=4
	v_and_b32_e32 v1, 0x7fffffff, v0
	v_mov_b32_e32 v2, v17
	v_cmp_gt_u64_e32 vcc, s[78:79], v[1:2]
	v_and_b32_sdwa v23, v0, s96 dst_sel:DWORD dst_unused:UNUSED_PAD src0_sel:BYTE_3 src1_sel:DWORD
                                        ; implicit-def: $vgpr37
	s_and_saveexec_b64 s[40:41], vcc
	s_xor_b64 s[38:39], exec, s[40:41]
	s_cbranch_execz .LBB4_5423
; %bb.5414:                             ;   in Loop: Header=BB4_5228 Depth=4
	v_mov_b32_e32 v37, 0
	v_cmp_ne_u32_e32 vcc, 0, v0
	s_and_saveexec_b64 s[48:49], vcc
	s_cbranch_execz .LBB4_5422
; %bb.5415:                             ;   in Loop: Header=BB4_5228 Depth=4
	v_bfe_u32 v25, v0, 23, 8
	v_cmp_gt_u32_e64 s[40:41], s46, v25
	v_sub_u32_e32 v0, 0x71, v25
	v_cmp_eq_u32_e32 vcc, 0, v25
	v_cndmask_b32_e64 v0, 0, v0, s[40:41]
	v_mov_b32_e32 v2, 0x70
	v_cndmask_b32_e32 v26, v0, v2, vcc
	v_add_u32_e32 v2, 21, v26
	v_or_b32_e32 v1, 0x800000, v16
	v_lshlrev_b64 v[28:29], v2, -1
	v_cndmask_b32_e32 v0, v1, v16, vcc
	v_mov_b32_e32 v1, v17
	v_add_u32_e32 v2, 20, v26
	v_bfi_b32 v28, v28, 0, v0
	v_lshlrev_b64 v[30:31], v2, 1
	v_lshrrev_b64 v[0:1], v26, v[0:1]
	v_bfi_b32 v29, v29, 0, 0
	v_cmp_eq_u64_e64 s[40:41], v[28:29], v[30:31]
	v_mov_b32_e32 v2, v1
	v_mov_b32_e32 v1, v0
	s_and_saveexec_b64 s[50:51], s[40:41]
; %bb.5416:                             ;   in Loop: Header=BB4_5228 Depth=4
	v_bfe_u32 v1, v0, 21, 1
	v_add_co_u32_e64 v1, s[40:41], v0, v1
	v_add_co_u32_e64 v1, s[40:41], -1, v1
; %bb.5417:                             ;   in Loop: Header=BB4_5228 Depth=4
	s_or_b64 exec, exec, s[50:51]
	v_add_u32_e32 v2, 0xffffff81, v25
	v_mov_b32_e32 v16, 0xffffff82
	v_cndmask_b32_e32 v2, v2, v16, vcc
	v_lshrrev_b32_e32 v16, 23, v0
	v_add3_u32 v26, v26, v2, v16
	v_add_u32_e32 v25, 14, v26
	v_and_b32_e32 v1, 0x1fffff, v1
	v_add_u32_e32 v16, v1, v0
	v_cmp_ne_u32_e32 vcc, 0, v25
                                        ; implicit-def: $vgpr0_vgpr1
                                        ; implicit-def: $vgpr2
	s_and_saveexec_b64 s[40:41], vcc
	s_xor_b64 s[40:41], exec, s[40:41]
; %bb.5418:                             ;   in Loop: Header=BB4_5228 Depth=4
	v_cmp_lt_u64_e32 vcc, s[88:89], v[16:17]
	v_add_u32_e32 v0, 15, v26
	v_cndmask_b32_e32 v2, v25, v0, vcc
	v_cndmask_b32_e64 v0, 0, 1, vcc
	v_lshrrev_b64 v[0:1], v0, v[16:17]
; %bb.5419:                             ;   in Loop: Header=BB4_5228 Depth=4
	s_andn2_saveexec_b64 s[40:41], s[40:41]
; %bb.5420:                             ;   in Loop: Header=BB4_5228 Depth=4
	v_mov_b32_e32 v0, v16
	v_mov_b32_e32 v1, v17
	v_bfe_u32 v2, v16, 23, 1
; %bb.5421:                             ;   in Loop: Header=BB4_5228 Depth=4
	s_or_b64 exec, exec, s[40:41]
	v_lshrrev_b64 v[0:1], 21, v[0:1]
	v_cmp_gt_i32_e32 vcc, 32, v2
	v_cndmask_b32_e32 v1, 0, v1, vcc
	v_cndmask_b32_e32 v0, 3, v0, vcc
	v_cmp_eq_u64_e64 s[40:41], 0, v[0:1]
	v_min_i32_e32 v1, 31, v2
	v_lshlrev_b32_e32 v1, 2, v1
	v_cmp_eq_u32_e32 vcc, 0, v2
	v_and_b32_e32 v1, 0xfc, v1
	v_and_or_b32 v0, v0, 3, v1
	s_and_b64 s[40:41], vcc, s[40:41]
	v_cndmask_b32_e64 v0, v0, 0, s[40:41]
	v_or_b32_e32 v37, v0, v23
.LBB4_5422:                             ;   in Loop: Header=BB4_5228 Depth=4
	s_or_b64 exec, exec, s[48:49]
                                        ; implicit-def: $vgpr23
.LBB4_5423:                             ;   in Loop: Header=BB4_5228 Depth=4
	s_andn2_saveexec_b64 s[40:41], s[38:39]
; %bb.5424:                             ;   in Loop: Header=BB4_5228 Depth=4
	v_or_b32_e32 v37, 0x7b, v23
; %bb.5425:                             ;   in Loop: Header=BB4_5228 Depth=4
	s_or_b64 exec, exec, s[40:41]
                                        ; implicit-def: $vgpr0
.LBB4_5426:                             ;   in Loop: Header=BB4_5228 Depth=4
	s_andn2_saveexec_b64 s[40:41], s[42:43]
	s_cbranch_execz .LBB4_5432
; %bb.5427:                             ;   in Loop: Header=BB4_5228 Depth=4
	v_cmp_ne_u64_e32 vcc, 0, v[16:17]
                                        ; implicit-def: $vgpr37
	s_and_saveexec_b64 s[42:43], vcc
	s_xor_b64 s[42:43], exec, s[42:43]
; %bb.5428:                             ;   in Loop: Header=BB4_5228 Depth=4
	v_or_b32_sdwa v37, v0, s47 dst_sel:DWORD dst_unused:UNUSED_PAD src0_sel:BYTE_3 src1_sel:DWORD
                                        ; implicit-def: $vgpr0
; %bb.5429:                             ;   in Loop: Header=BB4_5228 Depth=4
	s_andn2_saveexec_b64 s[42:43], s[42:43]
; %bb.5430:                             ;   in Loop: Header=BB4_5228 Depth=4
	v_cmp_lt_i32_e32 vcc, -1, v0
	v_bfrev_b32_e32 v0, 0.5
	v_cndmask_b32_e32 v37, v0, v52, vcc
; %bb.5431:                             ;   in Loop: Header=BB4_5228 Depth=4
	s_or_b64 exec, exec, s[42:43]
.LBB4_5432:                             ;   in Loop: Header=BB4_5228 Depth=4
	s_or_b64 exec, exec, s[40:41]
	v_cmp_lt_u64_e32 vcc, s[56:57], v[8:9]
	v_mov_b32_e32 v1, 0
	s_and_saveexec_b64 s[40:41], vcc
	s_cbranch_execz .LBB4_5440
; %bb.5433:                             ;   in Loop: Header=BB4_5228 Depth=4
	v_lshrrev_b32_e32 v0, 24, v9
	v_cmp_ne_u32_e32 vcc, s96, v0
	v_bfrev_b32_e32 v1, 1
	s_and_saveexec_b64 s[42:43], vcc
	s_cbranch_execz .LBB4_5439
; %bb.5434:                             ;   in Loop: Header=BB4_5228 Depth=4
	v_and_b32_e32 v1, 0x7c000000, v9
	v_bfe_u32 v2, v9, 24, 2
	v_cmp_ne_u32_e32 vcc, s45, v1
                                        ; implicit-def: $vgpr1
	s_and_saveexec_b64 s[38:39], vcc
	s_xor_b64 s[38:39], exec, s[38:39]
	s_cbranch_execz .LBB4_5436
; %bb.5435:                             ;   in Loop: Header=BB4_5228 Depth=4
	v_ffbh_u32_e32 v1, v2
	v_min_u32_e32 v23, 32, v1
	v_subrev_u32_e32 v1, 29, v23
	v_lshlrev_b64 v[0:1], v1, v[0:1]
	v_bfe_u32 v16, v9, 26, 5
	v_sub_u32_e32 v1, 30, v23
	v_and_b32_e32 v0, 3, v0
	v_cmp_eq_u32_e32 vcc, 0, v16
	v_cndmask_b32_e32 v1, v16, v1, vcc
	v_cndmask_b32_e32 v0, v2, v0, vcc
	v_and_b32_e32 v2, 0x80000000, v9
	v_lshl_add_u32 v1, v1, 23, v2
	v_lshl_or_b32 v0, v0, 21, v1
	v_add_u32_e32 v1, 0x38000000, v0
                                        ; implicit-def: $vgpr2
.LBB4_5436:                             ;   in Loop: Header=BB4_5228 Depth=4
	s_andn2_saveexec_b64 s[38:39], s[38:39]
; %bb.5437:                             ;   in Loop: Header=BB4_5228 Depth=4
	v_cmp_lt_i64_e32 vcc, -1, v[8:9]
	v_mov_b32_e32 v0, 0xff800000
	v_mov_b32_e32 v1, 0x7f800000
	v_cndmask_b32_e32 v0, v0, v1, vcc
	v_cmp_eq_u32_e32 vcc, 0, v2
	v_mov_b32_e32 v1, 0x7f800001
	v_cndmask_b32_e32 v1, v1, v0, vcc
; %bb.5438:                             ;   in Loop: Header=BB4_5228 Depth=4
	s_or_b64 exec, exec, s[38:39]
.LBB4_5439:                             ;   in Loop: Header=BB4_5228 Depth=4
	s_or_b64 exec, exec, s[42:43]
.LBB4_5440:                             ;   in Loop: Header=BB4_5228 Depth=4
	s_or_b64 exec, exec, s[40:41]
	v_mul_f32_e32 v0, v24, v1
	v_and_b32_e32 v1, 0x7f800000, v0
	v_mov_b32_e32 v2, v17
	v_cmp_ne_u64_e32 vcc, s[76:77], v[1:2]
	v_and_b32_e32 v16, 0x7fffff, v0
                                        ; implicit-def: $vgpr38
	s_and_saveexec_b64 s[40:41], vcc
	s_xor_b64 s[42:43], exec, s[40:41]
	s_cbranch_execz .LBB4_5454
; %bb.5441:                             ;   in Loop: Header=BB4_5228 Depth=4
	v_and_b32_e32 v1, 0x7fffffff, v0
	v_mov_b32_e32 v2, v17
	v_cmp_gt_u64_e32 vcc, s[78:79], v[1:2]
	v_and_b32_sdwa v8, v0, s96 dst_sel:DWORD dst_unused:UNUSED_PAD src0_sel:BYTE_3 src1_sel:DWORD
                                        ; implicit-def: $vgpr38
	s_and_saveexec_b64 s[40:41], vcc
	s_xor_b64 s[38:39], exec, s[40:41]
	s_cbranch_execz .LBB4_5451
; %bb.5442:                             ;   in Loop: Header=BB4_5228 Depth=4
	v_mov_b32_e32 v38, 0
	v_cmp_ne_u32_e32 vcc, 0, v0
	s_and_saveexec_b64 s[48:49], vcc
	s_cbranch_execz .LBB4_5450
; %bb.5443:                             ;   in Loop: Header=BB4_5228 Depth=4
	v_bfe_u32 v9, v0, 23, 8
	v_cmp_gt_u32_e64 s[40:41], s46, v9
	v_sub_u32_e32 v0, 0x71, v9
	v_cmp_eq_u32_e32 vcc, 0, v9
	v_cndmask_b32_e64 v0, 0, v0, s[40:41]
	v_mov_b32_e32 v2, 0x70
	v_cndmask_b32_e32 v23, v0, v2, vcc
	v_add_u32_e32 v2, 21, v23
	v_or_b32_e32 v1, 0x800000, v16
	v_lshlrev_b64 v[25:26], v2, -1
	v_cndmask_b32_e32 v0, v1, v16, vcc
	v_mov_b32_e32 v1, v17
	v_add_u32_e32 v2, 20, v23
	v_bfi_b32 v25, v25, 0, v0
	v_lshlrev_b64 v[28:29], v2, 1
	v_lshrrev_b64 v[0:1], v23, v[0:1]
	v_bfi_b32 v26, v26, 0, 0
	v_cmp_eq_u64_e64 s[40:41], v[25:26], v[28:29]
	v_mov_b32_e32 v2, v1
	v_mov_b32_e32 v1, v0
	s_and_saveexec_b64 s[50:51], s[40:41]
; %bb.5444:                             ;   in Loop: Header=BB4_5228 Depth=4
	v_bfe_u32 v1, v0, 21, 1
	v_add_co_u32_e64 v1, s[40:41], v0, v1
	v_add_co_u32_e64 v1, s[40:41], -1, v1
; %bb.5445:                             ;   in Loop: Header=BB4_5228 Depth=4
	s_or_b64 exec, exec, s[50:51]
	v_add_u32_e32 v2, 0xffffff81, v9
	v_mov_b32_e32 v9, 0xffffff82
	v_cndmask_b32_e32 v2, v2, v9, vcc
	v_lshrrev_b32_e32 v9, 23, v0
	v_add3_u32 v23, v23, v2, v9
	v_add_u32_e32 v9, 14, v23
	v_and_b32_e32 v1, 0x1fffff, v1
	v_add_u32_e32 v16, v1, v0
	v_cmp_ne_u32_e32 vcc, 0, v9
                                        ; implicit-def: $vgpr0_vgpr1
                                        ; implicit-def: $vgpr2
	s_and_saveexec_b64 s[40:41], vcc
	s_xor_b64 s[40:41], exec, s[40:41]
; %bb.5446:                             ;   in Loop: Header=BB4_5228 Depth=4
	v_cmp_lt_u64_e32 vcc, s[88:89], v[16:17]
	v_add_u32_e32 v0, 15, v23
	v_cndmask_b32_e32 v2, v9, v0, vcc
	v_cndmask_b32_e64 v0, 0, 1, vcc
	v_lshrrev_b64 v[0:1], v0, v[16:17]
; %bb.5447:                             ;   in Loop: Header=BB4_5228 Depth=4
	s_andn2_saveexec_b64 s[40:41], s[40:41]
; %bb.5448:                             ;   in Loop: Header=BB4_5228 Depth=4
	v_mov_b32_e32 v0, v16
	v_mov_b32_e32 v1, v17
	v_bfe_u32 v2, v16, 23, 1
; %bb.5449:                             ;   in Loop: Header=BB4_5228 Depth=4
	s_or_b64 exec, exec, s[40:41]
	v_lshrrev_b64 v[0:1], 21, v[0:1]
	v_cmp_gt_i32_e32 vcc, 32, v2
	v_cndmask_b32_e32 v1, 0, v1, vcc
	v_cndmask_b32_e32 v0, 3, v0, vcc
	v_cmp_eq_u64_e64 s[40:41], 0, v[0:1]
	v_min_i32_e32 v1, 31, v2
	v_lshlrev_b32_e32 v1, 2, v1
	v_cmp_eq_u32_e32 vcc, 0, v2
	v_and_b32_e32 v1, 0xfc, v1
	v_and_or_b32 v0, v0, 3, v1
	s_and_b64 s[40:41], vcc, s[40:41]
	v_cndmask_b32_e64 v0, v0, 0, s[40:41]
	v_or_b32_e32 v38, v0, v8
.LBB4_5450:                             ;   in Loop: Header=BB4_5228 Depth=4
	s_or_b64 exec, exec, s[48:49]
                                        ; implicit-def: $vgpr8
.LBB4_5451:                             ;   in Loop: Header=BB4_5228 Depth=4
	s_andn2_saveexec_b64 s[40:41], s[38:39]
; %bb.5452:                             ;   in Loop: Header=BB4_5228 Depth=4
	v_or_b32_e32 v38, 0x7b, v8
; %bb.5453:                             ;   in Loop: Header=BB4_5228 Depth=4
	s_or_b64 exec, exec, s[40:41]
                                        ; implicit-def: $vgpr0
.LBB4_5454:                             ;   in Loop: Header=BB4_5228 Depth=4
	s_andn2_saveexec_b64 s[40:41], s[42:43]
	s_cbranch_execz .LBB4_5460
; %bb.5455:                             ;   in Loop: Header=BB4_5228 Depth=4
	v_cmp_ne_u64_e32 vcc, 0, v[16:17]
                                        ; implicit-def: $vgpr38
	s_and_saveexec_b64 s[42:43], vcc
	s_xor_b64 s[42:43], exec, s[42:43]
; %bb.5456:                             ;   in Loop: Header=BB4_5228 Depth=4
	v_or_b32_sdwa v38, v0, s47 dst_sel:DWORD dst_unused:UNUSED_PAD src0_sel:BYTE_3 src1_sel:DWORD
                                        ; implicit-def: $vgpr0
; %bb.5457:                             ;   in Loop: Header=BB4_5228 Depth=4
	s_andn2_saveexec_b64 s[42:43], s[42:43]
; %bb.5458:                             ;   in Loop: Header=BB4_5228 Depth=4
	v_cmp_lt_i32_e32 vcc, -1, v0
	v_bfrev_b32_e32 v0, 0.5
	v_cndmask_b32_e32 v38, v0, v52, vcc
; %bb.5459:                             ;   in Loop: Header=BB4_5228 Depth=4
	s_or_b64 exec, exec, s[42:43]
.LBB4_5460:                             ;   in Loop: Header=BB4_5228 Depth=4
	s_or_b64 exec, exec, s[40:41]
	v_cmp_ne_u16_sdwa s[42:43], v10, v17 src0_sel:BYTE_0 src1_sel:DWORD
	v_mov_b32_e32 v0, 0
	s_and_saveexec_b64 s[40:41], s[42:43]
	s_cbranch_execz .LBB4_5468
; %bb.5461:                             ;   in Loop: Header=BB4_5228 Depth=4
	v_cmp_ne_u16_sdwa vcc, sext(v10), s97 src0_sel:BYTE_0 src1_sel:DWORD
	v_bfrev_b32_e32 v0, 1
	s_and_saveexec_b64 s[42:43], vcc
	s_cbranch_execz .LBB4_5467
; %bb.5462:                             ;   in Loop: Header=BB4_5228 Depth=4
	v_and_b32_e32 v0, 0x7c, v10
	v_and_b32_e32 v1, 3, v10
	v_cmp_ne_u32_e32 vcc, s85, v0
                                        ; implicit-def: $vgpr0
	s_and_saveexec_b64 s[38:39], vcc
	s_xor_b64 s[38:39], exec, s[38:39]
	s_cbranch_execz .LBB4_5464
; %bb.5463:                             ;   in Loop: Header=BB4_5228 Depth=4
	v_ffbh_u32_e32 v2, v1
	v_min_u32_e32 v2, 32, v2
	v_bfe_u32 v0, v10, 2, 5
	v_subrev_u32_e32 v8, 29, v2
	v_lshlrev_b64 v[8:9], v8, v[10:11]
	v_sub_u32_e32 v2, 30, v2
	v_cmp_eq_u32_e32 vcc, 0, v0
	v_cndmask_b32_e32 v0, v0, v2, vcc
	v_lshlrev_b32_e32 v2, 24, v10
	v_and_b32_e32 v8, 3, v8
	v_and_b32_e32 v2, 0x80000000, v2
	v_cndmask_b32_e32 v1, v1, v8, vcc
	v_lshl_add_u32 v0, v0, 23, v2
	v_lshl_or_b32 v0, v1, 21, v0
	v_add_u32_e32 v0, 0x38000000, v0
                                        ; implicit-def: $vgpr1
.LBB4_5464:                             ;   in Loop: Header=BB4_5228 Depth=4
	s_andn2_saveexec_b64 s[38:39], s[38:39]
; %bb.5465:                             ;   in Loop: Header=BB4_5228 Depth=4
	v_mov_b32_e32 v0, -1
	v_cmp_gt_i16_sdwa vcc, sext(v10), v0 src0_sel:BYTE_0 src1_sel:DWORD
	v_mov_b32_e32 v0, 0xff800000
	v_mov_b32_e32 v2, 0x7f800000
	v_cndmask_b32_e32 v0, v0, v2, vcc
	v_cmp_eq_u32_e32 vcc, 0, v1
	v_mov_b32_e32 v1, 0x7f800001
	v_cndmask_b32_e32 v0, v1, v0, vcc
; %bb.5466:                             ;   in Loop: Header=BB4_5228 Depth=4
	s_or_b64 exec, exec, s[38:39]
.LBB4_5467:                             ;   in Loop: Header=BB4_5228 Depth=4
	s_or_b64 exec, exec, s[42:43]
.LBB4_5468:                             ;   in Loop: Header=BB4_5228 Depth=4
	s_or_b64 exec, exec, s[40:41]
	v_mul_f32_e32 v0, v24, v0
	v_and_b32_e32 v1, 0x7f800000, v0
	v_mov_b32_e32 v2, v17
	v_cmp_ne_u64_e32 vcc, s[76:77], v[1:2]
	v_and_b32_e32 v16, 0x7fffff, v0
                                        ; implicit-def: $vgpr25
	s_and_saveexec_b64 s[40:41], vcc
	s_xor_b64 s[42:43], exec, s[40:41]
	s_cbranch_execz .LBB4_5482
; %bb.5469:                             ;   in Loop: Header=BB4_5228 Depth=4
	v_and_b32_e32 v1, 0x7fffffff, v0
	v_mov_b32_e32 v2, v17
	v_cmp_gt_u64_e32 vcc, s[78:79], v[1:2]
	v_and_b32_sdwa v8, v0, s96 dst_sel:DWORD dst_unused:UNUSED_PAD src0_sel:BYTE_3 src1_sel:DWORD
                                        ; implicit-def: $vgpr25
	s_and_saveexec_b64 s[40:41], vcc
	s_xor_b64 s[38:39], exec, s[40:41]
	s_cbranch_execz .LBB4_5479
; %bb.5470:                             ;   in Loop: Header=BB4_5228 Depth=4
	v_mov_b32_e32 v25, 0
	v_cmp_ne_u32_e32 vcc, 0, v0
	s_and_saveexec_b64 s[48:49], vcc
	s_cbranch_execz .LBB4_5478
; %bb.5471:                             ;   in Loop: Header=BB4_5228 Depth=4
	v_bfe_u32 v9, v0, 23, 8
	v_cmp_gt_u32_e64 s[40:41], s46, v9
	v_sub_u32_e32 v0, 0x71, v9
	v_cmp_eq_u32_e32 vcc, 0, v9
	v_cndmask_b32_e64 v0, 0, v0, s[40:41]
	v_mov_b32_e32 v2, 0x70
	v_cndmask_b32_e32 v23, v0, v2, vcc
	v_add_u32_e32 v2, 21, v23
	v_or_b32_e32 v1, 0x800000, v16
	v_lshlrev_b64 v[25:26], v2, -1
	v_cndmask_b32_e32 v0, v1, v16, vcc
	v_mov_b32_e32 v1, v17
	v_add_u32_e32 v2, 20, v23
	v_bfi_b32 v25, v25, 0, v0
	v_lshlrev_b64 v[28:29], v2, 1
	v_lshrrev_b64 v[0:1], v23, v[0:1]
	v_bfi_b32 v26, v26, 0, 0
	v_cmp_eq_u64_e64 s[40:41], v[25:26], v[28:29]
	v_mov_b32_e32 v2, v1
	v_mov_b32_e32 v1, v0
	s_and_saveexec_b64 s[50:51], s[40:41]
; %bb.5472:                             ;   in Loop: Header=BB4_5228 Depth=4
	v_bfe_u32 v1, v0, 21, 1
	v_add_co_u32_e64 v1, s[40:41], v0, v1
	v_add_co_u32_e64 v1, s[40:41], -1, v1
; %bb.5473:                             ;   in Loop: Header=BB4_5228 Depth=4
	s_or_b64 exec, exec, s[50:51]
	v_add_u32_e32 v2, 0xffffff81, v9
	v_mov_b32_e32 v9, 0xffffff82
	v_cndmask_b32_e32 v2, v2, v9, vcc
	v_lshrrev_b32_e32 v9, 23, v0
	v_add3_u32 v23, v23, v2, v9
	v_add_u32_e32 v9, 14, v23
	v_and_b32_e32 v1, 0x1fffff, v1
	v_add_u32_e32 v16, v1, v0
	v_cmp_ne_u32_e32 vcc, 0, v9
                                        ; implicit-def: $vgpr0_vgpr1
                                        ; implicit-def: $vgpr2
	s_and_saveexec_b64 s[40:41], vcc
	s_xor_b64 s[40:41], exec, s[40:41]
; %bb.5474:                             ;   in Loop: Header=BB4_5228 Depth=4
	v_cmp_lt_u64_e32 vcc, s[88:89], v[16:17]
	v_add_u32_e32 v0, 15, v23
	v_cndmask_b32_e32 v2, v9, v0, vcc
	v_cndmask_b32_e64 v0, 0, 1, vcc
	v_lshrrev_b64 v[0:1], v0, v[16:17]
; %bb.5475:                             ;   in Loop: Header=BB4_5228 Depth=4
	s_andn2_saveexec_b64 s[40:41], s[40:41]
; %bb.5476:                             ;   in Loop: Header=BB4_5228 Depth=4
	v_mov_b32_e32 v0, v16
	v_mov_b32_e32 v1, v17
	v_bfe_u32 v2, v16, 23, 1
; %bb.5477:                             ;   in Loop: Header=BB4_5228 Depth=4
	s_or_b64 exec, exec, s[40:41]
	v_lshrrev_b64 v[0:1], 21, v[0:1]
	v_cmp_gt_i32_e32 vcc, 32, v2
	v_cndmask_b32_e32 v1, 0, v1, vcc
	v_cndmask_b32_e32 v0, 3, v0, vcc
	v_cmp_eq_u64_e64 s[40:41], 0, v[0:1]
	v_min_i32_e32 v1, 31, v2
	v_lshlrev_b32_e32 v1, 2, v1
	v_cmp_eq_u32_e32 vcc, 0, v2
	v_and_b32_e32 v1, 0xfc, v1
	v_and_or_b32 v0, v0, 3, v1
	s_and_b64 s[40:41], vcc, s[40:41]
	v_cndmask_b32_e64 v0, v0, 0, s[40:41]
	v_or_b32_e32 v25, v0, v8
.LBB4_5478:                             ;   in Loop: Header=BB4_5228 Depth=4
	s_or_b64 exec, exec, s[48:49]
                                        ; implicit-def: $vgpr8
.LBB4_5479:                             ;   in Loop: Header=BB4_5228 Depth=4
	s_andn2_saveexec_b64 s[40:41], s[38:39]
; %bb.5480:                             ;   in Loop: Header=BB4_5228 Depth=4
	v_or_b32_e32 v25, 0x7b, v8
; %bb.5481:                             ;   in Loop: Header=BB4_5228 Depth=4
	s_or_b64 exec, exec, s[40:41]
                                        ; implicit-def: $vgpr0
.LBB4_5482:                             ;   in Loop: Header=BB4_5228 Depth=4
	s_andn2_saveexec_b64 s[40:41], s[42:43]
	s_cbranch_execz .LBB4_5488
; %bb.5483:                             ;   in Loop: Header=BB4_5228 Depth=4
	v_cmp_ne_u64_e32 vcc, 0, v[16:17]
                                        ; implicit-def: $vgpr25
	s_and_saveexec_b64 s[42:43], vcc
	s_xor_b64 s[42:43], exec, s[42:43]
; %bb.5484:                             ;   in Loop: Header=BB4_5228 Depth=4
	v_or_b32_sdwa v25, v0, s47 dst_sel:DWORD dst_unused:UNUSED_PAD src0_sel:BYTE_3 src1_sel:DWORD
                                        ; implicit-def: $vgpr0
; %bb.5485:                             ;   in Loop: Header=BB4_5228 Depth=4
	s_andn2_saveexec_b64 s[42:43], s[42:43]
; %bb.5486:                             ;   in Loop: Header=BB4_5228 Depth=4
	v_cmp_lt_i32_e32 vcc, -1, v0
	v_bfrev_b32_e32 v0, 0.5
	v_cndmask_b32_e32 v25, v0, v52, vcc
; %bb.5487:                             ;   in Loop: Header=BB4_5228 Depth=4
	s_or_b64 exec, exec, s[42:43]
.LBB4_5488:                             ;   in Loop: Header=BB4_5228 Depth=4
	s_or_b64 exec, exec, s[40:41]
	v_lshrrev_b16_e32 v0, 8, v10
	v_cmp_ne_u16_e32 vcc, 0, v0
	v_mov_b32_e32 v1, 0
	s_and_saveexec_b64 s[40:41], vcc
	s_cbranch_execz .LBB4_5496
; %bb.5489:                             ;   in Loop: Header=BB4_5228 Depth=4
	v_cmp_ne_u16_e32 vcc, s96, v0
	v_bfrev_b32_e32 v1, 1
	s_and_saveexec_b64 s[42:43], vcc
	s_cbranch_execz .LBB4_5495
; %bb.5490:                             ;   in Loop: Header=BB4_5228 Depth=4
	v_and_b32_e32 v1, 0x7c, v0
	v_and_b32_e32 v2, 3, v0
	v_cmp_ne_u32_e32 vcc, s85, v1
                                        ; implicit-def: $vgpr1
	s_and_saveexec_b64 s[38:39], vcc
	s_xor_b64 s[38:39], exec, s[38:39]
	s_cbranch_execz .LBB4_5492
; %bb.5491:                             ;   in Loop: Header=BB4_5228 Depth=4
	v_ffbh_u32_e32 v9, v2
	v_min_u32_e32 v9, 32, v9
	v_mov_b32_e32 v1, v17
	v_subrev_u32_e32 v16, 29, v9
	v_bfe_u32 v8, v0, 2, 5
	v_lshlrev_b64 v[0:1], v16, v[0:1]
	v_cmp_eq_u32_e32 vcc, 0, v8
	v_and_b32_e32 v0, 3, v0
	v_sub_u32_e32 v1, 30, v9
	v_cndmask_b32_e32 v0, v2, v0, vcc
	v_lshlrev_b32_e32 v2, 16, v10
	v_cndmask_b32_e32 v1, v8, v1, vcc
	v_and_b32_e32 v2, 0x80000000, v2
	v_lshl_add_u32 v1, v1, 23, v2
	v_lshl_or_b32 v0, v0, 21, v1
	v_add_u32_e32 v1, 0x38000000, v0
                                        ; implicit-def: $vgpr2
.LBB4_5492:                             ;   in Loop: Header=BB4_5228 Depth=4
	s_andn2_saveexec_b64 s[38:39], s[38:39]
; %bb.5493:                             ;   in Loop: Header=BB4_5228 Depth=4
	v_cmp_lt_i16_e32 vcc, -1, v10
	v_mov_b32_e32 v0, 0xff800000
	v_mov_b32_e32 v1, 0x7f800000
	v_cndmask_b32_e32 v0, v0, v1, vcc
	v_cmp_eq_u32_e32 vcc, 0, v2
	v_mov_b32_e32 v1, 0x7f800001
	v_cndmask_b32_e32 v1, v1, v0, vcc
; %bb.5494:                             ;   in Loop: Header=BB4_5228 Depth=4
	s_or_b64 exec, exec, s[38:39]
.LBB4_5495:                             ;   in Loop: Header=BB4_5228 Depth=4
	s_or_b64 exec, exec, s[42:43]
.LBB4_5496:                             ;   in Loop: Header=BB4_5228 Depth=4
	s_or_b64 exec, exec, s[40:41]
	v_mul_f32_e32 v0, v24, v1
	v_and_b32_e32 v1, 0x7f800000, v0
	v_mov_b32_e32 v2, v17
	v_cmp_ne_u64_e32 vcc, s[76:77], v[1:2]
	v_and_b32_e32 v16, 0x7fffff, v0
                                        ; implicit-def: $vgpr31
	s_and_saveexec_b64 s[40:41], vcc
	s_xor_b64 s[42:43], exec, s[40:41]
	s_cbranch_execz .LBB4_5510
; %bb.5497:                             ;   in Loop: Header=BB4_5228 Depth=4
	v_and_b32_e32 v1, 0x7fffffff, v0
	v_mov_b32_e32 v2, v17
	v_cmp_gt_u64_e32 vcc, s[78:79], v[1:2]
	v_and_b32_sdwa v8, v0, s96 dst_sel:DWORD dst_unused:UNUSED_PAD src0_sel:BYTE_3 src1_sel:DWORD
                                        ; implicit-def: $vgpr31
	s_and_saveexec_b64 s[40:41], vcc
	s_xor_b64 s[38:39], exec, s[40:41]
	s_cbranch_execz .LBB4_5507
; %bb.5498:                             ;   in Loop: Header=BB4_5228 Depth=4
	v_mov_b32_e32 v31, 0
	v_cmp_ne_u32_e32 vcc, 0, v0
	s_and_saveexec_b64 s[48:49], vcc
	s_cbranch_execz .LBB4_5506
; %bb.5499:                             ;   in Loop: Header=BB4_5228 Depth=4
	v_bfe_u32 v9, v0, 23, 8
	v_cmp_gt_u32_e64 s[40:41], s46, v9
	v_sub_u32_e32 v0, 0x71, v9
	v_cmp_eq_u32_e32 vcc, 0, v9
	v_cndmask_b32_e64 v0, 0, v0, s[40:41]
	v_mov_b32_e32 v2, 0x70
	v_cndmask_b32_e32 v23, v0, v2, vcc
	v_add_u32_e32 v2, 21, v23
	v_or_b32_e32 v1, 0x800000, v16
	v_lshlrev_b64 v[28:29], v2, -1
	v_cndmask_b32_e32 v0, v1, v16, vcc
	v_mov_b32_e32 v1, v17
	v_add_u32_e32 v2, 20, v23
	v_bfi_b32 v28, v28, 0, v0
	v_lshlrev_b64 v[30:31], v2, 1
	v_lshrrev_b64 v[0:1], v23, v[0:1]
	v_bfi_b32 v29, v29, 0, 0
	v_cmp_eq_u64_e64 s[40:41], v[28:29], v[30:31]
	v_mov_b32_e32 v2, v1
	v_mov_b32_e32 v1, v0
	s_and_saveexec_b64 s[50:51], s[40:41]
; %bb.5500:                             ;   in Loop: Header=BB4_5228 Depth=4
	v_bfe_u32 v1, v0, 21, 1
	v_add_co_u32_e64 v1, s[40:41], v0, v1
	v_add_co_u32_e64 v1, s[40:41], -1, v1
; %bb.5501:                             ;   in Loop: Header=BB4_5228 Depth=4
	s_or_b64 exec, exec, s[50:51]
	v_add_u32_e32 v2, 0xffffff81, v9
	v_mov_b32_e32 v9, 0xffffff82
	v_cndmask_b32_e32 v2, v2, v9, vcc
	v_lshrrev_b32_e32 v9, 23, v0
	v_add3_u32 v23, v23, v2, v9
	v_add_u32_e32 v9, 14, v23
	v_and_b32_e32 v1, 0x1fffff, v1
	v_add_u32_e32 v16, v1, v0
	v_cmp_ne_u32_e32 vcc, 0, v9
                                        ; implicit-def: $vgpr0_vgpr1
                                        ; implicit-def: $vgpr2
	s_and_saveexec_b64 s[40:41], vcc
	s_xor_b64 s[40:41], exec, s[40:41]
; %bb.5502:                             ;   in Loop: Header=BB4_5228 Depth=4
	v_cmp_lt_u64_e32 vcc, s[88:89], v[16:17]
	v_add_u32_e32 v0, 15, v23
	v_cndmask_b32_e32 v2, v9, v0, vcc
	v_cndmask_b32_e64 v0, 0, 1, vcc
	v_lshrrev_b64 v[0:1], v0, v[16:17]
; %bb.5503:                             ;   in Loop: Header=BB4_5228 Depth=4
	s_andn2_saveexec_b64 s[40:41], s[40:41]
; %bb.5504:                             ;   in Loop: Header=BB4_5228 Depth=4
	v_mov_b32_e32 v0, v16
	v_mov_b32_e32 v1, v17
	v_bfe_u32 v2, v16, 23, 1
; %bb.5505:                             ;   in Loop: Header=BB4_5228 Depth=4
	s_or_b64 exec, exec, s[40:41]
	v_lshrrev_b64 v[0:1], 21, v[0:1]
	v_cmp_gt_i32_e32 vcc, 32, v2
	v_cndmask_b32_e32 v1, 0, v1, vcc
	v_cndmask_b32_e32 v0, 3, v0, vcc
	v_cmp_eq_u64_e64 s[40:41], 0, v[0:1]
	v_min_i32_e32 v1, 31, v2
	v_lshlrev_b32_e32 v1, 2, v1
	v_cmp_eq_u32_e32 vcc, 0, v2
	v_and_b32_e32 v1, 0xfc, v1
	v_and_or_b32 v0, v0, 3, v1
	s_and_b64 s[40:41], vcc, s[40:41]
	v_cndmask_b32_e64 v0, v0, 0, s[40:41]
	v_or_b32_e32 v31, v0, v8
.LBB4_5506:                             ;   in Loop: Header=BB4_5228 Depth=4
	s_or_b64 exec, exec, s[48:49]
                                        ; implicit-def: $vgpr8
.LBB4_5507:                             ;   in Loop: Header=BB4_5228 Depth=4
	s_andn2_saveexec_b64 s[40:41], s[38:39]
; %bb.5508:                             ;   in Loop: Header=BB4_5228 Depth=4
	v_or_b32_e32 v31, 0x7b, v8
; %bb.5509:                             ;   in Loop: Header=BB4_5228 Depth=4
	s_or_b64 exec, exec, s[40:41]
                                        ; implicit-def: $vgpr0
.LBB4_5510:                             ;   in Loop: Header=BB4_5228 Depth=4
	s_andn2_saveexec_b64 s[40:41], s[42:43]
	s_cbranch_execz .LBB4_5516
; %bb.5511:                             ;   in Loop: Header=BB4_5228 Depth=4
	v_cmp_ne_u64_e32 vcc, 0, v[16:17]
                                        ; implicit-def: $vgpr31
	s_and_saveexec_b64 s[42:43], vcc
	s_xor_b64 s[42:43], exec, s[42:43]
; %bb.5512:                             ;   in Loop: Header=BB4_5228 Depth=4
	v_or_b32_sdwa v31, v0, s47 dst_sel:DWORD dst_unused:UNUSED_PAD src0_sel:BYTE_3 src1_sel:DWORD
                                        ; implicit-def: $vgpr0
; %bb.5513:                             ;   in Loop: Header=BB4_5228 Depth=4
	s_andn2_saveexec_b64 s[42:43], s[42:43]
; %bb.5514:                             ;   in Loop: Header=BB4_5228 Depth=4
	v_cmp_lt_i32_e32 vcc, -1, v0
	v_bfrev_b32_e32 v0, 0.5
	v_cndmask_b32_e32 v31, v0, v52, vcc
; %bb.5515:                             ;   in Loop: Header=BB4_5228 Depth=4
	s_or_b64 exec, exec, s[42:43]
.LBB4_5516:                             ;   in Loop: Header=BB4_5228 Depth=4
	s_or_b64 exec, exec, s[40:41]
	v_lshrrev_b32_e32 v0, 16, v10
	v_cmp_ne_u16_sdwa s[42:43], v0, v17 src0_sel:BYTE_0 src1_sel:DWORD
	v_mov_b32_e32 v1, 0
	s_and_saveexec_b64 s[40:41], s[42:43]
	s_cbranch_execz .LBB4_5524
; %bb.5517:                             ;   in Loop: Header=BB4_5228 Depth=4
	v_cmp_ne_u16_sdwa vcc, v0, s96 src0_sel:BYTE_0 src1_sel:DWORD
	v_bfrev_b32_e32 v1, 1
	s_and_saveexec_b64 s[42:43], vcc
	s_cbranch_execz .LBB4_5523
; %bb.5518:                             ;   in Loop: Header=BB4_5228 Depth=4
	v_and_b32_e32 v1, 0x7c0000, v10
	v_bfe_u32 v2, v10, 16, 2
	v_cmp_ne_u32_e32 vcc, s44, v1
                                        ; implicit-def: $vgpr1
	s_and_saveexec_b64 s[38:39], vcc
	s_xor_b64 s[38:39], exec, s[38:39]
	s_cbranch_execz .LBB4_5520
; %bb.5519:                             ;   in Loop: Header=BB4_5228 Depth=4
	v_ffbh_u32_e32 v1, v2
	v_min_u32_e32 v9, 32, v1
	v_subrev_u32_e32 v1, 29, v9
	v_lshlrev_b64 v[0:1], v1, v[0:1]
	v_bfe_u32 v8, v10, 18, 5
	v_and_b32_e32 v0, 3, v0
	v_cmp_eq_u32_e32 vcc, 0, v8
	v_sub_u32_e32 v1, 30, v9
	v_cndmask_b32_e32 v0, v2, v0, vcc
	v_lshlrev_b32_e32 v2, 8, v10
	v_cndmask_b32_e32 v1, v8, v1, vcc
	v_and_b32_e32 v2, 0x80000000, v2
	v_lshl_add_u32 v1, v1, 23, v2
	v_lshl_or_b32 v0, v0, 21, v1
	v_add_u32_e32 v1, 0x38000000, v0
                                        ; implicit-def: $vgpr2
                                        ; implicit-def: $vgpr0
.LBB4_5520:                             ;   in Loop: Header=BB4_5228 Depth=4
	s_andn2_saveexec_b64 s[38:39], s[38:39]
; %bb.5521:                             ;   in Loop: Header=BB4_5228 Depth=4
	v_mov_b32_e32 v1, -1
	v_cmp_gt_i16_sdwa vcc, sext(v0), v1 src0_sel:BYTE_0 src1_sel:DWORD
	v_mov_b32_e32 v0, 0xff800000
	v_mov_b32_e32 v1, 0x7f800000
	v_cndmask_b32_e32 v0, v0, v1, vcc
	v_cmp_eq_u32_e32 vcc, 0, v2
	v_mov_b32_e32 v1, 0x7f800001
	v_cndmask_b32_e32 v1, v1, v0, vcc
; %bb.5522:                             ;   in Loop: Header=BB4_5228 Depth=4
	s_or_b64 exec, exec, s[38:39]
.LBB4_5523:                             ;   in Loop: Header=BB4_5228 Depth=4
	s_or_b64 exec, exec, s[42:43]
.LBB4_5524:                             ;   in Loop: Header=BB4_5228 Depth=4
	s_or_b64 exec, exec, s[40:41]
	v_mul_f32_e32 v0, v24, v1
	v_and_b32_e32 v1, 0x7f800000, v0
	v_mov_b32_e32 v2, v17
	v_cmp_ne_u64_e32 vcc, s[76:77], v[1:2]
	v_and_b32_e32 v16, 0x7fffff, v0
                                        ; implicit-def: $vgpr34
	s_and_saveexec_b64 s[40:41], vcc
	s_xor_b64 s[42:43], exec, s[40:41]
	s_cbranch_execz .LBB4_5538
; %bb.5525:                             ;   in Loop: Header=BB4_5228 Depth=4
	v_and_b32_e32 v1, 0x7fffffff, v0
	v_mov_b32_e32 v2, v17
	v_cmp_gt_u64_e32 vcc, s[78:79], v[1:2]
	v_and_b32_sdwa v8, v0, s96 dst_sel:DWORD dst_unused:UNUSED_PAD src0_sel:BYTE_3 src1_sel:DWORD
                                        ; implicit-def: $vgpr34
	s_and_saveexec_b64 s[40:41], vcc
	s_xor_b64 s[38:39], exec, s[40:41]
	s_cbranch_execz .LBB4_5535
; %bb.5526:                             ;   in Loop: Header=BB4_5228 Depth=4
	v_mov_b32_e32 v34, 0
	v_cmp_ne_u32_e32 vcc, 0, v0
	s_and_saveexec_b64 s[48:49], vcc
	s_cbranch_execz .LBB4_5534
; %bb.5527:                             ;   in Loop: Header=BB4_5228 Depth=4
	v_bfe_u32 v9, v0, 23, 8
	v_cmp_gt_u32_e64 s[40:41], s46, v9
	v_sub_u32_e32 v0, 0x71, v9
	v_cmp_eq_u32_e32 vcc, 0, v9
	v_cndmask_b32_e64 v0, 0, v0, s[40:41]
	v_mov_b32_e32 v2, 0x70
	v_cndmask_b32_e32 v23, v0, v2, vcc
	v_add_u32_e32 v2, 21, v23
	v_or_b32_e32 v1, 0x800000, v16
	v_lshlrev_b64 v[28:29], v2, -1
	v_cndmask_b32_e32 v0, v1, v16, vcc
	v_mov_b32_e32 v1, v17
	v_add_u32_e32 v2, 20, v23
	v_bfi_b32 v28, v28, 0, v0
	v_lshlrev_b64 v[48:49], v2, 1
	v_lshrrev_b64 v[0:1], v23, v[0:1]
	v_bfi_b32 v29, v29, 0, 0
	v_cmp_eq_u64_e64 s[40:41], v[28:29], v[48:49]
	v_mov_b32_e32 v2, v1
	v_mov_b32_e32 v1, v0
	s_and_saveexec_b64 s[50:51], s[40:41]
; %bb.5528:                             ;   in Loop: Header=BB4_5228 Depth=4
	v_bfe_u32 v1, v0, 21, 1
	v_add_co_u32_e64 v1, s[40:41], v0, v1
	v_add_co_u32_e64 v1, s[40:41], -1, v1
; %bb.5529:                             ;   in Loop: Header=BB4_5228 Depth=4
	s_or_b64 exec, exec, s[50:51]
	v_add_u32_e32 v2, 0xffffff81, v9
	v_mov_b32_e32 v9, 0xffffff82
	v_cndmask_b32_e32 v2, v2, v9, vcc
	v_lshrrev_b32_e32 v9, 23, v0
	v_add3_u32 v23, v23, v2, v9
	v_add_u32_e32 v9, 14, v23
	v_and_b32_e32 v1, 0x1fffff, v1
	v_add_u32_e32 v16, v1, v0
	v_cmp_ne_u32_e32 vcc, 0, v9
                                        ; implicit-def: $vgpr0_vgpr1
                                        ; implicit-def: $vgpr2
	s_and_saveexec_b64 s[40:41], vcc
	s_xor_b64 s[40:41], exec, s[40:41]
; %bb.5530:                             ;   in Loop: Header=BB4_5228 Depth=4
	v_cmp_lt_u64_e32 vcc, s[88:89], v[16:17]
	v_add_u32_e32 v0, 15, v23
	v_cndmask_b32_e32 v2, v9, v0, vcc
	v_cndmask_b32_e64 v0, 0, 1, vcc
	v_lshrrev_b64 v[0:1], v0, v[16:17]
; %bb.5531:                             ;   in Loop: Header=BB4_5228 Depth=4
	s_andn2_saveexec_b64 s[40:41], s[40:41]
; %bb.5532:                             ;   in Loop: Header=BB4_5228 Depth=4
	v_mov_b32_e32 v0, v16
	v_mov_b32_e32 v1, v17
	v_bfe_u32 v2, v16, 23, 1
; %bb.5533:                             ;   in Loop: Header=BB4_5228 Depth=4
	s_or_b64 exec, exec, s[40:41]
	v_lshrrev_b64 v[0:1], 21, v[0:1]
	v_cmp_gt_i32_e32 vcc, 32, v2
	v_cndmask_b32_e32 v1, 0, v1, vcc
	v_cndmask_b32_e32 v0, 3, v0, vcc
	v_cmp_eq_u64_e64 s[40:41], 0, v[0:1]
	v_min_i32_e32 v1, 31, v2
	v_lshlrev_b32_e32 v1, 2, v1
	v_cmp_eq_u32_e32 vcc, 0, v2
	v_and_b32_e32 v1, 0xfc, v1
	v_and_or_b32 v0, v0, 3, v1
	s_and_b64 s[40:41], vcc, s[40:41]
	v_cndmask_b32_e64 v0, v0, 0, s[40:41]
	v_or_b32_e32 v34, v0, v8
.LBB4_5534:                             ;   in Loop: Header=BB4_5228 Depth=4
	s_or_b64 exec, exec, s[48:49]
                                        ; implicit-def: $vgpr8
.LBB4_5535:                             ;   in Loop: Header=BB4_5228 Depth=4
	s_andn2_saveexec_b64 s[40:41], s[38:39]
; %bb.5536:                             ;   in Loop: Header=BB4_5228 Depth=4
	v_or_b32_e32 v34, 0x7b, v8
; %bb.5537:                             ;   in Loop: Header=BB4_5228 Depth=4
	s_or_b64 exec, exec, s[40:41]
                                        ; implicit-def: $vgpr0
.LBB4_5538:                             ;   in Loop: Header=BB4_5228 Depth=4
	s_andn2_saveexec_b64 s[40:41], s[42:43]
	s_cbranch_execz .LBB4_5544
; %bb.5539:                             ;   in Loop: Header=BB4_5228 Depth=4
	v_cmp_ne_u64_e32 vcc, 0, v[16:17]
                                        ; implicit-def: $vgpr34
	s_and_saveexec_b64 s[42:43], vcc
	s_xor_b64 s[42:43], exec, s[42:43]
; %bb.5540:                             ;   in Loop: Header=BB4_5228 Depth=4
	v_or_b32_sdwa v34, v0, s47 dst_sel:DWORD dst_unused:UNUSED_PAD src0_sel:BYTE_3 src1_sel:DWORD
                                        ; implicit-def: $vgpr0
; %bb.5541:                             ;   in Loop: Header=BB4_5228 Depth=4
	s_andn2_saveexec_b64 s[42:43], s[42:43]
; %bb.5542:                             ;   in Loop: Header=BB4_5228 Depth=4
	v_cmp_lt_i32_e32 vcc, -1, v0
	v_bfrev_b32_e32 v0, 0.5
	v_cndmask_b32_e32 v34, v0, v52, vcc
; %bb.5543:                             ;   in Loop: Header=BB4_5228 Depth=4
	s_or_b64 exec, exec, s[42:43]
.LBB4_5544:                             ;   in Loop: Header=BB4_5228 Depth=4
	s_or_b64 exec, exec, s[40:41]
	v_cmp_lt_u32_e32 vcc, s57, v10
	v_mov_b32_e32 v1, 0
	s_and_saveexec_b64 s[40:41], vcc
	s_cbranch_execz .LBB4_5552
; %bb.5545:                             ;   in Loop: Header=BB4_5228 Depth=4
	v_lshrrev_b32_e32 v0, 24, v10
	v_cmp_ne_u32_e32 vcc, s96, v0
	v_bfrev_b32_e32 v1, 1
	s_and_saveexec_b64 s[42:43], vcc
	s_cbranch_execz .LBB4_5551
; %bb.5546:                             ;   in Loop: Header=BB4_5228 Depth=4
	v_and_b32_e32 v1, 0x7c000000, v10
	v_bfe_u32 v2, v10, 24, 2
	v_cmp_ne_u32_e32 vcc, s45, v1
                                        ; implicit-def: $vgpr1
	s_and_saveexec_b64 s[38:39], vcc
	s_xor_b64 s[38:39], exec, s[38:39]
	s_cbranch_execz .LBB4_5548
; %bb.5547:                             ;   in Loop: Header=BB4_5228 Depth=4
	v_ffbh_u32_e32 v1, v2
	v_min_u32_e32 v9, 32, v1
	v_subrev_u32_e32 v1, 29, v9
	v_lshlrev_b64 v[0:1], v1, v[0:1]
	v_bfe_u32 v8, v10, 26, 5
	v_sub_u32_e32 v1, 30, v9
	v_and_b32_e32 v0, 3, v0
	v_cmp_eq_u32_e32 vcc, 0, v8
	v_cndmask_b32_e32 v1, v8, v1, vcc
	v_cndmask_b32_e32 v0, v2, v0, vcc
	v_and_b32_e32 v2, 0x80000000, v10
	v_lshl_add_u32 v1, v1, 23, v2
	v_lshl_or_b32 v0, v0, 21, v1
	v_add_u32_e32 v1, 0x38000000, v0
                                        ; implicit-def: $vgpr2
.LBB4_5548:                             ;   in Loop: Header=BB4_5228 Depth=4
	s_andn2_saveexec_b64 s[38:39], s[38:39]
; %bb.5549:                             ;   in Loop: Header=BB4_5228 Depth=4
	v_cmp_lt_i32_e32 vcc, -1, v10
	v_mov_b32_e32 v0, 0xff800000
	v_mov_b32_e32 v1, 0x7f800000
	v_cndmask_b32_e32 v0, v0, v1, vcc
	v_cmp_eq_u32_e32 vcc, 0, v2
	v_mov_b32_e32 v1, 0x7f800001
	v_cndmask_b32_e32 v1, v1, v0, vcc
; %bb.5550:                             ;   in Loop: Header=BB4_5228 Depth=4
	s_or_b64 exec, exec, s[38:39]
.LBB4_5551:                             ;   in Loop: Header=BB4_5228 Depth=4
	s_or_b64 exec, exec, s[42:43]
.LBB4_5552:                             ;   in Loop: Header=BB4_5228 Depth=4
	s_or_b64 exec, exec, s[40:41]
	v_mul_f32_e32 v0, v24, v1
	v_and_b32_e32 v1, 0x7f800000, v0
	v_mov_b32_e32 v2, v17
	v_cmp_ne_u64_e32 vcc, s[76:77], v[1:2]
	v_and_b32_e32 v16, 0x7fffff, v0
                                        ; implicit-def: $vgpr36
	s_and_saveexec_b64 s[40:41], vcc
	s_xor_b64 s[42:43], exec, s[40:41]
	s_cbranch_execz .LBB4_5566
; %bb.5553:                             ;   in Loop: Header=BB4_5228 Depth=4
	v_and_b32_e32 v1, 0x7fffffff, v0
	v_mov_b32_e32 v2, v17
	v_cmp_gt_u64_e32 vcc, s[78:79], v[1:2]
	v_and_b32_sdwa v8, v0, s96 dst_sel:DWORD dst_unused:UNUSED_PAD src0_sel:BYTE_3 src1_sel:DWORD
                                        ; implicit-def: $vgpr36
	s_and_saveexec_b64 s[40:41], vcc
	s_xor_b64 s[38:39], exec, s[40:41]
	s_cbranch_execz .LBB4_5563
; %bb.5554:                             ;   in Loop: Header=BB4_5228 Depth=4
	v_mov_b32_e32 v36, 0
	v_cmp_ne_u32_e32 vcc, 0, v0
	s_and_saveexec_b64 s[48:49], vcc
	s_cbranch_execz .LBB4_5562
; %bb.5555:                             ;   in Loop: Header=BB4_5228 Depth=4
	v_bfe_u32 v9, v0, 23, 8
	v_cmp_gt_u32_e64 s[40:41], s46, v9
	v_sub_u32_e32 v0, 0x71, v9
	v_cmp_eq_u32_e32 vcc, 0, v9
	v_cndmask_b32_e64 v0, 0, v0, s[40:41]
	v_mov_b32_e32 v2, 0x70
	v_cndmask_b32_e32 v23, v0, v2, vcc
	v_add_u32_e32 v2, 21, v23
	v_or_b32_e32 v1, 0x800000, v16
	v_lshlrev_b64 v[28:29], v2, -1
	v_cndmask_b32_e32 v0, v1, v16, vcc
	v_mov_b32_e32 v1, v17
	v_add_u32_e32 v2, 20, v23
	v_bfi_b32 v28, v28, 0, v0
	v_lshlrev_b64 v[48:49], v2, 1
	v_lshrrev_b64 v[0:1], v23, v[0:1]
	v_bfi_b32 v29, v29, 0, 0
	v_cmp_eq_u64_e64 s[40:41], v[28:29], v[48:49]
	v_mov_b32_e32 v2, v1
	v_mov_b32_e32 v1, v0
	s_and_saveexec_b64 s[50:51], s[40:41]
; %bb.5556:                             ;   in Loop: Header=BB4_5228 Depth=4
	v_bfe_u32 v1, v0, 21, 1
	v_add_co_u32_e64 v1, s[40:41], v0, v1
	v_add_co_u32_e64 v1, s[40:41], -1, v1
; %bb.5557:                             ;   in Loop: Header=BB4_5228 Depth=4
	s_or_b64 exec, exec, s[50:51]
	v_add_u32_e32 v2, 0xffffff81, v9
	v_mov_b32_e32 v9, 0xffffff82
	v_cndmask_b32_e32 v2, v2, v9, vcc
	v_lshrrev_b32_e32 v9, 23, v0
	v_add3_u32 v23, v23, v2, v9
	v_add_u32_e32 v9, 14, v23
	v_and_b32_e32 v1, 0x1fffff, v1
	v_add_u32_e32 v16, v1, v0
	v_cmp_ne_u32_e32 vcc, 0, v9
                                        ; implicit-def: $vgpr0_vgpr1
                                        ; implicit-def: $vgpr2
	s_and_saveexec_b64 s[40:41], vcc
	s_xor_b64 s[40:41], exec, s[40:41]
; %bb.5558:                             ;   in Loop: Header=BB4_5228 Depth=4
	v_cmp_lt_u64_e32 vcc, s[88:89], v[16:17]
	v_add_u32_e32 v0, 15, v23
	v_cndmask_b32_e32 v2, v9, v0, vcc
	v_cndmask_b32_e64 v0, 0, 1, vcc
	v_lshrrev_b64 v[0:1], v0, v[16:17]
; %bb.5559:                             ;   in Loop: Header=BB4_5228 Depth=4
	s_andn2_saveexec_b64 s[40:41], s[40:41]
; %bb.5560:                             ;   in Loop: Header=BB4_5228 Depth=4
	v_mov_b32_e32 v0, v16
	v_mov_b32_e32 v1, v17
	v_bfe_u32 v2, v16, 23, 1
; %bb.5561:                             ;   in Loop: Header=BB4_5228 Depth=4
	s_or_b64 exec, exec, s[40:41]
	v_lshrrev_b64 v[0:1], 21, v[0:1]
	v_cmp_gt_i32_e32 vcc, 32, v2
	v_cndmask_b32_e32 v1, 0, v1, vcc
	v_cndmask_b32_e32 v0, 3, v0, vcc
	v_cmp_eq_u64_e64 s[40:41], 0, v[0:1]
	v_min_i32_e32 v1, 31, v2
	v_lshlrev_b32_e32 v1, 2, v1
	v_cmp_eq_u32_e32 vcc, 0, v2
	v_and_b32_e32 v1, 0xfc, v1
	v_and_or_b32 v0, v0, 3, v1
	s_and_b64 s[40:41], vcc, s[40:41]
	v_cndmask_b32_e64 v0, v0, 0, s[40:41]
	v_or_b32_e32 v36, v0, v8
.LBB4_5562:                             ;   in Loop: Header=BB4_5228 Depth=4
	s_or_b64 exec, exec, s[48:49]
                                        ; implicit-def: $vgpr8
.LBB4_5563:                             ;   in Loop: Header=BB4_5228 Depth=4
	s_andn2_saveexec_b64 s[40:41], s[38:39]
; %bb.5564:                             ;   in Loop: Header=BB4_5228 Depth=4
	v_or_b32_e32 v36, 0x7b, v8
; %bb.5565:                             ;   in Loop: Header=BB4_5228 Depth=4
	s_or_b64 exec, exec, s[40:41]
                                        ; implicit-def: $vgpr0
.LBB4_5566:                             ;   in Loop: Header=BB4_5228 Depth=4
	s_andn2_saveexec_b64 s[40:41], s[42:43]
	s_cbranch_execz .LBB4_5572
; %bb.5567:                             ;   in Loop: Header=BB4_5228 Depth=4
	v_cmp_ne_u64_e32 vcc, 0, v[16:17]
                                        ; implicit-def: $vgpr36
	s_and_saveexec_b64 s[42:43], vcc
	s_xor_b64 s[42:43], exec, s[42:43]
; %bb.5568:                             ;   in Loop: Header=BB4_5228 Depth=4
	v_or_b32_sdwa v36, v0, s47 dst_sel:DWORD dst_unused:UNUSED_PAD src0_sel:BYTE_3 src1_sel:DWORD
                                        ; implicit-def: $vgpr0
; %bb.5569:                             ;   in Loop: Header=BB4_5228 Depth=4
	s_andn2_saveexec_b64 s[42:43], s[42:43]
; %bb.5570:                             ;   in Loop: Header=BB4_5228 Depth=4
	v_cmp_lt_i32_e32 vcc, -1, v0
	v_bfrev_b32_e32 v0, 0.5
	v_cndmask_b32_e32 v36, v0, v52, vcc
; %bb.5571:                             ;   in Loop: Header=BB4_5228 Depth=4
	s_or_b64 exec, exec, s[42:43]
.LBB4_5572:                             ;   in Loop: Header=BB4_5228 Depth=4
	s_or_b64 exec, exec, s[40:41]
	v_mov_b32_e32 v16, v11
	v_cmp_ne_u16_sdwa s[42:43], v11, v17 src0_sel:BYTE_0 src1_sel:DWORD
	v_mov_b32_e32 v0, 0
	s_and_saveexec_b64 s[40:41], s[42:43]
	s_cbranch_execz .LBB4_5580
; %bb.5573:                             ;   in Loop: Header=BB4_5228 Depth=4
	v_cmp_ne_u16_sdwa vcc, v11, s96 src0_sel:BYTE_0 src1_sel:DWORD
	v_bfrev_b32_e32 v0, 1
	s_and_saveexec_b64 s[42:43], vcc
	s_cbranch_execz .LBB4_5579
; %bb.5574:                             ;   in Loop: Header=BB4_5228 Depth=4
	v_and_b32_e32 v0, 0x7c, v11
	v_and_b32_e32 v1, 3, v11
	v_cmp_ne_u32_e32 vcc, s85, v0
                                        ; implicit-def: $vgpr0
	s_and_saveexec_b64 s[38:39], vcc
	s_xor_b64 s[38:39], exec, s[38:39]
	s_cbranch_execz .LBB4_5576
; %bb.5575:                             ;   in Loop: Header=BB4_5228 Depth=4
	v_ffbh_u32_e32 v2, v1
	v_min_u32_e32 v2, 32, v2
	v_bfe_u32 v0, v11, 2, 5
	v_subrev_u32_e32 v8, 29, v2
	v_lshlrev_b64 v[8:9], v8, v[16:17]
	v_sub_u32_e32 v2, 30, v2
	v_cmp_eq_u32_e32 vcc, 0, v0
	v_cndmask_b32_e32 v0, v0, v2, vcc
	v_lshlrev_b32_e32 v2, 24, v11
	v_and_b32_e32 v8, 3, v8
	v_and_b32_e32 v2, 0x80000000, v2
	v_cndmask_b32_e32 v1, v1, v8, vcc
	v_lshl_add_u32 v0, v0, 23, v2
	v_lshl_or_b32 v0, v1, 21, v0
	v_add_u32_e32 v0, 0x38000000, v0
                                        ; implicit-def: $vgpr1
.LBB4_5576:                             ;   in Loop: Header=BB4_5228 Depth=4
	s_andn2_saveexec_b64 s[38:39], s[38:39]
; %bb.5577:                             ;   in Loop: Header=BB4_5228 Depth=4
	v_mov_b32_e32 v0, -1
	v_cmp_gt_i16_sdwa vcc, sext(v11), v0 src0_sel:BYTE_0 src1_sel:DWORD
	v_mov_b32_e32 v0, 0xff800000
	v_mov_b32_e32 v2, 0x7f800000
	v_cndmask_b32_e32 v0, v0, v2, vcc
	v_cmp_eq_u32_e32 vcc, 0, v1
	v_mov_b32_e32 v1, 0x7f800001
	v_cndmask_b32_e32 v0, v1, v0, vcc
; %bb.5578:                             ;   in Loop: Header=BB4_5228 Depth=4
	s_or_b64 exec, exec, s[38:39]
.LBB4_5579:                             ;   in Loop: Header=BB4_5228 Depth=4
	s_or_b64 exec, exec, s[42:43]
.LBB4_5580:                             ;   in Loop: Header=BB4_5228 Depth=4
	s_or_b64 exec, exec, s[40:41]
	v_mul_f32_e32 v2, v24, v0
	v_and_b32_e32 v8, 0x7f800000, v2
	v_mov_b32_e32 v9, v17
	v_cmp_ne_u64_e32 vcc, s[76:77], v[8:9]
	v_and_b32_e32 v0, 0x7fffff, v2
	v_mov_b32_e32 v1, v17
                                        ; implicit-def: $vgpr23
	s_and_saveexec_b64 s[40:41], vcc
	s_xor_b64 s[42:43], exec, s[40:41]
	s_cbranch_execz .LBB4_5594
; %bb.5581:                             ;   in Loop: Header=BB4_5228 Depth=4
	v_and_b32_e32 v8, 0x7fffffff, v2
	v_mov_b32_e32 v9, v17
	v_cmp_gt_u64_e32 vcc, s[78:79], v[8:9]
	v_and_b32_sdwa v8, v2, s96 dst_sel:DWORD dst_unused:UNUSED_PAD src0_sel:BYTE_3 src1_sel:DWORD
                                        ; implicit-def: $vgpr23
	s_and_saveexec_b64 s[40:41], vcc
	s_xor_b64 s[38:39], exec, s[40:41]
	s_cbranch_execz .LBB4_5591
; %bb.5582:                             ;   in Loop: Header=BB4_5228 Depth=4
	v_mov_b32_e32 v23, 0
	v_cmp_ne_u32_e32 vcc, 0, v2
	s_and_saveexec_b64 s[48:49], vcc
	s_cbranch_execz .LBB4_5590
; %bb.5583:                             ;   in Loop: Header=BB4_5228 Depth=4
	v_bfe_u32 v9, v2, 23, 8
	v_cmp_gt_u32_e64 s[40:41], s46, v9
	v_sub_u32_e32 v2, 0x71, v9
	v_cmp_eq_u32_e32 vcc, 0, v9
	v_cndmask_b32_e64 v2, 0, v2, s[40:41]
	v_mov_b32_e32 v23, 0x70
	v_cndmask_b32_e32 v23, v2, v23, vcc
	v_add_u32_e32 v2, 21, v23
	v_or_b32_e32 v26, 0x800000, v0
	v_lshlrev_b64 v[28:29], v2, -1
	v_cndmask_b32_e32 v0, v26, v0, vcc
	v_add_u32_e32 v2, 20, v23
	v_bfi_b32 v28, v28, 0, v0
	v_lshlrev_b64 v[48:49], v2, 1
	v_lshrrev_b64 v[0:1], v23, v[0:1]
	v_bfi_b32 v29, v29, 0, 0
	v_cmp_eq_u64_e64 s[40:41], v[28:29], v[48:49]
	v_mov_b32_e32 v2, v1
	v_mov_b32_e32 v1, v0
	s_and_saveexec_b64 s[50:51], s[40:41]
; %bb.5584:                             ;   in Loop: Header=BB4_5228 Depth=4
	v_bfe_u32 v1, v0, 21, 1
	v_add_co_u32_e64 v1, s[40:41], v0, v1
	v_add_co_u32_e64 v1, s[40:41], -1, v1
; %bb.5585:                             ;   in Loop: Header=BB4_5228 Depth=4
	s_or_b64 exec, exec, s[50:51]
	v_add_u32_e32 v2, 0xffffff81, v9
	v_mov_b32_e32 v9, 0xffffff82
	v_cndmask_b32_e32 v2, v2, v9, vcc
	v_lshrrev_b32_e32 v9, 23, v0
	v_add3_u32 v23, v23, v2, v9
	v_add_u32_e32 v9, 14, v23
	v_and_b32_e32 v1, 0x1fffff, v1
	v_add_u32_e32 v0, v1, v0
	v_mov_b32_e32 v1, v17
	v_cmp_ne_u32_e32 vcc, 0, v9
                                        ; implicit-def: $vgpr2
	s_and_saveexec_b64 s[40:41], vcc
	s_xor_b64 s[40:41], exec, s[40:41]
; %bb.5586:                             ;   in Loop: Header=BB4_5228 Depth=4
	v_cmp_lt_u64_e32 vcc, s[88:89], v[0:1]
	v_add_u32_e32 v2, 15, v23
	v_cndmask_b32_e32 v2, v9, v2, vcc
	v_cndmask_b32_e64 v9, 0, 1, vcc
	v_lshrrev_b64 v[0:1], v9, v[0:1]
; %bb.5587:                             ;   in Loop: Header=BB4_5228 Depth=4
	s_andn2_saveexec_b64 s[40:41], s[40:41]
; %bb.5588:                             ;   in Loop: Header=BB4_5228 Depth=4
	v_bfe_u32 v2, v0, 23, 1
; %bb.5589:                             ;   in Loop: Header=BB4_5228 Depth=4
	s_or_b64 exec, exec, s[40:41]
	v_lshrrev_b64 v[0:1], 21, v[0:1]
	v_cmp_gt_i32_e32 vcc, 32, v2
	v_cndmask_b32_e32 v1, 0, v1, vcc
	v_cndmask_b32_e32 v0, 3, v0, vcc
	v_cmp_eq_u64_e64 s[40:41], 0, v[0:1]
	v_min_i32_e32 v1, 31, v2
	v_lshlrev_b32_e32 v1, 2, v1
	v_cmp_eq_u32_e32 vcc, 0, v2
	v_and_b32_e32 v1, 0xfc, v1
	v_and_or_b32 v0, v0, 3, v1
	s_and_b64 s[40:41], vcc, s[40:41]
	v_cndmask_b32_e64 v0, v0, 0, s[40:41]
	v_or_b32_e32 v23, v0, v8
.LBB4_5590:                             ;   in Loop: Header=BB4_5228 Depth=4
	s_or_b64 exec, exec, s[48:49]
                                        ; implicit-def: $vgpr8
.LBB4_5591:                             ;   in Loop: Header=BB4_5228 Depth=4
	s_andn2_saveexec_b64 s[40:41], s[38:39]
; %bb.5592:                             ;   in Loop: Header=BB4_5228 Depth=4
	v_or_b32_e32 v23, 0x7b, v8
; %bb.5593:                             ;   in Loop: Header=BB4_5228 Depth=4
	s_or_b64 exec, exec, s[40:41]
                                        ; implicit-def: $vgpr2
                                        ; implicit-def: $vgpr0_vgpr1
.LBB4_5594:                             ;   in Loop: Header=BB4_5228 Depth=4
	s_andn2_saveexec_b64 s[40:41], s[42:43]
	s_cbranch_execz .LBB4_5600
; %bb.5595:                             ;   in Loop: Header=BB4_5228 Depth=4
	v_cmp_ne_u64_e32 vcc, 0, v[0:1]
                                        ; implicit-def: $vgpr23
	s_and_saveexec_b64 s[42:43], vcc
	s_xor_b64 s[42:43], exec, s[42:43]
; %bb.5596:                             ;   in Loop: Header=BB4_5228 Depth=4
	v_or_b32_sdwa v23, v2, s47 dst_sel:DWORD dst_unused:UNUSED_PAD src0_sel:BYTE_3 src1_sel:DWORD
                                        ; implicit-def: $vgpr2
; %bb.5597:                             ;   in Loop: Header=BB4_5228 Depth=4
	s_andn2_saveexec_b64 s[42:43], s[42:43]
; %bb.5598:                             ;   in Loop: Header=BB4_5228 Depth=4
	v_cmp_lt_i32_e32 vcc, -1, v2
	v_bfrev_b32_e32 v0, 0.5
	v_cndmask_b32_e32 v23, v0, v52, vcc
; %bb.5599:                             ;   in Loop: Header=BB4_5228 Depth=4
	s_or_b64 exec, exec, s[42:43]
.LBB4_5600:                             ;   in Loop: Header=BB4_5228 Depth=4
	s_or_b64 exec, exec, s[40:41]
	v_lshrrev_b16_e32 v0, 8, v16
	v_cmp_ne_u16_e32 vcc, 0, v0
	v_mov_b32_e32 v1, 0
	s_and_saveexec_b64 s[40:41], vcc
	s_cbranch_execz .LBB4_5608
; %bb.5601:                             ;   in Loop: Header=BB4_5228 Depth=4
	v_cmp_ne_u16_e32 vcc, s96, v0
	v_bfrev_b32_e32 v1, 1
	s_and_saveexec_b64 s[42:43], vcc
	s_cbranch_execz .LBB4_5607
; %bb.5602:                             ;   in Loop: Header=BB4_5228 Depth=4
	v_and_b32_e32 v1, 0x7c, v0
	v_and_b32_e32 v2, 3, v0
	v_cmp_ne_u32_e32 vcc, s85, v1
                                        ; implicit-def: $vgpr1
	s_and_saveexec_b64 s[38:39], vcc
	s_xor_b64 s[38:39], exec, s[38:39]
	s_cbranch_execz .LBB4_5604
; %bb.5603:                             ;   in Loop: Header=BB4_5228 Depth=4
	v_ffbh_u32_e32 v9, v2
	v_min_u32_e32 v9, 32, v9
	v_mov_b32_e32 v1, v17
	v_subrev_u32_e32 v26, 29, v9
	v_bfe_u32 v8, v0, 2, 5
	v_lshlrev_b64 v[0:1], v26, v[0:1]
	v_cmp_eq_u32_e32 vcc, 0, v8
	v_and_b32_e32 v0, 3, v0
	v_sub_u32_e32 v1, 30, v9
	v_cndmask_b32_e32 v0, v2, v0, vcc
	v_lshlrev_b32_e32 v2, 16, v16
	v_cndmask_b32_e32 v1, v8, v1, vcc
	v_and_b32_e32 v2, 0x80000000, v2
	v_lshl_add_u32 v1, v1, 23, v2
	v_lshl_or_b32 v0, v0, 21, v1
	v_add_u32_e32 v1, 0x38000000, v0
                                        ; implicit-def: $vgpr2
.LBB4_5604:                             ;   in Loop: Header=BB4_5228 Depth=4
	s_andn2_saveexec_b64 s[38:39], s[38:39]
; %bb.5605:                             ;   in Loop: Header=BB4_5228 Depth=4
	v_cmp_lt_i16_e32 vcc, -1, v16
	v_mov_b32_e32 v0, 0xff800000
	v_mov_b32_e32 v1, 0x7f800000
	v_cndmask_b32_e32 v0, v0, v1, vcc
	v_cmp_eq_u32_e32 vcc, 0, v2
	v_mov_b32_e32 v1, 0x7f800001
	v_cndmask_b32_e32 v1, v1, v0, vcc
; %bb.5606:                             ;   in Loop: Header=BB4_5228 Depth=4
	s_or_b64 exec, exec, s[38:39]
.LBB4_5607:                             ;   in Loop: Header=BB4_5228 Depth=4
	s_or_b64 exec, exec, s[42:43]
.LBB4_5608:                             ;   in Loop: Header=BB4_5228 Depth=4
	s_or_b64 exec, exec, s[40:41]
	v_mul_f32_e32 v0, v24, v1
	v_and_b32_e32 v1, 0x7f800000, v0
	v_mov_b32_e32 v2, v17
	v_cmp_ne_u64_e32 vcc, s[76:77], v[1:2]
	v_and_b32_e32 v16, 0x7fffff, v0
                                        ; implicit-def: $vgpr26
	s_and_saveexec_b64 s[40:41], vcc
	s_xor_b64 s[42:43], exec, s[40:41]
	s_cbranch_execz .LBB4_5622
; %bb.5609:                             ;   in Loop: Header=BB4_5228 Depth=4
	v_and_b32_e32 v1, 0x7fffffff, v0
	v_mov_b32_e32 v2, v17
	v_cmp_gt_u64_e32 vcc, s[78:79], v[1:2]
	v_and_b32_sdwa v8, v0, s96 dst_sel:DWORD dst_unused:UNUSED_PAD src0_sel:BYTE_3 src1_sel:DWORD
                                        ; implicit-def: $vgpr26
	s_and_saveexec_b64 s[40:41], vcc
	s_xor_b64 s[38:39], exec, s[40:41]
	s_cbranch_execz .LBB4_5619
; %bb.5610:                             ;   in Loop: Header=BB4_5228 Depth=4
	v_mov_b32_e32 v26, 0
	v_cmp_ne_u32_e32 vcc, 0, v0
	s_and_saveexec_b64 s[48:49], vcc
	s_cbranch_execz .LBB4_5618
; %bb.5611:                             ;   in Loop: Header=BB4_5228 Depth=4
	v_bfe_u32 v9, v0, 23, 8
	v_cmp_gt_u32_e64 s[40:41], s46, v9
	v_sub_u32_e32 v0, 0x71, v9
	v_cmp_eq_u32_e32 vcc, 0, v9
	v_cndmask_b32_e64 v0, 0, v0, s[40:41]
	v_mov_b32_e32 v2, 0x70
	v_cndmask_b32_e32 v26, v0, v2, vcc
	v_add_u32_e32 v2, 21, v26
	v_or_b32_e32 v1, 0x800000, v16
	v_lshlrev_b64 v[28:29], v2, -1
	v_cndmask_b32_e32 v0, v1, v16, vcc
	v_mov_b32_e32 v1, v17
	v_add_u32_e32 v2, 20, v26
	v_bfi_b32 v28, v28, 0, v0
	v_lshlrev_b64 v[48:49], v2, 1
	v_lshrrev_b64 v[0:1], v26, v[0:1]
	v_bfi_b32 v29, v29, 0, 0
	v_cmp_eq_u64_e64 s[40:41], v[28:29], v[48:49]
	v_mov_b32_e32 v2, v1
	v_mov_b32_e32 v1, v0
	s_and_saveexec_b64 s[50:51], s[40:41]
; %bb.5612:                             ;   in Loop: Header=BB4_5228 Depth=4
	v_bfe_u32 v1, v0, 21, 1
	v_add_co_u32_e64 v1, s[40:41], v0, v1
	v_add_co_u32_e64 v1, s[40:41], -1, v1
; %bb.5613:                             ;   in Loop: Header=BB4_5228 Depth=4
	s_or_b64 exec, exec, s[50:51]
	v_add_u32_e32 v2, 0xffffff81, v9
	v_mov_b32_e32 v9, 0xffffff82
	v_cndmask_b32_e32 v2, v2, v9, vcc
	v_lshrrev_b32_e32 v9, 23, v0
	v_add3_u32 v26, v26, v2, v9
	v_add_u32_e32 v9, 14, v26
	v_and_b32_e32 v1, 0x1fffff, v1
	v_add_u32_e32 v16, v1, v0
	v_cmp_ne_u32_e32 vcc, 0, v9
                                        ; implicit-def: $vgpr0_vgpr1
                                        ; implicit-def: $vgpr2
	s_and_saveexec_b64 s[40:41], vcc
	s_xor_b64 s[40:41], exec, s[40:41]
; %bb.5614:                             ;   in Loop: Header=BB4_5228 Depth=4
	v_cmp_lt_u64_e32 vcc, s[88:89], v[16:17]
	v_add_u32_e32 v0, 15, v26
	v_cndmask_b32_e32 v2, v9, v0, vcc
	v_cndmask_b32_e64 v0, 0, 1, vcc
	v_lshrrev_b64 v[0:1], v0, v[16:17]
; %bb.5615:                             ;   in Loop: Header=BB4_5228 Depth=4
	s_andn2_saveexec_b64 s[40:41], s[40:41]
; %bb.5616:                             ;   in Loop: Header=BB4_5228 Depth=4
	v_mov_b32_e32 v0, v16
	v_mov_b32_e32 v1, v17
	v_bfe_u32 v2, v16, 23, 1
; %bb.5617:                             ;   in Loop: Header=BB4_5228 Depth=4
	s_or_b64 exec, exec, s[40:41]
	v_lshrrev_b64 v[0:1], 21, v[0:1]
	v_cmp_gt_i32_e32 vcc, 32, v2
	v_cndmask_b32_e32 v1, 0, v1, vcc
	v_cndmask_b32_e32 v0, 3, v0, vcc
	v_cmp_eq_u64_e64 s[40:41], 0, v[0:1]
	v_min_i32_e32 v1, 31, v2
	v_lshlrev_b32_e32 v1, 2, v1
	v_cmp_eq_u32_e32 vcc, 0, v2
	v_and_b32_e32 v1, 0xfc, v1
	v_and_or_b32 v0, v0, 3, v1
	s_and_b64 s[40:41], vcc, s[40:41]
	v_cndmask_b32_e64 v0, v0, 0, s[40:41]
	v_or_b32_e32 v26, v0, v8
.LBB4_5618:                             ;   in Loop: Header=BB4_5228 Depth=4
	s_or_b64 exec, exec, s[48:49]
                                        ; implicit-def: $vgpr8
.LBB4_5619:                             ;   in Loop: Header=BB4_5228 Depth=4
	s_andn2_saveexec_b64 s[40:41], s[38:39]
; %bb.5620:                             ;   in Loop: Header=BB4_5228 Depth=4
	v_or_b32_e32 v26, 0x7b, v8
; %bb.5621:                             ;   in Loop: Header=BB4_5228 Depth=4
	s_or_b64 exec, exec, s[40:41]
                                        ; implicit-def: $vgpr0
.LBB4_5622:                             ;   in Loop: Header=BB4_5228 Depth=4
	s_andn2_saveexec_b64 s[40:41], s[42:43]
	s_cbranch_execz .LBB4_5628
; %bb.5623:                             ;   in Loop: Header=BB4_5228 Depth=4
	v_cmp_ne_u64_e32 vcc, 0, v[16:17]
                                        ; implicit-def: $vgpr26
	s_and_saveexec_b64 s[42:43], vcc
	s_xor_b64 s[42:43], exec, s[42:43]
; %bb.5624:                             ;   in Loop: Header=BB4_5228 Depth=4
	v_or_b32_sdwa v26, v0, s47 dst_sel:DWORD dst_unused:UNUSED_PAD src0_sel:BYTE_3 src1_sel:DWORD
                                        ; implicit-def: $vgpr0
; %bb.5625:                             ;   in Loop: Header=BB4_5228 Depth=4
	s_andn2_saveexec_b64 s[42:43], s[42:43]
; %bb.5626:                             ;   in Loop: Header=BB4_5228 Depth=4
	v_cmp_lt_i32_e32 vcc, -1, v0
	v_bfrev_b32_e32 v0, 0.5
	v_cndmask_b32_e32 v26, v0, v52, vcc
; %bb.5627:                             ;   in Loop: Header=BB4_5228 Depth=4
	s_or_b64 exec, exec, s[42:43]
.LBB4_5628:                             ;   in Loop: Header=BB4_5228 Depth=4
	s_or_b64 exec, exec, s[40:41]
	v_lshrrev_b32_e32 v0, 16, v11
	v_cmp_ne_u16_sdwa s[42:43], v0, v17 src0_sel:BYTE_0 src1_sel:DWORD
	v_mov_b32_e32 v1, 0
	s_and_saveexec_b64 s[40:41], s[42:43]
	s_cbranch_execz .LBB4_5636
; %bb.5629:                             ;   in Loop: Header=BB4_5228 Depth=4
	v_cmp_ne_u16_sdwa vcc, v0, s96 src0_sel:BYTE_0 src1_sel:DWORD
	v_bfrev_b32_e32 v1, 1
	s_and_saveexec_b64 s[42:43], vcc
	s_cbranch_execz .LBB4_5635
; %bb.5630:                             ;   in Loop: Header=BB4_5228 Depth=4
	v_and_b32_e32 v1, 0x7c0000, v11
	v_bfe_u32 v2, v11, 16, 2
	v_cmp_ne_u32_e32 vcc, s44, v1
                                        ; implicit-def: $vgpr1
	s_and_saveexec_b64 s[38:39], vcc
	s_xor_b64 s[38:39], exec, s[38:39]
	s_cbranch_execz .LBB4_5632
; %bb.5631:                             ;   in Loop: Header=BB4_5228 Depth=4
	v_ffbh_u32_e32 v1, v2
	v_min_u32_e32 v9, 32, v1
	v_subrev_u32_e32 v1, 29, v9
	v_lshlrev_b64 v[0:1], v1, v[0:1]
	v_bfe_u32 v8, v11, 18, 5
	v_and_b32_e32 v0, 3, v0
	v_cmp_eq_u32_e32 vcc, 0, v8
	v_sub_u32_e32 v1, 30, v9
	v_cndmask_b32_e32 v0, v2, v0, vcc
	v_lshlrev_b32_e32 v2, 8, v11
	v_cndmask_b32_e32 v1, v8, v1, vcc
	v_and_b32_e32 v2, 0x80000000, v2
	v_lshl_add_u32 v1, v1, 23, v2
	v_lshl_or_b32 v0, v0, 21, v1
	v_add_u32_e32 v1, 0x38000000, v0
                                        ; implicit-def: $vgpr2
                                        ; implicit-def: $vgpr0
.LBB4_5632:                             ;   in Loop: Header=BB4_5228 Depth=4
	s_andn2_saveexec_b64 s[38:39], s[38:39]
; %bb.5633:                             ;   in Loop: Header=BB4_5228 Depth=4
	v_mov_b32_e32 v1, -1
	v_cmp_gt_i16_sdwa vcc, sext(v0), v1 src0_sel:BYTE_0 src1_sel:DWORD
	v_mov_b32_e32 v0, 0xff800000
	v_mov_b32_e32 v1, 0x7f800000
	v_cndmask_b32_e32 v0, v0, v1, vcc
	v_cmp_eq_u32_e32 vcc, 0, v2
	v_mov_b32_e32 v1, 0x7f800001
	v_cndmask_b32_e32 v1, v1, v0, vcc
; %bb.5634:                             ;   in Loop: Header=BB4_5228 Depth=4
	s_or_b64 exec, exec, s[38:39]
.LBB4_5635:                             ;   in Loop: Header=BB4_5228 Depth=4
	s_or_b64 exec, exec, s[42:43]
.LBB4_5636:                             ;   in Loop: Header=BB4_5228 Depth=4
	s_or_b64 exec, exec, s[40:41]
	v_mul_f32_e32 v0, v24, v1
	v_and_b32_e32 v1, 0x7f800000, v0
	v_mov_b32_e32 v2, v17
	v_cmp_ne_u64_e32 vcc, s[76:77], v[1:2]
	v_and_b32_e32 v16, 0x7fffff, v0
                                        ; implicit-def: $vgpr30
	s_and_saveexec_b64 s[40:41], vcc
	s_xor_b64 s[42:43], exec, s[40:41]
	s_cbranch_execz .LBB4_5650
; %bb.5637:                             ;   in Loop: Header=BB4_5228 Depth=4
	v_and_b32_e32 v1, 0x7fffffff, v0
	v_mov_b32_e32 v2, v17
	v_cmp_gt_u64_e32 vcc, s[78:79], v[1:2]
	v_and_b32_sdwa v8, v0, s96 dst_sel:DWORD dst_unused:UNUSED_PAD src0_sel:BYTE_3 src1_sel:DWORD
                                        ; implicit-def: $vgpr30
	s_and_saveexec_b64 s[40:41], vcc
	s_xor_b64 s[38:39], exec, s[40:41]
	s_cbranch_execz .LBB4_5647
; %bb.5638:                             ;   in Loop: Header=BB4_5228 Depth=4
	v_mov_b32_e32 v30, 0
	v_cmp_ne_u32_e32 vcc, 0, v0
	s_and_saveexec_b64 s[48:49], vcc
	s_cbranch_execz .LBB4_5646
; %bb.5639:                             ;   in Loop: Header=BB4_5228 Depth=4
	v_bfe_u32 v9, v0, 23, 8
	v_cmp_gt_u32_e64 s[40:41], s46, v9
	v_sub_u32_e32 v0, 0x71, v9
	v_cmp_eq_u32_e32 vcc, 0, v9
	v_cndmask_b32_e64 v0, 0, v0, s[40:41]
	v_mov_b32_e32 v2, 0x70
	v_cndmask_b32_e32 v30, v0, v2, vcc
	v_add_u32_e32 v2, 21, v30
	v_or_b32_e32 v1, 0x800000, v16
	v_lshlrev_b64 v[28:29], v2, -1
	v_cndmask_b32_e32 v0, v1, v16, vcc
	v_mov_b32_e32 v1, v17
	v_add_u32_e32 v2, 20, v30
	v_bfi_b32 v28, v28, 0, v0
	v_lshlrev_b64 v[48:49], v2, 1
	v_lshrrev_b64 v[0:1], v30, v[0:1]
	v_bfi_b32 v29, v29, 0, 0
	v_cmp_eq_u64_e64 s[40:41], v[28:29], v[48:49]
	v_mov_b32_e32 v2, v1
	v_mov_b32_e32 v1, v0
	s_and_saveexec_b64 s[50:51], s[40:41]
; %bb.5640:                             ;   in Loop: Header=BB4_5228 Depth=4
	v_bfe_u32 v1, v0, 21, 1
	v_add_co_u32_e64 v1, s[40:41], v0, v1
	v_add_co_u32_e64 v1, s[40:41], -1, v1
; %bb.5641:                             ;   in Loop: Header=BB4_5228 Depth=4
	s_or_b64 exec, exec, s[50:51]
	v_add_u32_e32 v2, 0xffffff81, v9
	v_mov_b32_e32 v9, 0xffffff82
	v_cndmask_b32_e32 v2, v2, v9, vcc
	v_lshrrev_b32_e32 v9, 23, v0
	v_add3_u32 v30, v30, v2, v9
	v_add_u32_e32 v9, 14, v30
	v_and_b32_e32 v1, 0x1fffff, v1
	v_add_u32_e32 v16, v1, v0
	v_cmp_ne_u32_e32 vcc, 0, v9
                                        ; implicit-def: $vgpr0_vgpr1
                                        ; implicit-def: $vgpr2
	s_and_saveexec_b64 s[40:41], vcc
	s_xor_b64 s[40:41], exec, s[40:41]
; %bb.5642:                             ;   in Loop: Header=BB4_5228 Depth=4
	v_cmp_lt_u64_e32 vcc, s[88:89], v[16:17]
	v_add_u32_e32 v0, 15, v30
	v_cndmask_b32_e32 v2, v9, v0, vcc
	v_cndmask_b32_e64 v0, 0, 1, vcc
	v_lshrrev_b64 v[0:1], v0, v[16:17]
; %bb.5643:                             ;   in Loop: Header=BB4_5228 Depth=4
	s_andn2_saveexec_b64 s[40:41], s[40:41]
; %bb.5644:                             ;   in Loop: Header=BB4_5228 Depth=4
	v_mov_b32_e32 v0, v16
	v_mov_b32_e32 v1, v17
	v_bfe_u32 v2, v16, 23, 1
; %bb.5645:                             ;   in Loop: Header=BB4_5228 Depth=4
	s_or_b64 exec, exec, s[40:41]
	v_lshrrev_b64 v[0:1], 21, v[0:1]
	v_cmp_gt_i32_e32 vcc, 32, v2
	v_cndmask_b32_e32 v1, 0, v1, vcc
	v_cndmask_b32_e32 v0, 3, v0, vcc
	v_cmp_eq_u64_e64 s[40:41], 0, v[0:1]
	v_min_i32_e32 v1, 31, v2
	v_lshlrev_b32_e32 v1, 2, v1
	v_cmp_eq_u32_e32 vcc, 0, v2
	v_and_b32_e32 v1, 0xfc, v1
	v_and_or_b32 v0, v0, 3, v1
	s_and_b64 s[40:41], vcc, s[40:41]
	v_cndmask_b32_e64 v0, v0, 0, s[40:41]
	v_or_b32_e32 v30, v0, v8
.LBB4_5646:                             ;   in Loop: Header=BB4_5228 Depth=4
	s_or_b64 exec, exec, s[48:49]
                                        ; implicit-def: $vgpr8
.LBB4_5647:                             ;   in Loop: Header=BB4_5228 Depth=4
	s_andn2_saveexec_b64 s[40:41], s[38:39]
; %bb.5648:                             ;   in Loop: Header=BB4_5228 Depth=4
	v_or_b32_e32 v30, 0x7b, v8
; %bb.5649:                             ;   in Loop: Header=BB4_5228 Depth=4
	s_or_b64 exec, exec, s[40:41]
                                        ; implicit-def: $vgpr0
.LBB4_5650:                             ;   in Loop: Header=BB4_5228 Depth=4
	s_andn2_saveexec_b64 s[40:41], s[42:43]
	s_cbranch_execz .LBB4_5656
; %bb.5651:                             ;   in Loop: Header=BB4_5228 Depth=4
	v_cmp_ne_u64_e32 vcc, 0, v[16:17]
                                        ; implicit-def: $vgpr30
	s_and_saveexec_b64 s[42:43], vcc
	s_xor_b64 s[42:43], exec, s[42:43]
; %bb.5652:                             ;   in Loop: Header=BB4_5228 Depth=4
	v_or_b32_sdwa v30, v0, s47 dst_sel:DWORD dst_unused:UNUSED_PAD src0_sel:BYTE_3 src1_sel:DWORD
                                        ; implicit-def: $vgpr0
; %bb.5653:                             ;   in Loop: Header=BB4_5228 Depth=4
	s_andn2_saveexec_b64 s[42:43], s[42:43]
; %bb.5654:                             ;   in Loop: Header=BB4_5228 Depth=4
	v_cmp_lt_i32_e32 vcc, -1, v0
	v_bfrev_b32_e32 v0, 0.5
	v_cndmask_b32_e32 v30, v0, v52, vcc
; %bb.5655:                             ;   in Loop: Header=BB4_5228 Depth=4
	s_or_b64 exec, exec, s[42:43]
.LBB4_5656:                             ;   in Loop: Header=BB4_5228 Depth=4
	s_or_b64 exec, exec, s[40:41]
	v_cmp_lt_u64_e32 vcc, s[56:57], v[10:11]
	v_mov_b32_e32 v1, 0
	s_and_saveexec_b64 s[40:41], vcc
	s_cbranch_execz .LBB4_5664
; %bb.5657:                             ;   in Loop: Header=BB4_5228 Depth=4
	v_lshrrev_b32_e32 v0, 24, v11
	v_cmp_ne_u32_e32 vcc, s96, v0
	v_bfrev_b32_e32 v1, 1
	s_and_saveexec_b64 s[42:43], vcc
	s_cbranch_execz .LBB4_5663
; %bb.5658:                             ;   in Loop: Header=BB4_5228 Depth=4
	v_and_b32_e32 v1, 0x7c000000, v11
	v_bfe_u32 v2, v11, 24, 2
	v_cmp_ne_u32_e32 vcc, s45, v1
                                        ; implicit-def: $vgpr1
	s_and_saveexec_b64 s[38:39], vcc
	s_xor_b64 s[38:39], exec, s[38:39]
	s_cbranch_execz .LBB4_5660
; %bb.5659:                             ;   in Loop: Header=BB4_5228 Depth=4
	v_ffbh_u32_e32 v1, v2
	v_min_u32_e32 v9, 32, v1
	v_subrev_u32_e32 v1, 29, v9
	v_lshlrev_b64 v[0:1], v1, v[0:1]
	v_bfe_u32 v8, v11, 26, 5
	v_sub_u32_e32 v1, 30, v9
	v_and_b32_e32 v0, 3, v0
	v_cmp_eq_u32_e32 vcc, 0, v8
	v_cndmask_b32_e32 v1, v8, v1, vcc
	v_cndmask_b32_e32 v0, v2, v0, vcc
	v_and_b32_e32 v2, 0x80000000, v11
	v_lshl_add_u32 v1, v1, 23, v2
	v_lshl_or_b32 v0, v0, 21, v1
	v_add_u32_e32 v1, 0x38000000, v0
                                        ; implicit-def: $vgpr2
                                        ; implicit-def: $vgpr10_vgpr11
.LBB4_5660:                             ;   in Loop: Header=BB4_5228 Depth=4
	s_andn2_saveexec_b64 s[38:39], s[38:39]
; %bb.5661:                             ;   in Loop: Header=BB4_5228 Depth=4
	v_cmp_lt_i64_e32 vcc, -1, v[10:11]
	v_mov_b32_e32 v0, 0xff800000
	v_mov_b32_e32 v1, 0x7f800000
	v_cndmask_b32_e32 v0, v0, v1, vcc
	v_cmp_eq_u32_e32 vcc, 0, v2
	v_mov_b32_e32 v1, 0x7f800001
	v_cndmask_b32_e32 v1, v1, v0, vcc
; %bb.5662:                             ;   in Loop: Header=BB4_5228 Depth=4
	s_or_b64 exec, exec, s[38:39]
.LBB4_5663:                             ;   in Loop: Header=BB4_5228 Depth=4
	s_or_b64 exec, exec, s[42:43]
.LBB4_5664:                             ;   in Loop: Header=BB4_5228 Depth=4
	s_or_b64 exec, exec, s[40:41]
	v_mul_f32_e32 v0, v24, v1
	v_and_b32_e32 v1, 0x7f800000, v0
	v_mov_b32_e32 v2, v17
	v_cmp_ne_u64_e32 vcc, s[76:77], v[1:2]
	v_and_b32_e32 v16, 0x7fffff, v0
                                        ; implicit-def: $vgpr32
	s_and_saveexec_b64 s[40:41], vcc
	s_xor_b64 s[42:43], exec, s[40:41]
	s_cbranch_execz .LBB4_5678
; %bb.5665:                             ;   in Loop: Header=BB4_5228 Depth=4
	v_and_b32_e32 v1, 0x7fffffff, v0
	v_mov_b32_e32 v2, v17
	v_cmp_gt_u64_e32 vcc, s[78:79], v[1:2]
	v_and_b32_sdwa v8, v0, s96 dst_sel:DWORD dst_unused:UNUSED_PAD src0_sel:BYTE_3 src1_sel:DWORD
                                        ; implicit-def: $vgpr32
	s_and_saveexec_b64 s[40:41], vcc
	s_xor_b64 s[38:39], exec, s[40:41]
	s_cbranch_execz .LBB4_5675
; %bb.5666:                             ;   in Loop: Header=BB4_5228 Depth=4
	v_mov_b32_e32 v32, 0
	v_cmp_ne_u32_e32 vcc, 0, v0
	s_and_saveexec_b64 s[48:49], vcc
	s_cbranch_execz .LBB4_5674
; %bb.5667:                             ;   in Loop: Header=BB4_5228 Depth=4
	v_bfe_u32 v9, v0, 23, 8
	v_cmp_gt_u32_e64 s[40:41], s46, v9
	v_sub_u32_e32 v0, 0x71, v9
	v_cmp_eq_u32_e32 vcc, 0, v9
	v_cndmask_b32_e64 v0, 0, v0, s[40:41]
	v_mov_b32_e32 v2, 0x70
	v_cndmask_b32_e32 v10, v0, v2, vcc
	v_add_u32_e32 v2, 21, v10
	v_or_b32_e32 v1, 0x800000, v16
	v_lshlrev_b64 v[28:29], v2, -1
	v_cndmask_b32_e32 v0, v1, v16, vcc
	v_mov_b32_e32 v1, v17
	v_add_u32_e32 v2, 20, v10
	v_bfi_b32 v28, v28, 0, v0
	v_lshlrev_b64 v[48:49], v2, 1
	v_lshrrev_b64 v[0:1], v10, v[0:1]
	v_bfi_b32 v29, v29, 0, 0
	v_cmp_eq_u64_e64 s[40:41], v[28:29], v[48:49]
	v_mov_b32_e32 v2, v1
	v_mov_b32_e32 v1, v0
	s_and_saveexec_b64 s[50:51], s[40:41]
; %bb.5668:                             ;   in Loop: Header=BB4_5228 Depth=4
	v_bfe_u32 v1, v0, 21, 1
	v_add_co_u32_e64 v1, s[40:41], v0, v1
	v_add_co_u32_e64 v1, s[40:41], -1, v1
; %bb.5669:                             ;   in Loop: Header=BB4_5228 Depth=4
	s_or_b64 exec, exec, s[50:51]
	v_add_u32_e32 v2, 0xffffff81, v9
	v_mov_b32_e32 v9, 0xffffff82
	v_cndmask_b32_e32 v2, v2, v9, vcc
	v_lshrrev_b32_e32 v9, 23, v0
	v_add3_u32 v10, v10, v2, v9
	v_add_u32_e32 v9, 14, v10
	v_and_b32_e32 v1, 0x1fffff, v1
	v_add_u32_e32 v16, v1, v0
	v_cmp_ne_u32_e32 vcc, 0, v9
                                        ; implicit-def: $vgpr0_vgpr1
                                        ; implicit-def: $vgpr2
	s_and_saveexec_b64 s[40:41], vcc
	s_xor_b64 s[40:41], exec, s[40:41]
; %bb.5670:                             ;   in Loop: Header=BB4_5228 Depth=4
	v_cmp_lt_u64_e32 vcc, s[88:89], v[16:17]
	v_add_u32_e32 v0, 15, v10
	v_cndmask_b32_e32 v2, v9, v0, vcc
	v_cndmask_b32_e64 v0, 0, 1, vcc
	v_lshrrev_b64 v[0:1], v0, v[16:17]
; %bb.5671:                             ;   in Loop: Header=BB4_5228 Depth=4
	s_andn2_saveexec_b64 s[40:41], s[40:41]
; %bb.5672:                             ;   in Loop: Header=BB4_5228 Depth=4
	v_mov_b32_e32 v0, v16
	v_mov_b32_e32 v1, v17
	v_bfe_u32 v2, v16, 23, 1
; %bb.5673:                             ;   in Loop: Header=BB4_5228 Depth=4
	s_or_b64 exec, exec, s[40:41]
	v_lshrrev_b64 v[0:1], 21, v[0:1]
	v_cmp_gt_i32_e32 vcc, 32, v2
	v_cndmask_b32_e32 v1, 0, v1, vcc
	v_cndmask_b32_e32 v0, 3, v0, vcc
	v_cmp_eq_u64_e64 s[40:41], 0, v[0:1]
	v_min_i32_e32 v1, 31, v2
	v_lshlrev_b32_e32 v1, 2, v1
	v_cmp_eq_u32_e32 vcc, 0, v2
	v_and_b32_e32 v1, 0xfc, v1
	v_and_or_b32 v0, v0, 3, v1
	s_and_b64 s[40:41], vcc, s[40:41]
	v_cndmask_b32_e64 v0, v0, 0, s[40:41]
	v_or_b32_e32 v32, v0, v8
.LBB4_5674:                             ;   in Loop: Header=BB4_5228 Depth=4
	s_or_b64 exec, exec, s[48:49]
                                        ; implicit-def: $vgpr8
.LBB4_5675:                             ;   in Loop: Header=BB4_5228 Depth=4
	s_andn2_saveexec_b64 s[40:41], s[38:39]
; %bb.5676:                             ;   in Loop: Header=BB4_5228 Depth=4
	v_or_b32_e32 v32, 0x7b, v8
; %bb.5677:                             ;   in Loop: Header=BB4_5228 Depth=4
	s_or_b64 exec, exec, s[40:41]
                                        ; implicit-def: $vgpr0
.LBB4_5678:                             ;   in Loop: Header=BB4_5228 Depth=4
	s_andn2_saveexec_b64 s[40:41], s[42:43]
	s_cbranch_execz .LBB4_5684
; %bb.5679:                             ;   in Loop: Header=BB4_5228 Depth=4
	v_cmp_ne_u64_e32 vcc, 0, v[16:17]
                                        ; implicit-def: $vgpr32
	s_and_saveexec_b64 s[42:43], vcc
	s_xor_b64 s[42:43], exec, s[42:43]
; %bb.5680:                             ;   in Loop: Header=BB4_5228 Depth=4
	v_or_b32_sdwa v32, v0, s47 dst_sel:DWORD dst_unused:UNUSED_PAD src0_sel:BYTE_3 src1_sel:DWORD
                                        ; implicit-def: $vgpr0
; %bb.5681:                             ;   in Loop: Header=BB4_5228 Depth=4
	s_andn2_saveexec_b64 s[42:43], s[42:43]
; %bb.5682:                             ;   in Loop: Header=BB4_5228 Depth=4
	v_cmp_lt_i32_e32 vcc, -1, v0
	v_bfrev_b32_e32 v0, 0.5
	v_cndmask_b32_e32 v32, v0, v52, vcc
; %bb.5683:                             ;   in Loop: Header=BB4_5228 Depth=4
	s_or_b64 exec, exec, s[42:43]
.LBB4_5684:                             ;   in Loop: Header=BB4_5228 Depth=4
	s_or_b64 exec, exec, s[40:41]
	global_load_dwordx4 v[8:11], v[14:15], off glc slc
	v_lshl_or_b32 v24, v27, 8, v21
	v_lshlrev_b32_e32 v0, 16, v33
	v_lshlrev_b32_e32 v1, 24, v39
	v_or3_b32 v16, v0, v1, v24
	v_cmp_ne_u32_e32 vcc, 0, v21
	v_mov_b32_e32 v0, 0
	s_and_saveexec_b64 s[42:43], vcc
	s_cbranch_execz .LBB4_5692
; %bb.5685:                             ;   in Loop: Header=BB4_5228 Depth=4
	v_cmp_ne_u32_e32 vcc, s96, v21
	v_bfrev_b32_e32 v0, 1
	s_and_saveexec_b64 s[38:39], vcc
	s_cbranch_execz .LBB4_5691
; %bb.5686:                             ;   in Loop: Header=BB4_5228 Depth=4
	v_and_b32_e32 v0, 0x7c, v21
	v_and_b32_e32 v1, 3, v21
	v_cmp_ne_u32_e32 vcc, s85, v0
                                        ; implicit-def: $vgpr0
	s_and_saveexec_b64 s[40:41], vcc
	s_xor_b64 s[40:41], exec, s[40:41]
	s_cbranch_execz .LBB4_5688
; %bb.5687:                             ;   in Loop: Header=BB4_5228 Depth=4
	v_ffbh_u32_e32 v2, v1
	v_min_u32_e32 v2, 32, v2
	v_bfe_u32 v0, v21, 2, 5
	v_subrev_u32_e32 v27, 29, v2
	v_lshlrev_b64 v[27:28], v27, v[16:17]
	v_sub_u32_e32 v2, 30, v2
	v_cmp_eq_u32_e32 vcc, 0, v0
	v_cndmask_b32_e32 v0, v0, v2, vcc
	v_lshlrev_b32_e32 v2, 24, v21
	v_and_b32_e32 v27, 3, v27
	v_and_b32_e32 v2, 0x80000000, v2
	v_cndmask_b32_e32 v1, v1, v27, vcc
	v_lshl_add_u32 v0, v0, 23, v2
	v_lshl_or_b32 v0, v1, 21, v0
	v_add_u32_e32 v0, 0x38000000, v0
                                        ; implicit-def: $vgpr1
                                        ; implicit-def: $vgpr21
.LBB4_5688:                             ;   in Loop: Header=BB4_5228 Depth=4
	s_andn2_saveexec_b64 s[48:49], s[40:41]
; %bb.5689:                             ;   in Loop: Header=BB4_5228 Depth=4
	v_and_b32_e32 v0, 0x80, v21
	v_cmp_eq_u32_e32 vcc, 0, v1
	v_cmp_eq_u32_e64 s[40:41], 0, v0
	v_mov_b32_e32 v0, 0xff800000
	v_mov_b32_e32 v1, 0x7f800000
	v_cndmask_b32_e64 v0, v0, v1, s[40:41]
	v_mov_b32_e32 v1, 0x7f800001
	v_cndmask_b32_e32 v0, v1, v0, vcc
; %bb.5690:                             ;   in Loop: Header=BB4_5228 Depth=4
	s_or_b64 exec, exec, s[48:49]
.LBB4_5691:                             ;   in Loop: Header=BB4_5228 Depth=4
	s_or_b64 exec, exec, s[38:39]
.LBB4_5692:                             ;   in Loop: Header=BB4_5228 Depth=4
	s_or_b64 exec, exec, s[42:43]
	s_waitcnt vmcnt(0)
	v_cmp_gt_i16_sdwa s[42:43], v8, s47 src0_sel:BYTE_0 src1_sel:DWORD
	s_mov_b64 s[40:41], 0
	s_and_saveexec_b64 vcc, s[42:43]
	s_xor_b64 s[42:43], exec, vcc
	s_cbranch_execz .LBB4_6207
; %bb.5693:                             ;   in Loop: Header=BB4_5228 Depth=4
	v_cmp_eq_u16_sdwa s[38:39], v8, s96 src0_sel:BYTE_0 src1_sel:DWORD
	s_mov_b64 s[40:41], -1
	s_and_saveexec_b64 vcc, s[38:39]
; %bb.5694:                             ;   in Loop: Header=BB4_5228 Depth=4
	s_xor_b64 s[40:41], exec, -1
; %bb.5695:                             ;   in Loop: Header=BB4_5228 Depth=4
	s_or_b64 exec, exec, vcc
	s_and_b64 s[40:41], s[40:41], exec
	s_or_saveexec_b64 s[42:43], s[42:43]
	v_bfrev_b32_e32 v1, 1
	s_xor_b64 exec, exec, s[42:43]
	s_cbranch_execnz .LBB4_6208
.LBB4_5696:                             ;   in Loop: Header=BB4_5228 Depth=4
	s_or_b64 exec, exec, s[42:43]
	s_and_saveexec_b64 s[38:39], s[40:41]
	s_cbranch_execz .LBB4_5698
.LBB4_5697:                             ;   in Loop: Header=BB4_5228 Depth=4
	v_and_b32_e32 v21, 3, v8
	v_and_b32_e32 v1, 0x7c, v8
	v_cmp_eq_u32_e32 vcc, s85, v1
	v_ffbh_u32_e32 v1, v21
	v_min_u32_e32 v28, 32, v1
	v_subrev_u32_e32 v1, 29, v28
	v_bfe_u32 v27, v8, 2, 5
	v_lshlrev_b64 v[1:2], v1, v[8:9]
	v_cmp_eq_u32_e64 s[40:41], 0, v27
	v_sub_u32_e32 v2, 30, v28
	v_cndmask_b32_e64 v2, v27, v2, s[40:41]
	v_lshlrev_b32_e32 v27, 24, v8
	v_and_b32_e32 v1, 3, v1
	v_and_b32_e32 v27, 0x80000000, v27
	v_cndmask_b32_e64 v1, v21, v1, s[40:41]
	v_lshl_add_u32 v2, v2, 23, v27
	v_lshl_or_b32 v1, v1, 21, v2
	v_mov_b32_e32 v2, -1
	v_cmp_eq_u32_e64 s[40:41], 0, v21
	v_cmp_gt_i16_sdwa s[42:43], sext(v8), v2 src0_sel:BYTE_0 src1_sel:DWORD
	v_mov_b32_e32 v2, 0xff800000
	v_mov_b32_e32 v21, 0x7f800000
	v_cndmask_b32_e64 v2, v2, v21, s[42:43]
	v_mov_b32_e32 v21, 0x7f800001
	v_add_u32_e32 v1, 0x38000000, v1
	v_cndmask_b32_e64 v2, v21, v2, s[40:41]
	v_cndmask_b32_e32 v1, v1, v2, vcc
.LBB4_5698:                             ;   in Loop: Header=BB4_5228 Depth=4
	s_or_b64 exec, exec, s[38:39]
	v_add_f32_e32 v2, v0, v1
	v_and_b32_e32 v27, 0x7f800000, v2
	v_mov_b32_e32 v28, v17
	v_cmp_ne_u64_e32 vcc, s[76:77], v[27:28]
	v_and_b32_e32 v0, 0x7fffff, v2
	v_mov_b32_e32 v1, v17
                                        ; implicit-def: $vgpr21
	s_and_saveexec_b64 s[40:41], vcc
	s_xor_b64 s[42:43], exec, s[40:41]
	s_cbranch_execz .LBB4_5712
; %bb.5699:                             ;   in Loop: Header=BB4_5228 Depth=4
	v_and_b32_e32 v27, 0x7fffffff, v2
	v_mov_b32_e32 v28, v17
	v_cmp_gt_u64_e32 vcc, s[78:79], v[27:28]
	v_and_b32_sdwa v27, v2, s96 dst_sel:DWORD dst_unused:UNUSED_PAD src0_sel:BYTE_3 src1_sel:DWORD
                                        ; implicit-def: $vgpr21
	s_and_saveexec_b64 s[40:41], vcc
	s_xor_b64 s[38:39], exec, s[40:41]
	s_cbranch_execz .LBB4_5709
; %bb.5700:                             ;   in Loop: Header=BB4_5228 Depth=4
	v_mov_b32_e32 v21, 0
	v_cmp_ne_u32_e32 vcc, 0, v2
	s_and_saveexec_b64 s[48:49], vcc
	s_cbranch_execz .LBB4_5708
; %bb.5701:                             ;   in Loop: Header=BB4_5228 Depth=4
	v_bfe_u32 v21, v2, 23, 8
	v_cmp_gt_u32_e64 s[40:41], s46, v21
	v_sub_u32_e32 v2, 0x71, v21
	v_cmp_eq_u32_e32 vcc, 0, v21
	v_cndmask_b32_e64 v2, 0, v2, s[40:41]
	v_mov_b32_e32 v29, 0x70
	v_cndmask_b32_e32 v33, v2, v29, vcc
	v_or_b32_e32 v28, 0x800000, v0
	v_add_u32_e32 v2, 21, v33
	v_cndmask_b32_e32 v0, v28, v0, vcc
	v_lshlrev_b64 v[28:29], v2, -1
	v_add_u32_e32 v2, 20, v33
	v_bfi_b32 v28, v28, 0, v0
	v_lshlrev_b64 v[48:49], v2, 1
	v_lshrrev_b64 v[0:1], v33, v[0:1]
	v_bfi_b32 v29, v29, 0, 0
	v_cmp_eq_u64_e64 s[40:41], v[28:29], v[48:49]
	v_mov_b32_e32 v2, v1
	v_mov_b32_e32 v1, v0
	s_and_saveexec_b64 s[50:51], s[40:41]
; %bb.5702:                             ;   in Loop: Header=BB4_5228 Depth=4
	v_bfe_u32 v1, v0, 21, 1
	v_add_co_u32_e64 v1, s[40:41], v0, v1
	v_add_co_u32_e64 v1, s[40:41], -1, v1
; %bb.5703:                             ;   in Loop: Header=BB4_5228 Depth=4
	s_or_b64 exec, exec, s[50:51]
	v_add_u32_e32 v2, 0xffffff81, v21
	v_mov_b32_e32 v21, 0xffffff82
	v_cndmask_b32_e32 v2, v2, v21, vcc
	v_lshrrev_b32_e32 v21, 23, v0
	v_add3_u32 v33, v33, v2, v21
	v_add_u32_e32 v21, 14, v33
	v_and_b32_e32 v1, 0x1fffff, v1
	v_add_u32_e32 v0, v1, v0
	v_mov_b32_e32 v1, v17
	v_cmp_ne_u32_e32 vcc, 0, v21
                                        ; implicit-def: $vgpr2
	s_and_saveexec_b64 s[40:41], vcc
	s_xor_b64 s[40:41], exec, s[40:41]
; %bb.5704:                             ;   in Loop: Header=BB4_5228 Depth=4
	v_cmp_lt_u64_e32 vcc, s[88:89], v[0:1]
	v_add_u32_e32 v2, 15, v33
	v_cndmask_b32_e32 v2, v21, v2, vcc
	v_cndmask_b32_e64 v21, 0, 1, vcc
	v_lshrrev_b64 v[0:1], v21, v[0:1]
; %bb.5705:                             ;   in Loop: Header=BB4_5228 Depth=4
	s_andn2_saveexec_b64 s[40:41], s[40:41]
; %bb.5706:                             ;   in Loop: Header=BB4_5228 Depth=4
	v_bfe_u32 v2, v0, 23, 1
; %bb.5707:                             ;   in Loop: Header=BB4_5228 Depth=4
	s_or_b64 exec, exec, s[40:41]
	v_lshrrev_b64 v[0:1], 21, v[0:1]
	v_cmp_gt_i32_e32 vcc, 32, v2
	v_cndmask_b32_e32 v1, 0, v1, vcc
	v_cndmask_b32_e32 v0, 3, v0, vcc
	v_cmp_eq_u64_e64 s[40:41], 0, v[0:1]
	v_min_i32_e32 v1, 31, v2
	v_lshlrev_b32_e32 v1, 2, v1
	v_cmp_eq_u32_e32 vcc, 0, v2
	v_and_b32_e32 v1, 0xfc, v1
	v_and_or_b32 v0, v0, 3, v1
	s_and_b64 s[40:41], vcc, s[40:41]
	v_cndmask_b32_e64 v0, v0, 0, s[40:41]
	v_or_b32_e32 v21, v0, v27
.LBB4_5708:                             ;   in Loop: Header=BB4_5228 Depth=4
	s_or_b64 exec, exec, s[48:49]
                                        ; implicit-def: $vgpr27
.LBB4_5709:                             ;   in Loop: Header=BB4_5228 Depth=4
	s_andn2_saveexec_b64 s[40:41], s[38:39]
; %bb.5710:                             ;   in Loop: Header=BB4_5228 Depth=4
	v_or_b32_e32 v21, 0x7b, v27
; %bb.5711:                             ;   in Loop: Header=BB4_5228 Depth=4
	s_or_b64 exec, exec, s[40:41]
                                        ; implicit-def: $vgpr2
                                        ; implicit-def: $vgpr0_vgpr1
.LBB4_5712:                             ;   in Loop: Header=BB4_5228 Depth=4
	s_andn2_saveexec_b64 s[40:41], s[42:43]
	s_cbranch_execz .LBB4_5718
; %bb.5713:                             ;   in Loop: Header=BB4_5228 Depth=4
	v_cmp_ne_u64_e32 vcc, 0, v[0:1]
                                        ; implicit-def: $vgpr21
	s_and_saveexec_b64 s[42:43], vcc
	s_xor_b64 s[42:43], exec, s[42:43]
; %bb.5714:                             ;   in Loop: Header=BB4_5228 Depth=4
	v_or_b32_sdwa v21, v2, s47 dst_sel:DWORD dst_unused:UNUSED_PAD src0_sel:BYTE_3 src1_sel:DWORD
                                        ; implicit-def: $vgpr2
; %bb.5715:                             ;   in Loop: Header=BB4_5228 Depth=4
	s_andn2_saveexec_b64 s[42:43], s[42:43]
; %bb.5716:                             ;   in Loop: Header=BB4_5228 Depth=4
	v_cmp_lt_i32_e32 vcc, -1, v2
	v_bfrev_b32_e32 v0, 0.5
	v_cndmask_b32_e32 v21, v0, v52, vcc
; %bb.5717:                             ;   in Loop: Header=BB4_5228 Depth=4
	s_or_b64 exec, exec, s[42:43]
.LBB4_5718:                             ;   in Loop: Header=BB4_5228 Depth=4
	s_or_b64 exec, exec, s[40:41]
	v_lshrrev_b16_e32 v0, 8, v24
	v_cmp_ne_u16_e32 vcc, 0, v0
	v_mov_b32_e32 v2, 0
	s_and_saveexec_b64 s[40:41], vcc
	s_cbranch_execz .LBB4_5726
; %bb.5719:                             ;   in Loop: Header=BB4_5228 Depth=4
	v_cmp_ne_u16_e32 vcc, s96, v0
	v_bfrev_b32_e32 v2, 1
	s_and_saveexec_b64 s[42:43], vcc
	s_cbranch_execz .LBB4_5725
; %bb.5720:                             ;   in Loop: Header=BB4_5228 Depth=4
	v_and_b32_e32 v1, 0x7c, v0
	v_and_b32_e32 v27, 3, v0
	v_cmp_ne_u32_e32 vcc, s85, v1
                                        ; implicit-def: $vgpr2
	s_and_saveexec_b64 s[38:39], vcc
	s_xor_b64 s[38:39], exec, s[38:39]
	s_cbranch_execz .LBB4_5722
; %bb.5721:                             ;   in Loop: Header=BB4_5228 Depth=4
	v_ffbh_u32_e32 v28, v27
	v_min_u32_e32 v28, 32, v28
	v_mov_b32_e32 v1, v17
	v_subrev_u32_e32 v29, 29, v28
	v_bfe_u32 v2, v0, 2, 5
	v_lshlrev_b64 v[0:1], v29, v[0:1]
	v_sub_u32_e32 v1, 30, v28
	v_cmp_eq_u32_e32 vcc, 0, v2
	v_cndmask_b32_e32 v1, v2, v1, vcc
	v_lshlrev_b32_e32 v2, 16, v24
	v_and_b32_e32 v0, 3, v0
	v_and_b32_e32 v2, 0x80000000, v2
	v_cndmask_b32_e32 v0, v27, v0, vcc
	v_lshl_add_u32 v1, v1, 23, v2
	v_lshl_or_b32 v0, v0, 21, v1
	v_add_u32_e32 v2, 0x38000000, v0
                                        ; implicit-def: $vgpr27
                                        ; implicit-def: $vgpr24
.LBB4_5722:                             ;   in Loop: Header=BB4_5228 Depth=4
	s_andn2_saveexec_b64 s[38:39], s[38:39]
; %bb.5723:                             ;   in Loop: Header=BB4_5228 Depth=4
	v_cmp_lt_i16_e32 vcc, -1, v24
	v_mov_b32_e32 v0, 0xff800000
	v_mov_b32_e32 v1, 0x7f800000
	v_cndmask_b32_e32 v0, v0, v1, vcc
	v_cmp_eq_u32_e32 vcc, 0, v27
	v_mov_b32_e32 v1, 0x7f800001
	v_cndmask_b32_e32 v2, v1, v0, vcc
; %bb.5724:                             ;   in Loop: Header=BB4_5228 Depth=4
	s_or_b64 exec, exec, s[38:39]
.LBB4_5725:                             ;   in Loop: Header=BB4_5228 Depth=4
	s_or_b64 exec, exec, s[42:43]
.LBB4_5726:                             ;   in Loop: Header=BB4_5228 Depth=4
	s_or_b64 exec, exec, s[40:41]
	v_lshrrev_b16_e32 v0, 8, v8
	v_cmp_lt_i16_e32 vcc, s47, v0
	s_mov_b64 s[40:41], 0
	s_and_saveexec_b64 s[42:43], vcc
	s_xor_b64 s[42:43], exec, s[42:43]
	s_cbranch_execz .LBB4_6209
; %bb.5727:                             ;   in Loop: Header=BB4_5228 Depth=4
	v_cmp_eq_u16_e32 vcc, s96, v0
	s_mov_b64 s[40:41], -1
	s_and_saveexec_b64 s[38:39], vcc
; %bb.5728:                             ;   in Loop: Header=BB4_5228 Depth=4
	s_xor_b64 s[40:41], exec, -1
; %bb.5729:                             ;   in Loop: Header=BB4_5228 Depth=4
	s_or_b64 exec, exec, s[38:39]
	s_and_b64 s[40:41], s[40:41], exec
	s_or_saveexec_b64 s[42:43], s[42:43]
	v_bfrev_b32_e32 v1, 1
	s_xor_b64 exec, exec, s[42:43]
	s_cbranch_execnz .LBB4_6210
.LBB4_5730:                             ;   in Loop: Header=BB4_5228 Depth=4
	s_or_b64 exec, exec, s[42:43]
	s_and_saveexec_b64 s[38:39], s[40:41]
	s_cbranch_execz .LBB4_5732
.LBB4_5731:                             ;   in Loop: Header=BB4_5228 Depth=4
	v_and_b32_e32 v24, 3, v0
	v_and_b32_e32 v27, 0x7c, v0
	v_cmp_eq_u32_e32 vcc, s85, v27
	v_ffbh_u32_e32 v27, v24
	v_min_u32_e32 v33, 32, v27
	v_mov_b32_e32 v1, v17
	v_subrev_u32_e32 v27, 29, v33
	v_bfe_u32 v29, v0, 2, 5
	v_lshlrev_b64 v[27:28], v27, v[0:1]
	v_cmp_eq_u32_e64 s[40:41], 0, v29
	v_sub_u32_e32 v1, 30, v33
	v_lshlrev_b32_e32 v0, 24, v0
	v_and_b32_e32 v27, 3, v27
	v_cndmask_b32_e64 v1, v29, v1, s[40:41]
	v_and_b32_e32 v0, 0x80000000, v0
	v_cndmask_b32_e64 v27, v24, v27, s[40:41]
	v_lshl_add_u32 v0, v1, 23, v0
	v_cmp_eq_u32_e64 s[40:41], 0, v24
	v_cmp_lt_i16_e64 s[42:43], -1, v8
	v_mov_b32_e32 v1, 0xff800000
	v_mov_b32_e32 v24, 0x7f800000
	v_lshl_or_b32 v0, v27, 21, v0
	v_cndmask_b32_e64 v1, v1, v24, s[42:43]
	v_mov_b32_e32 v24, 0x7f800001
	v_add_u32_e32 v0, 0x38000000, v0
	v_cndmask_b32_e64 v1, v24, v1, s[40:41]
	v_cndmask_b32_e32 v1, v0, v1, vcc
.LBB4_5732:                             ;   in Loop: Header=BB4_5228 Depth=4
	s_or_b64 exec, exec, s[38:39]
	v_add_f32_e32 v2, v2, v1
	v_and_b32_e32 v27, 0x7f800000, v2
	v_mov_b32_e32 v28, v17
	v_cmp_ne_u64_e32 vcc, s[76:77], v[27:28]
	v_and_b32_e32 v0, 0x7fffff, v2
	v_mov_b32_e32 v1, v17
                                        ; implicit-def: $vgpr24
	s_and_saveexec_b64 s[40:41], vcc
	s_xor_b64 s[42:43], exec, s[40:41]
	s_cbranch_execz .LBB4_5746
; %bb.5733:                             ;   in Loop: Header=BB4_5228 Depth=4
	v_and_b32_e32 v27, 0x7fffffff, v2
	v_mov_b32_e32 v28, v17
	v_cmp_gt_u64_e32 vcc, s[78:79], v[27:28]
	v_and_b32_sdwa v27, v2, s96 dst_sel:DWORD dst_unused:UNUSED_PAD src0_sel:BYTE_3 src1_sel:DWORD
                                        ; implicit-def: $vgpr24
	s_and_saveexec_b64 s[40:41], vcc
	s_xor_b64 s[38:39], exec, s[40:41]
	s_cbranch_execz .LBB4_5743
; %bb.5734:                             ;   in Loop: Header=BB4_5228 Depth=4
	v_mov_b32_e32 v24, 0
	v_cmp_ne_u32_e32 vcc, 0, v2
	s_and_saveexec_b64 s[48:49], vcc
	s_cbranch_execz .LBB4_5742
; %bb.5735:                             ;   in Loop: Header=BB4_5228 Depth=4
	v_bfe_u32 v24, v2, 23, 8
	v_cmp_gt_u32_e64 s[40:41], s46, v24
	v_sub_u32_e32 v2, 0x71, v24
	v_cmp_eq_u32_e32 vcc, 0, v24
	v_cndmask_b32_e64 v2, 0, v2, s[40:41]
	v_mov_b32_e32 v29, 0x70
	v_cndmask_b32_e32 v33, v2, v29, vcc
	v_or_b32_e32 v28, 0x800000, v0
	v_add_u32_e32 v2, 21, v33
	v_cndmask_b32_e32 v0, v28, v0, vcc
	v_lshlrev_b64 v[28:29], v2, -1
	v_add_u32_e32 v2, 20, v33
	v_bfi_b32 v28, v28, 0, v0
	v_lshlrev_b64 v[48:49], v2, 1
	v_lshrrev_b64 v[0:1], v33, v[0:1]
	v_bfi_b32 v29, v29, 0, 0
	v_cmp_eq_u64_e64 s[40:41], v[28:29], v[48:49]
	v_mov_b32_e32 v2, v1
	v_mov_b32_e32 v1, v0
	s_and_saveexec_b64 s[50:51], s[40:41]
; %bb.5736:                             ;   in Loop: Header=BB4_5228 Depth=4
	v_bfe_u32 v1, v0, 21, 1
	v_add_co_u32_e64 v1, s[40:41], v0, v1
	v_add_co_u32_e64 v1, s[40:41], -1, v1
; %bb.5737:                             ;   in Loop: Header=BB4_5228 Depth=4
	s_or_b64 exec, exec, s[50:51]
	v_add_u32_e32 v2, 0xffffff81, v24
	v_mov_b32_e32 v24, 0xffffff82
	v_cndmask_b32_e32 v2, v2, v24, vcc
	v_lshrrev_b32_e32 v24, 23, v0
	v_add3_u32 v33, v33, v2, v24
	v_add_u32_e32 v24, 14, v33
	v_and_b32_e32 v1, 0x1fffff, v1
	v_add_u32_e32 v0, v1, v0
	v_mov_b32_e32 v1, v17
	v_cmp_ne_u32_e32 vcc, 0, v24
                                        ; implicit-def: $vgpr2
	s_and_saveexec_b64 s[40:41], vcc
	s_xor_b64 s[40:41], exec, s[40:41]
; %bb.5738:                             ;   in Loop: Header=BB4_5228 Depth=4
	v_cmp_lt_u64_e32 vcc, s[88:89], v[0:1]
	v_add_u32_e32 v2, 15, v33
	v_cndmask_b32_e32 v2, v24, v2, vcc
	v_cndmask_b32_e64 v24, 0, 1, vcc
	v_lshrrev_b64 v[0:1], v24, v[0:1]
; %bb.5739:                             ;   in Loop: Header=BB4_5228 Depth=4
	s_andn2_saveexec_b64 s[40:41], s[40:41]
; %bb.5740:                             ;   in Loop: Header=BB4_5228 Depth=4
	v_bfe_u32 v2, v0, 23, 1
; %bb.5741:                             ;   in Loop: Header=BB4_5228 Depth=4
	s_or_b64 exec, exec, s[40:41]
	v_lshrrev_b64 v[0:1], 21, v[0:1]
	v_cmp_gt_i32_e32 vcc, 32, v2
	v_cndmask_b32_e32 v1, 0, v1, vcc
	v_cndmask_b32_e32 v0, 3, v0, vcc
	v_cmp_eq_u64_e64 s[40:41], 0, v[0:1]
	v_min_i32_e32 v1, 31, v2
	v_lshlrev_b32_e32 v1, 2, v1
	v_cmp_eq_u32_e32 vcc, 0, v2
	v_and_b32_e32 v1, 0xfc, v1
	v_and_or_b32 v0, v0, 3, v1
	s_and_b64 s[40:41], vcc, s[40:41]
	v_cndmask_b32_e64 v0, v0, 0, s[40:41]
	v_or_b32_e32 v24, v0, v27
.LBB4_5742:                             ;   in Loop: Header=BB4_5228 Depth=4
	s_or_b64 exec, exec, s[48:49]
                                        ; implicit-def: $vgpr27
.LBB4_5743:                             ;   in Loop: Header=BB4_5228 Depth=4
	s_andn2_saveexec_b64 s[40:41], s[38:39]
; %bb.5744:                             ;   in Loop: Header=BB4_5228 Depth=4
	v_or_b32_e32 v24, 0x7b, v27
; %bb.5745:                             ;   in Loop: Header=BB4_5228 Depth=4
	s_or_b64 exec, exec, s[40:41]
                                        ; implicit-def: $vgpr2
                                        ; implicit-def: $vgpr0_vgpr1
.LBB4_5746:                             ;   in Loop: Header=BB4_5228 Depth=4
	s_andn2_saveexec_b64 s[40:41], s[42:43]
	s_cbranch_execz .LBB4_5752
; %bb.5747:                             ;   in Loop: Header=BB4_5228 Depth=4
	v_cmp_ne_u64_e32 vcc, 0, v[0:1]
                                        ; implicit-def: $vgpr24
	s_and_saveexec_b64 s[42:43], vcc
	s_xor_b64 s[42:43], exec, s[42:43]
; %bb.5748:                             ;   in Loop: Header=BB4_5228 Depth=4
	v_or_b32_sdwa v24, v2, s47 dst_sel:DWORD dst_unused:UNUSED_PAD src0_sel:BYTE_3 src1_sel:DWORD
                                        ; implicit-def: $vgpr2
; %bb.5749:                             ;   in Loop: Header=BB4_5228 Depth=4
	s_andn2_saveexec_b64 s[42:43], s[42:43]
; %bb.5750:                             ;   in Loop: Header=BB4_5228 Depth=4
	v_cmp_lt_i32_e32 vcc, -1, v2
	v_bfrev_b32_e32 v0, 0.5
	v_cndmask_b32_e32 v24, v0, v52, vcc
; %bb.5751:                             ;   in Loop: Header=BB4_5228 Depth=4
	s_or_b64 exec, exec, s[42:43]
.LBB4_5752:                             ;   in Loop: Header=BB4_5228 Depth=4
	s_or_b64 exec, exec, s[40:41]
	v_and_b32_sdwa v2, v16, s87 dst_sel:DWORD dst_unused:UNUSED_PAD src0_sel:WORD_1 src1_sel:DWORD
	v_lshrrev_b32_e32 v0, 16, v16
	v_cmp_ne_u16_e32 vcc, 0, v2
	v_mov_b32_e32 v1, 0
	s_and_saveexec_b64 s[40:41], vcc
	s_cbranch_execz .LBB4_5760
; %bb.5753:                             ;   in Loop: Header=BB4_5228 Depth=4
	v_cmp_ne_u16_e32 vcc, s96, v2
	v_bfrev_b32_e32 v1, 1
	s_and_saveexec_b64 s[42:43], vcc
	s_cbranch_execz .LBB4_5759
; %bb.5754:                             ;   in Loop: Header=BB4_5228 Depth=4
	v_and_b32_e32 v1, 0x7c0000, v16
	v_bfe_u32 v2, v16, 16, 2
	v_cmp_ne_u32_e32 vcc, s44, v1
                                        ; implicit-def: $vgpr1
	s_and_saveexec_b64 s[38:39], vcc
	s_xor_b64 s[38:39], exec, s[38:39]
	s_cbranch_execz .LBB4_5756
; %bb.5755:                             ;   in Loop: Header=BB4_5228 Depth=4
	v_ffbh_u32_e32 v1, v2
	v_min_u32_e32 v28, 32, v1
	v_lshrrev_b32_e32 v0, 16, v16
	v_subrev_u32_e32 v1, 29, v28
	v_lshlrev_b64 v[0:1], v1, v[0:1]
	v_bfe_u32 v27, v16, 18, 5
	v_and_b32_e32 v0, 3, v0
	v_cmp_eq_u32_e32 vcc, 0, v27
	v_sub_u32_e32 v1, 30, v28
	v_cndmask_b32_e32 v0, v2, v0, vcc
	v_lshlrev_b32_e32 v2, 8, v16
	v_cndmask_b32_e32 v1, v27, v1, vcc
	v_and_b32_e32 v2, 0x80000000, v2
	v_lshl_add_u32 v1, v1, 23, v2
	v_lshl_or_b32 v0, v0, 21, v1
	v_add_u32_e32 v1, 0x38000000, v0
                                        ; implicit-def: $vgpr2
                                        ; implicit-def: $vgpr0
.LBB4_5756:                             ;   in Loop: Header=BB4_5228 Depth=4
	s_andn2_saveexec_b64 s[38:39], s[38:39]
; %bb.5757:                             ;   in Loop: Header=BB4_5228 Depth=4
	v_mov_b32_e32 v1, -1
	v_cmp_gt_i16_sdwa vcc, sext(v0), v1 src0_sel:BYTE_0 src1_sel:DWORD
	v_mov_b32_e32 v0, 0xff800000
	v_mov_b32_e32 v1, 0x7f800000
	v_cndmask_b32_e32 v0, v0, v1, vcc
	v_cmp_eq_u32_e32 vcc, 0, v2
	v_mov_b32_e32 v1, 0x7f800001
	v_cndmask_b32_e32 v1, v1, v0, vcc
; %bb.5758:                             ;   in Loop: Header=BB4_5228 Depth=4
	s_or_b64 exec, exec, s[38:39]
.LBB4_5759:                             ;   in Loop: Header=BB4_5228 Depth=4
	s_or_b64 exec, exec, s[42:43]
.LBB4_5760:                             ;   in Loop: Header=BB4_5228 Depth=4
	s_or_b64 exec, exec, s[40:41]
	v_lshrrev_b32_e32 v0, 16, v8
	v_cmp_gt_i16_sdwa s[42:43], v0, s47 src0_sel:BYTE_0 src1_sel:DWORD
	s_mov_b64 s[40:41], 0
	s_and_saveexec_b64 vcc, s[42:43]
	s_xor_b64 s[42:43], exec, vcc
	s_cbranch_execz .LBB4_6211
; %bb.5761:                             ;   in Loop: Header=BB4_5228 Depth=4
	v_cmp_eq_u16_sdwa s[38:39], v0, s96 src0_sel:BYTE_0 src1_sel:DWORD
	s_mov_b64 s[40:41], -1
	s_and_saveexec_b64 vcc, s[38:39]
; %bb.5762:                             ;   in Loop: Header=BB4_5228 Depth=4
	s_xor_b64 s[40:41], exec, -1
; %bb.5763:                             ;   in Loop: Header=BB4_5228 Depth=4
	s_or_b64 exec, exec, vcc
	s_and_b64 s[40:41], s[40:41], exec
	s_or_saveexec_b64 s[42:43], s[42:43]
	v_bfrev_b32_e32 v2, 1
	s_xor_b64 exec, exec, s[42:43]
	s_cbranch_execnz .LBB4_6212
.LBB4_5764:                             ;   in Loop: Header=BB4_5228 Depth=4
	s_or_b64 exec, exec, s[42:43]
	s_and_saveexec_b64 s[38:39], s[40:41]
	s_cbranch_execz .LBB4_5766
.LBB4_5765:                             ;   in Loop: Header=BB4_5228 Depth=4
	v_and_b32_e32 v2, 3, v0
	v_and_b32_e32 v27, 0x7c0000, v8
	v_cmp_eq_u32_e32 vcc, s44, v27
	v_ffbh_u32_e32 v27, v2
	v_min_u32_e32 v33, 32, v27
	v_subrev_u32_e32 v27, 29, v33
	v_bfe_u32 v29, v8, 18, 5
	v_lshlrev_b64 v[27:28], v27, v[0:1]
	v_cmp_eq_u32_e64 s[40:41], 0, v29
	v_sub_u32_e32 v28, 30, v33
	v_and_b32_e32 v27, 3, v27
	v_cndmask_b32_e64 v28, v29, v28, s[40:41]
	v_lshlrev_b32_e32 v29, 24, v0
	v_cndmask_b32_e64 v27, v2, v27, s[40:41]
	v_and_b32_e32 v29, 0x80000000, v29
	v_cmp_eq_u32_e64 s[40:41], 0, v2
	v_mov_b32_e32 v2, -1
	v_lshl_add_u32 v28, v28, 23, v29
	v_cmp_gt_i16_sdwa s[42:43], sext(v0), v2 src0_sel:BYTE_0 src1_sel:DWORD
	v_mov_b32_e32 v0, 0xff800000
	v_mov_b32_e32 v2, 0x7f800000
	v_lshl_or_b32 v27, v27, 21, v28
	v_cndmask_b32_e64 v0, v0, v2, s[42:43]
	v_mov_b32_e32 v2, 0x7f800001
	v_add_u32_e32 v27, 0x38000000, v27
	v_cndmask_b32_e64 v0, v2, v0, s[40:41]
	v_cndmask_b32_e32 v2, v27, v0, vcc
.LBB4_5766:                             ;   in Loop: Header=BB4_5228 Depth=4
	s_or_b64 exec, exec, s[38:39]
	v_add_f32_e32 v2, v1, v2
	v_and_b32_e32 v27, 0x7f800000, v2
	v_mov_b32_e32 v28, v17
	v_cmp_ne_u64_e32 vcc, s[76:77], v[27:28]
	v_and_b32_e32 v0, 0x7fffff, v2
	v_mov_b32_e32 v1, v17
                                        ; implicit-def: $vgpr27
	s_and_saveexec_b64 s[40:41], vcc
	s_xor_b64 s[42:43], exec, s[40:41]
	s_cbranch_execz .LBB4_5780
; %bb.5767:                             ;   in Loop: Header=BB4_5228 Depth=4
	v_and_b32_e32 v27, 0x7fffffff, v2
	v_mov_b32_e32 v28, v17
	v_cmp_gt_u64_e32 vcc, s[78:79], v[27:28]
	v_and_b32_sdwa v33, v2, s96 dst_sel:DWORD dst_unused:UNUSED_PAD src0_sel:BYTE_3 src1_sel:DWORD
                                        ; implicit-def: $vgpr27
	s_and_saveexec_b64 s[40:41], vcc
	s_xor_b64 s[38:39], exec, s[40:41]
	s_cbranch_execz .LBB4_5777
; %bb.5768:                             ;   in Loop: Header=BB4_5228 Depth=4
	v_mov_b32_e32 v27, 0
	v_cmp_ne_u32_e32 vcc, 0, v2
	s_and_saveexec_b64 s[48:49], vcc
	s_cbranch_execz .LBB4_5776
; %bb.5769:                             ;   in Loop: Header=BB4_5228 Depth=4
	v_bfe_u32 v27, v2, 23, 8
	v_cmp_gt_u32_e64 s[40:41], s46, v27
	v_sub_u32_e32 v2, 0x71, v27
	v_cmp_eq_u32_e32 vcc, 0, v27
	v_cndmask_b32_e64 v2, 0, v2, s[40:41]
	v_mov_b32_e32 v29, 0x70
	v_cndmask_b32_e32 v39, v2, v29, vcc
	v_or_b32_e32 v28, 0x800000, v0
	v_add_u32_e32 v2, 21, v39
	v_cndmask_b32_e32 v0, v28, v0, vcc
	v_lshlrev_b64 v[28:29], v2, -1
	v_add_u32_e32 v2, 20, v39
	v_bfi_b32 v28, v28, 0, v0
	v_lshlrev_b64 v[48:49], v2, 1
	v_lshrrev_b64 v[0:1], v39, v[0:1]
	v_bfi_b32 v29, v29, 0, 0
	v_cmp_eq_u64_e64 s[40:41], v[28:29], v[48:49]
	v_mov_b32_e32 v2, v1
	v_mov_b32_e32 v1, v0
	s_and_saveexec_b64 s[50:51], s[40:41]
; %bb.5770:                             ;   in Loop: Header=BB4_5228 Depth=4
	v_bfe_u32 v1, v0, 21, 1
	v_add_co_u32_e64 v1, s[40:41], v0, v1
	v_add_co_u32_e64 v1, s[40:41], -1, v1
; %bb.5771:                             ;   in Loop: Header=BB4_5228 Depth=4
	s_or_b64 exec, exec, s[50:51]
	v_add_u32_e32 v2, 0xffffff81, v27
	v_mov_b32_e32 v27, 0xffffff82
	v_cndmask_b32_e32 v2, v2, v27, vcc
	v_lshrrev_b32_e32 v27, 23, v0
	v_add3_u32 v39, v39, v2, v27
	v_add_u32_e32 v27, 14, v39
	v_and_b32_e32 v1, 0x1fffff, v1
	v_add_u32_e32 v0, v1, v0
	v_mov_b32_e32 v1, v17
	v_cmp_ne_u32_e32 vcc, 0, v27
                                        ; implicit-def: $vgpr2
	s_and_saveexec_b64 s[40:41], vcc
	s_xor_b64 s[40:41], exec, s[40:41]
; %bb.5772:                             ;   in Loop: Header=BB4_5228 Depth=4
	v_cmp_lt_u64_e32 vcc, s[88:89], v[0:1]
	v_add_u32_e32 v2, 15, v39
	v_cndmask_b32_e32 v2, v27, v2, vcc
	v_cndmask_b32_e64 v27, 0, 1, vcc
	v_lshrrev_b64 v[0:1], v27, v[0:1]
; %bb.5773:                             ;   in Loop: Header=BB4_5228 Depth=4
	s_andn2_saveexec_b64 s[40:41], s[40:41]
; %bb.5774:                             ;   in Loop: Header=BB4_5228 Depth=4
	v_bfe_u32 v2, v0, 23, 1
; %bb.5775:                             ;   in Loop: Header=BB4_5228 Depth=4
	s_or_b64 exec, exec, s[40:41]
	v_lshrrev_b64 v[0:1], 21, v[0:1]
	v_cmp_gt_i32_e32 vcc, 32, v2
	v_cndmask_b32_e32 v1, 0, v1, vcc
	v_cndmask_b32_e32 v0, 3, v0, vcc
	v_cmp_eq_u64_e64 s[40:41], 0, v[0:1]
	v_min_i32_e32 v1, 31, v2
	v_lshlrev_b32_e32 v1, 2, v1
	v_cmp_eq_u32_e32 vcc, 0, v2
	v_and_b32_e32 v1, 0xfc, v1
	v_and_or_b32 v0, v0, 3, v1
	s_and_b64 s[40:41], vcc, s[40:41]
	v_cndmask_b32_e64 v0, v0, 0, s[40:41]
	v_or_b32_e32 v27, v0, v33
.LBB4_5776:                             ;   in Loop: Header=BB4_5228 Depth=4
	s_or_b64 exec, exec, s[48:49]
                                        ; implicit-def: $vgpr33
.LBB4_5777:                             ;   in Loop: Header=BB4_5228 Depth=4
	s_andn2_saveexec_b64 s[40:41], s[38:39]
; %bb.5778:                             ;   in Loop: Header=BB4_5228 Depth=4
	v_or_b32_e32 v27, 0x7b, v33
; %bb.5779:                             ;   in Loop: Header=BB4_5228 Depth=4
	s_or_b64 exec, exec, s[40:41]
                                        ; implicit-def: $vgpr2
                                        ; implicit-def: $vgpr0_vgpr1
.LBB4_5780:                             ;   in Loop: Header=BB4_5228 Depth=4
	s_andn2_saveexec_b64 s[40:41], s[42:43]
	s_cbranch_execz .LBB4_5786
; %bb.5781:                             ;   in Loop: Header=BB4_5228 Depth=4
	v_cmp_ne_u64_e32 vcc, 0, v[0:1]
                                        ; implicit-def: $vgpr27
	s_and_saveexec_b64 s[42:43], vcc
	s_xor_b64 s[42:43], exec, s[42:43]
; %bb.5782:                             ;   in Loop: Header=BB4_5228 Depth=4
	v_or_b32_sdwa v27, v2, s47 dst_sel:DWORD dst_unused:UNUSED_PAD src0_sel:BYTE_3 src1_sel:DWORD
                                        ; implicit-def: $vgpr2
; %bb.5783:                             ;   in Loop: Header=BB4_5228 Depth=4
	s_andn2_saveexec_b64 s[42:43], s[42:43]
; %bb.5784:                             ;   in Loop: Header=BB4_5228 Depth=4
	v_cmp_lt_i32_e32 vcc, -1, v2
	v_bfrev_b32_e32 v0, 0.5
	v_cndmask_b32_e32 v27, v0, v52, vcc
; %bb.5785:                             ;   in Loop: Header=BB4_5228 Depth=4
	s_or_b64 exec, exec, s[42:43]
.LBB4_5786:                             ;   in Loop: Header=BB4_5228 Depth=4
	s_or_b64 exec, exec, s[40:41]
	v_cmp_lt_u32_e32 vcc, s57, v16
	v_mov_b32_e32 v1, 0
	s_and_saveexec_b64 s[40:41], vcc
	s_cbranch_execz .LBB4_5794
; %bb.5787:                             ;   in Loop: Header=BB4_5228 Depth=4
	v_lshrrev_b32_e32 v0, 24, v16
	v_cmp_ne_u32_e32 vcc, s96, v0
	v_bfrev_b32_e32 v1, 1
	s_and_saveexec_b64 s[42:43], vcc
	s_cbranch_execz .LBB4_5793
; %bb.5788:                             ;   in Loop: Header=BB4_5228 Depth=4
	v_and_b32_e32 v1, 0x7c000000, v16
	v_bfe_u32 v2, v16, 24, 2
	v_cmp_ne_u32_e32 vcc, s45, v1
                                        ; implicit-def: $vgpr1
	s_and_saveexec_b64 s[38:39], vcc
	s_xor_b64 s[38:39], exec, s[38:39]
	s_cbranch_execz .LBB4_5790
; %bb.5789:                             ;   in Loop: Header=BB4_5228 Depth=4
	v_ffbh_u32_e32 v1, v2
	v_min_u32_e32 v29, 32, v1
	v_subrev_u32_e32 v1, 29, v29
	v_lshlrev_b64 v[0:1], v1, v[0:1]
	v_bfe_u32 v28, v16, 26, 5
	v_sub_u32_e32 v1, 30, v29
	v_and_b32_e32 v0, 3, v0
	v_cmp_eq_u32_e32 vcc, 0, v28
	v_cndmask_b32_e32 v1, v28, v1, vcc
	v_cndmask_b32_e32 v0, v2, v0, vcc
	v_and_b32_e32 v2, 0x80000000, v16
	v_lshl_add_u32 v1, v1, 23, v2
	v_lshl_or_b32 v0, v0, 21, v1
	v_add_u32_e32 v1, 0x38000000, v0
                                        ; implicit-def: $vgpr2
.LBB4_5790:                             ;   in Loop: Header=BB4_5228 Depth=4
	s_andn2_saveexec_b64 s[38:39], s[38:39]
; %bb.5791:                             ;   in Loop: Header=BB4_5228 Depth=4
	v_cmp_lt_i32_e32 vcc, -1, v16
	v_mov_b32_e32 v0, 0xff800000
	v_mov_b32_e32 v1, 0x7f800000
	v_cndmask_b32_e32 v0, v0, v1, vcc
	v_cmp_eq_u32_e32 vcc, 0, v2
	v_mov_b32_e32 v1, 0x7f800001
	v_cndmask_b32_e32 v1, v1, v0, vcc
; %bb.5792:                             ;   in Loop: Header=BB4_5228 Depth=4
	s_or_b64 exec, exec, s[38:39]
.LBB4_5793:                             ;   in Loop: Header=BB4_5228 Depth=4
	s_or_b64 exec, exec, s[42:43]
.LBB4_5794:                             ;   in Loop: Header=BB4_5228 Depth=4
	s_or_b64 exec, exec, s[40:41]
	v_bfe_u32 v2, v8, 24, 2
	v_and_b32_e32 v28, 0x7c000000, v8
	v_cmp_eq_u32_e32 vcc, s45, v28
	v_ffbh_u32_e32 v28, v2
	v_min_u32_e32 v33, 32, v28
	v_lshrrev_b32_e32 v0, 24, v8
	v_subrev_u32_e32 v28, 29, v33
	v_bfe_u32 v16, v8, 26, 5
	v_lshlrev_b64 v[28:29], v28, v[0:1]
	v_cmp_eq_u32_e64 s[40:41], 0, v16
	v_sub_u32_e32 v29, 30, v33
	v_and_b32_e32 v28, 3, v28
	v_cndmask_b32_e64 v16, v16, v29, s[40:41]
	v_and_b32_e32 v29, 0x80000000, v8
	v_cndmask_b32_e64 v28, v2, v28, s[40:41]
	v_lshl_add_u32 v16, v16, 23, v29
	v_lshl_or_b32 v16, v28, 21, v16
	v_cmp_eq_u32_e64 s[40:41], 0, v2
	v_cmp_lt_i32_e64 s[42:43], -1, v8
	v_mov_b32_e32 v2, 0xff800000
	v_mov_b32_e32 v28, 0x7f800000
	v_cndmask_b32_e64 v2, v2, v28, s[42:43]
	v_mov_b32_e32 v28, 0x7f800001
	v_add_u32_e32 v16, 0x38000000, v16
	v_cndmask_b32_e64 v2, v28, v2, s[40:41]
	v_cndmask_b32_e32 v2, v16, v2, vcc
	v_cmp_ne_u32_e32 vcc, s96, v0
	v_bfrev_b32_e32 v0, 1
	v_cndmask_b32_e32 v0, v0, v2, vcc
	v_cmp_lt_u32_e32 vcc, s57, v8
	v_cndmask_b32_e32 v0, 0, v0, vcc
	v_add_f32_e32 v0, v0, v1
	v_and_b32_e32 v1, 0x7f800000, v0
	v_mov_b32_e32 v2, v17
	v_cmp_ne_u64_e32 vcc, s[76:77], v[1:2]
	v_and_b32_e32 v16, 0x7fffff, v0
                                        ; implicit-def: $vgpr33
	s_and_saveexec_b64 s[40:41], vcc
	s_xor_b64 s[42:43], exec, s[40:41]
	s_cbranch_execz .LBB4_5808
; %bb.5795:                             ;   in Loop: Header=BB4_5228 Depth=4
	v_and_b32_e32 v1, 0x7fffffff, v0
	v_mov_b32_e32 v2, v17
	v_cmp_gt_u64_e32 vcc, s[78:79], v[1:2]
	v_and_b32_sdwa v39, v0, s96 dst_sel:DWORD dst_unused:UNUSED_PAD src0_sel:BYTE_3 src1_sel:DWORD
                                        ; implicit-def: $vgpr33
	s_and_saveexec_b64 s[40:41], vcc
	s_xor_b64 s[38:39], exec, s[40:41]
	s_cbranch_execz .LBB4_5805
; %bb.5796:                             ;   in Loop: Header=BB4_5228 Depth=4
	v_mov_b32_e32 v33, 0
	v_cmp_ne_u32_e32 vcc, 0, v0
	s_and_saveexec_b64 s[48:49], vcc
	s_cbranch_execz .LBB4_5804
; %bb.5797:                             ;   in Loop: Header=BB4_5228 Depth=4
	v_bfe_u32 v33, v0, 23, 8
	v_cmp_gt_u32_e64 s[40:41], s46, v33
	v_sub_u32_e32 v0, 0x71, v33
	v_cmp_eq_u32_e32 vcc, 0, v33
	v_cndmask_b32_e64 v0, 0, v0, s[40:41]
	v_mov_b32_e32 v2, 0x70
	v_cndmask_b32_e32 v48, v0, v2, vcc
	v_add_u32_e32 v2, 21, v48
	v_or_b32_e32 v1, 0x800000, v16
	v_lshlrev_b64 v[28:29], v2, -1
	v_cndmask_b32_e32 v0, v1, v16, vcc
	v_mov_b32_e32 v1, v17
	v_add_u32_e32 v2, 20, v48
	v_bfi_b32 v28, v28, 0, v0
	v_lshlrev_b64 v[49:50], v2, 1
	v_lshrrev_b64 v[0:1], v48, v[0:1]
	v_bfi_b32 v29, v29, 0, 0
	v_cmp_eq_u64_e64 s[40:41], v[28:29], v[49:50]
	v_mov_b32_e32 v2, v1
	v_mov_b32_e32 v1, v0
	s_and_saveexec_b64 s[50:51], s[40:41]
; %bb.5798:                             ;   in Loop: Header=BB4_5228 Depth=4
	v_bfe_u32 v1, v0, 21, 1
	v_add_co_u32_e64 v1, s[40:41], v0, v1
	v_add_co_u32_e64 v1, s[40:41], -1, v1
; %bb.5799:                             ;   in Loop: Header=BB4_5228 Depth=4
	s_or_b64 exec, exec, s[50:51]
	v_add_u32_e32 v2, 0xffffff81, v33
	v_mov_b32_e32 v16, 0xffffff82
	v_cndmask_b32_e32 v2, v2, v16, vcc
	v_lshrrev_b32_e32 v16, 23, v0
	v_add3_u32 v48, v48, v2, v16
	v_add_u32_e32 v33, 14, v48
	v_and_b32_e32 v1, 0x1fffff, v1
	v_add_u32_e32 v16, v1, v0
	v_cmp_ne_u32_e32 vcc, 0, v33
                                        ; implicit-def: $vgpr0_vgpr1
                                        ; implicit-def: $vgpr2
	s_and_saveexec_b64 s[40:41], vcc
	s_xor_b64 s[40:41], exec, s[40:41]
; %bb.5800:                             ;   in Loop: Header=BB4_5228 Depth=4
	v_cmp_lt_u64_e32 vcc, s[88:89], v[16:17]
	v_add_u32_e32 v0, 15, v48
	v_cndmask_b32_e32 v2, v33, v0, vcc
	v_cndmask_b32_e64 v0, 0, 1, vcc
	v_lshrrev_b64 v[0:1], v0, v[16:17]
; %bb.5801:                             ;   in Loop: Header=BB4_5228 Depth=4
	s_andn2_saveexec_b64 s[40:41], s[40:41]
; %bb.5802:                             ;   in Loop: Header=BB4_5228 Depth=4
	v_mov_b32_e32 v0, v16
	v_mov_b32_e32 v1, v17
	v_bfe_u32 v2, v16, 23, 1
; %bb.5803:                             ;   in Loop: Header=BB4_5228 Depth=4
	s_or_b64 exec, exec, s[40:41]
	v_lshrrev_b64 v[0:1], 21, v[0:1]
	v_cmp_gt_i32_e32 vcc, 32, v2
	v_cndmask_b32_e32 v1, 0, v1, vcc
	v_cndmask_b32_e32 v0, 3, v0, vcc
	v_cmp_eq_u64_e64 s[40:41], 0, v[0:1]
	v_min_i32_e32 v1, 31, v2
	v_lshlrev_b32_e32 v1, 2, v1
	v_cmp_eq_u32_e32 vcc, 0, v2
	v_and_b32_e32 v1, 0xfc, v1
	v_and_or_b32 v0, v0, 3, v1
	s_and_b64 s[40:41], vcc, s[40:41]
	v_cndmask_b32_e64 v0, v0, 0, s[40:41]
	v_or_b32_e32 v33, v0, v39
.LBB4_5804:                             ;   in Loop: Header=BB4_5228 Depth=4
	s_or_b64 exec, exec, s[48:49]
                                        ; implicit-def: $vgpr39
.LBB4_5805:                             ;   in Loop: Header=BB4_5228 Depth=4
	s_andn2_saveexec_b64 s[40:41], s[38:39]
; %bb.5806:                             ;   in Loop: Header=BB4_5228 Depth=4
	v_or_b32_e32 v33, 0x7b, v39
; %bb.5807:                             ;   in Loop: Header=BB4_5228 Depth=4
	s_or_b64 exec, exec, s[40:41]
                                        ; implicit-def: $vgpr0
.LBB4_5808:                             ;   in Loop: Header=BB4_5228 Depth=4
	s_andn2_saveexec_b64 s[40:41], s[42:43]
	s_cbranch_execz .LBB4_5814
; %bb.5809:                             ;   in Loop: Header=BB4_5228 Depth=4
	v_cmp_ne_u64_e32 vcc, 0, v[16:17]
                                        ; implicit-def: $vgpr33
	s_and_saveexec_b64 s[42:43], vcc
	s_xor_b64 s[42:43], exec, s[42:43]
; %bb.5810:                             ;   in Loop: Header=BB4_5228 Depth=4
	v_or_b32_sdwa v33, v0, s47 dst_sel:DWORD dst_unused:UNUSED_PAD src0_sel:BYTE_3 src1_sel:DWORD
                                        ; implicit-def: $vgpr0
; %bb.5811:                             ;   in Loop: Header=BB4_5228 Depth=4
	s_andn2_saveexec_b64 s[42:43], s[42:43]
; %bb.5812:                             ;   in Loop: Header=BB4_5228 Depth=4
	v_cmp_lt_i32_e32 vcc, -1, v0
	v_bfrev_b32_e32 v0, 0.5
	v_cndmask_b32_e32 v33, v0, v52, vcc
; %bb.5813:                             ;   in Loop: Header=BB4_5228 Depth=4
	s_or_b64 exec, exec, s[42:43]
.LBB4_5814:                             ;   in Loop: Header=BB4_5228 Depth=4
	s_or_b64 exec, exec, s[40:41]
	v_lshl_or_b32 v39, v35, 8, v3
	v_lshlrev_b32_e32 v0, 16, v37
	v_lshlrev_b32_e32 v1, 24, v38
	v_or3_b32 v16, v0, v1, v39
	v_cmp_ne_u32_e32 vcc, 0, v3
	v_mov_b32_e32 v2, 0
	s_and_saveexec_b64 s[42:43], vcc
	s_cbranch_execz .LBB4_5822
; %bb.5815:                             ;   in Loop: Header=BB4_5228 Depth=4
	v_cmp_ne_u32_e32 vcc, s96, v3
	v_bfrev_b32_e32 v2, 1
	s_and_saveexec_b64 s[38:39], vcc
	s_cbranch_execz .LBB4_5821
; %bb.5816:                             ;   in Loop: Header=BB4_5228 Depth=4
	v_and_b32_e32 v1, 0x7c, v3
	v_and_b32_e32 v0, 3, v3
	v_cmp_ne_u32_e32 vcc, s85, v1
                                        ; implicit-def: $vgpr2
	s_and_saveexec_b64 s[40:41], vcc
	s_xor_b64 s[40:41], exec, s[40:41]
	s_cbranch_execz .LBB4_5818
; %bb.5817:                             ;   in Loop: Header=BB4_5228 Depth=4
	v_ffbh_u32_e32 v1, v0
	v_min_u32_e32 v29, 32, v1
	v_subrev_u32_e32 v1, 29, v29
	v_lshlrev_b64 v[1:2], v1, v[16:17]
	v_bfe_u32 v28, v3, 2, 5
	v_and_b32_e32 v1, 3, v1
	v_cmp_eq_u32_e32 vcc, 0, v28
	v_sub_u32_e32 v2, 30, v29
	v_cndmask_b32_e32 v0, v0, v1, vcc
	v_lshlrev_b32_e32 v1, 24, v3
	v_cndmask_b32_e32 v2, v28, v2, vcc
	v_and_b32_e32 v1, 0x80000000, v1
	v_lshl_add_u32 v1, v2, 23, v1
	v_lshl_or_b32 v0, v0, 21, v1
	v_add_u32_e32 v2, 0x38000000, v0
                                        ; implicit-def: $vgpr0
                                        ; implicit-def: $vgpr3
.LBB4_5818:                             ;   in Loop: Header=BB4_5228 Depth=4
	s_andn2_saveexec_b64 s[48:49], s[40:41]
; %bb.5819:                             ;   in Loop: Header=BB4_5228 Depth=4
	v_cmp_eq_u32_e32 vcc, 0, v0
	v_and_b32_e32 v0, 0x80, v3
	v_cmp_eq_u32_e64 s[40:41], 0, v0
	v_mov_b32_e32 v0, 0xff800000
	v_mov_b32_e32 v1, 0x7f800000
	v_cndmask_b32_e64 v0, v0, v1, s[40:41]
	v_mov_b32_e32 v1, 0x7f800001
	v_cndmask_b32_e32 v2, v1, v0, vcc
; %bb.5820:                             ;   in Loop: Header=BB4_5228 Depth=4
	s_or_b64 exec, exec, s[48:49]
.LBB4_5821:                             ;   in Loop: Header=BB4_5228 Depth=4
	s_or_b64 exec, exec, s[38:39]
.LBB4_5822:                             ;   in Loop: Header=BB4_5228 Depth=4
	s_or_b64 exec, exec, s[42:43]
	v_cmp_gt_i16_sdwa s[42:43], v9, s47 src0_sel:BYTE_0 src1_sel:DWORD
	s_mov_b64 s[40:41], 0
	s_and_saveexec_b64 vcc, s[42:43]
	s_xor_b64 s[42:43], exec, vcc
	s_cbranch_execz .LBB4_5826
; %bb.5823:                             ;   in Loop: Header=BB4_5228 Depth=4
	v_cmp_eq_u16_sdwa s[38:39], v9, s96 src0_sel:BYTE_0 src1_sel:DWORD
	s_mov_b64 s[40:41], -1
	s_and_saveexec_b64 vcc, s[38:39]
; %bb.5824:                             ;   in Loop: Header=BB4_5228 Depth=4
	s_xor_b64 s[40:41], exec, -1
; %bb.5825:                             ;   in Loop: Header=BB4_5228 Depth=4
	s_or_b64 exec, exec, vcc
	s_and_b64 s[40:41], s[40:41], exec
.LBB4_5826:                             ;   in Loop: Header=BB4_5228 Depth=4
	s_or_saveexec_b64 s[42:43], s[42:43]
	v_bfrev_b32_e32 v3, 1
	s_xor_b64 exec, exec, s[42:43]
; %bb.5827:                             ;   in Loop: Header=BB4_5228 Depth=4
	v_cmp_ne_u16_sdwa vcc, v9, v17 src0_sel:BYTE_0 src1_sel:DWORD
	s_andn2_b64 s[40:41], s[40:41], exec
	s_and_b64 vcc, vcc, exec
	v_mov_b32_e32 v3, 0
	s_or_b64 s[40:41], s[40:41], vcc
; %bb.5828:                             ;   in Loop: Header=BB4_5228 Depth=4
	s_or_b64 exec, exec, s[42:43]
	v_mov_b32_e32 v0, v9
	v_mov_b32_e32 v1, v17
	s_and_saveexec_b64 s[38:39], s[40:41]
	s_cbranch_execz .LBB4_5830
; %bb.5829:                             ;   in Loop: Header=BB4_5228 Depth=4
	v_and_b32_e32 v3, 3, v9
	v_and_b32_e32 v28, 0x7c, v9
	v_cmp_eq_u32_e32 vcc, s85, v28
	v_ffbh_u32_e32 v28, v3
	v_min_u32_e32 v37, 32, v28
	v_subrev_u32_e32 v28, 29, v37
	v_bfe_u32 v35, v9, 2, 5
	v_lshlrev_b64 v[28:29], v28, v[0:1]
	v_cmp_eq_u32_e64 s[40:41], 0, v35
	v_sub_u32_e32 v1, 30, v37
	v_lshlrev_b32_e32 v29, 24, v9
	v_and_b32_e32 v28, 3, v28
	v_cndmask_b32_e64 v1, v35, v1, s[40:41]
	v_and_b32_e32 v29, 0x80000000, v29
	v_cndmask_b32_e64 v28, v3, v28, s[40:41]
	v_lshl_add_u32 v1, v1, 23, v29
	v_cmp_eq_u32_e64 s[40:41], 0, v3
	v_mov_b32_e32 v3, -1
	v_lshl_or_b32 v1, v28, 21, v1
	v_cmp_gt_i16_sdwa s[42:43], sext(v9), v3 src0_sel:BYTE_0 src1_sel:DWORD
	v_mov_b32_e32 v3, 0xff800000
	v_mov_b32_e32 v28, 0x7f800000
	v_cndmask_b32_e64 v3, v3, v28, s[42:43]
	v_mov_b32_e32 v28, 0x7f800001
	v_add_u32_e32 v1, 0x38000000, v1
	v_cndmask_b32_e64 v3, v28, v3, s[40:41]
	v_cndmask_b32_e32 v3, v1, v3, vcc
.LBB4_5830:                             ;   in Loop: Header=BB4_5228 Depth=4
	s_or_b64 exec, exec, s[38:39]
	v_add_f32_e32 v3, v2, v3
	v_and_b32_e32 v28, 0x7f800000, v3
	v_mov_b32_e32 v29, v17
	v_cmp_ne_u64_e32 vcc, s[76:77], v[28:29]
	v_and_b32_e32 v1, 0x7fffff, v3
	v_mov_b32_e32 v2, v17
                                        ; implicit-def: $vgpr35
	s_and_saveexec_b64 s[40:41], vcc
	s_xor_b64 s[42:43], exec, s[40:41]
	s_cbranch_execz .LBB4_5844
; %bb.5831:                             ;   in Loop: Header=BB4_5228 Depth=4
	v_and_b32_e32 v28, 0x7fffffff, v3
	v_mov_b32_e32 v29, v17
	v_cmp_gt_u64_e32 vcc, s[78:79], v[28:29]
	v_and_b32_sdwa v37, v3, s96 dst_sel:DWORD dst_unused:UNUSED_PAD src0_sel:BYTE_3 src1_sel:DWORD
                                        ; implicit-def: $vgpr35
	s_and_saveexec_b64 s[40:41], vcc
	s_xor_b64 s[38:39], exec, s[40:41]
	s_cbranch_execz .LBB4_5841
; %bb.5832:                             ;   in Loop: Header=BB4_5228 Depth=4
	v_mov_b32_e32 v35, 0
	v_cmp_ne_u32_e32 vcc, 0, v3
	s_and_saveexec_b64 s[48:49], vcc
	s_cbranch_execz .LBB4_5840
; %bb.5833:                             ;   in Loop: Header=BB4_5228 Depth=4
	v_bfe_u32 v35, v3, 23, 8
	v_cmp_gt_u32_e64 s[40:41], s46, v35
	v_sub_u32_e32 v3, 0x71, v35
	v_cmp_eq_u32_e32 vcc, 0, v35
	v_cndmask_b32_e64 v3, 0, v3, s[40:41]
	v_mov_b32_e32 v29, 0x70
	v_cndmask_b32_e32 v38, v3, v29, vcc
	v_or_b32_e32 v28, 0x800000, v1
	v_add_u32_e32 v3, 21, v38
	v_cndmask_b32_e32 v1, v28, v1, vcc
	v_lshlrev_b64 v[28:29], v3, -1
	v_add_u32_e32 v3, 20, v38
	v_bfi_b32 v28, v28, 0, v1
	v_lshlrev_b64 v[48:49], v3, 1
	v_lshrrev_b64 v[1:2], v38, v[1:2]
	v_bfi_b32 v29, v29, 0, 0
	v_cmp_eq_u64_e64 s[40:41], v[28:29], v[48:49]
	v_mov_b32_e32 v3, v2
	v_mov_b32_e32 v2, v1
	s_and_saveexec_b64 s[50:51], s[40:41]
; %bb.5834:                             ;   in Loop: Header=BB4_5228 Depth=4
	v_bfe_u32 v2, v1, 21, 1
	v_add_co_u32_e64 v2, s[40:41], v1, v2
	v_add_co_u32_e64 v2, s[40:41], -1, v2
; %bb.5835:                             ;   in Loop: Header=BB4_5228 Depth=4
	s_or_b64 exec, exec, s[50:51]
	v_add_u32_e32 v3, 0xffffff81, v35
	v_mov_b32_e32 v28, 0xffffff82
	v_cndmask_b32_e32 v3, v3, v28, vcc
	v_lshrrev_b32_e32 v28, 23, v1
	v_add3_u32 v38, v38, v3, v28
	v_add_u32_e32 v35, 14, v38
	v_and_b32_e32 v2, 0x1fffff, v2
	v_add_u32_e32 v1, v2, v1
	v_mov_b32_e32 v2, v17
	v_cmp_ne_u32_e32 vcc, 0, v35
                                        ; implicit-def: $vgpr3
	s_and_saveexec_b64 s[40:41], vcc
	s_xor_b64 s[40:41], exec, s[40:41]
; %bb.5836:                             ;   in Loop: Header=BB4_5228 Depth=4
	v_cmp_lt_u64_e32 vcc, s[88:89], v[1:2]
	v_add_u32_e32 v3, 15, v38
	v_cndmask_b32_e64 v28, 0, 1, vcc
	v_cndmask_b32_e32 v3, v35, v3, vcc
	v_lshrrev_b64 v[1:2], v28, v[1:2]
; %bb.5837:                             ;   in Loop: Header=BB4_5228 Depth=4
	s_andn2_saveexec_b64 s[40:41], s[40:41]
; %bb.5838:                             ;   in Loop: Header=BB4_5228 Depth=4
	v_bfe_u32 v3, v1, 23, 1
; %bb.5839:                             ;   in Loop: Header=BB4_5228 Depth=4
	s_or_b64 exec, exec, s[40:41]
	v_lshrrev_b64 v[1:2], 21, v[1:2]
	v_cmp_gt_i32_e32 vcc, 32, v3
	v_cndmask_b32_e32 v2, 0, v2, vcc
	v_cndmask_b32_e32 v1, 3, v1, vcc
	v_cmp_eq_u64_e64 s[40:41], 0, v[1:2]
	v_min_i32_e32 v2, 31, v3
	v_lshlrev_b32_e32 v2, 2, v2
	v_cmp_eq_u32_e32 vcc, 0, v3
	v_and_b32_e32 v2, 0xfc, v2
	v_and_or_b32 v1, v1, 3, v2
	s_and_b64 s[40:41], vcc, s[40:41]
	v_cndmask_b32_e64 v1, v1, 0, s[40:41]
	v_or_b32_e32 v35, v1, v37
.LBB4_5840:                             ;   in Loop: Header=BB4_5228 Depth=4
	s_or_b64 exec, exec, s[48:49]
                                        ; implicit-def: $vgpr37
.LBB4_5841:                             ;   in Loop: Header=BB4_5228 Depth=4
	s_andn2_saveexec_b64 s[40:41], s[38:39]
; %bb.5842:                             ;   in Loop: Header=BB4_5228 Depth=4
	v_or_b32_e32 v35, 0x7b, v37
; %bb.5843:                             ;   in Loop: Header=BB4_5228 Depth=4
	s_or_b64 exec, exec, s[40:41]
                                        ; implicit-def: $vgpr3
                                        ; implicit-def: $vgpr1_vgpr2
.LBB4_5844:                             ;   in Loop: Header=BB4_5228 Depth=4
	s_andn2_saveexec_b64 s[40:41], s[42:43]
	s_cbranch_execz .LBB4_5850
; %bb.5845:                             ;   in Loop: Header=BB4_5228 Depth=4
	v_cmp_ne_u64_e32 vcc, 0, v[1:2]
                                        ; implicit-def: $vgpr35
	s_and_saveexec_b64 s[42:43], vcc
	s_xor_b64 s[42:43], exec, s[42:43]
; %bb.5846:                             ;   in Loop: Header=BB4_5228 Depth=4
	v_or_b32_sdwa v35, v3, s47 dst_sel:DWORD dst_unused:UNUSED_PAD src0_sel:BYTE_3 src1_sel:DWORD
                                        ; implicit-def: $vgpr3
; %bb.5847:                             ;   in Loop: Header=BB4_5228 Depth=4
	s_andn2_saveexec_b64 s[42:43], s[42:43]
; %bb.5848:                             ;   in Loop: Header=BB4_5228 Depth=4
	v_cmp_lt_i32_e32 vcc, -1, v3
	v_bfrev_b32_e32 v1, 0.5
	v_cndmask_b32_e32 v35, v1, v52, vcc
; %bb.5849:                             ;   in Loop: Header=BB4_5228 Depth=4
	s_or_b64 exec, exec, s[42:43]
.LBB4_5850:                             ;   in Loop: Header=BB4_5228 Depth=4
	s_or_b64 exec, exec, s[40:41]
	v_lshrrev_b16_e32 v1, 8, v39
	v_cmp_ne_u16_e32 vcc, 0, v1
	v_mov_b32_e32 v3, 0
	s_and_saveexec_b64 s[40:41], vcc
	s_cbranch_execz .LBB4_5858
; %bb.5851:                             ;   in Loop: Header=BB4_5228 Depth=4
	v_cmp_ne_u16_e32 vcc, s96, v1
	v_bfrev_b32_e32 v3, 1
	s_and_saveexec_b64 s[42:43], vcc
	s_cbranch_execz .LBB4_5857
; %bb.5852:                             ;   in Loop: Header=BB4_5228 Depth=4
	v_and_b32_e32 v2, 0x7c, v1
	v_and_b32_e32 v37, 3, v1
	v_cmp_ne_u32_e32 vcc, s85, v2
                                        ; implicit-def: $vgpr3
	s_and_saveexec_b64 s[38:39], vcc
	s_xor_b64 s[38:39], exec, s[38:39]
	s_cbranch_execz .LBB4_5854
; %bb.5853:                             ;   in Loop: Header=BB4_5228 Depth=4
	v_ffbh_u32_e32 v28, v37
	v_min_u32_e32 v28, 32, v28
	v_mov_b32_e32 v2, v17
	v_subrev_u32_e32 v29, 29, v28
	v_bfe_u32 v3, v1, 2, 5
	v_lshlrev_b64 v[1:2], v29, v[1:2]
	v_sub_u32_e32 v2, 30, v28
	v_cmp_eq_u32_e32 vcc, 0, v3
	v_cndmask_b32_e32 v2, v3, v2, vcc
	v_lshlrev_b32_e32 v3, 16, v39
	v_and_b32_e32 v1, 3, v1
	v_and_b32_e32 v3, 0x80000000, v3
	v_cndmask_b32_e32 v1, v37, v1, vcc
	v_lshl_add_u32 v2, v2, 23, v3
	v_lshl_or_b32 v1, v1, 21, v2
	v_add_u32_e32 v3, 0x38000000, v1
                                        ; implicit-def: $vgpr37
                                        ; implicit-def: $vgpr39
.LBB4_5854:                             ;   in Loop: Header=BB4_5228 Depth=4
	s_andn2_saveexec_b64 s[38:39], s[38:39]
; %bb.5855:                             ;   in Loop: Header=BB4_5228 Depth=4
	v_cmp_lt_i16_e32 vcc, -1, v39
	v_mov_b32_e32 v1, 0xff800000
	v_mov_b32_e32 v2, 0x7f800000
	v_cndmask_b32_e32 v1, v1, v2, vcc
	v_cmp_eq_u32_e32 vcc, 0, v37
	v_mov_b32_e32 v2, 0x7f800001
	v_cndmask_b32_e32 v3, v2, v1, vcc
; %bb.5856:                             ;   in Loop: Header=BB4_5228 Depth=4
	s_or_b64 exec, exec, s[38:39]
.LBB4_5857:                             ;   in Loop: Header=BB4_5228 Depth=4
	s_or_b64 exec, exec, s[42:43]
.LBB4_5858:                             ;   in Loop: Header=BB4_5228 Depth=4
	s_or_b64 exec, exec, s[40:41]
	v_lshrrev_b16_e32 v1, 8, v0
	v_cmp_lt_i16_e32 vcc, s47, v1
	s_mov_b64 s[40:41], 0
	s_and_saveexec_b64 s[42:43], vcc
	s_xor_b64 s[42:43], exec, s[42:43]
	s_cbranch_execz .LBB4_6213
; %bb.5859:                             ;   in Loop: Header=BB4_5228 Depth=4
	v_cmp_eq_u16_e32 vcc, s96, v1
	s_mov_b64 s[40:41], -1
	s_and_saveexec_b64 s[38:39], vcc
; %bb.5860:                             ;   in Loop: Header=BB4_5228 Depth=4
	s_xor_b64 s[40:41], exec, -1
; %bb.5861:                             ;   in Loop: Header=BB4_5228 Depth=4
	s_or_b64 exec, exec, s[38:39]
	s_and_b64 s[40:41], s[40:41], exec
	s_or_saveexec_b64 s[42:43], s[42:43]
	v_bfrev_b32_e32 v2, 1
	s_xor_b64 exec, exec, s[42:43]
	s_cbranch_execnz .LBB4_6214
.LBB4_5862:                             ;   in Loop: Header=BB4_5228 Depth=4
	s_or_b64 exec, exec, s[42:43]
	s_and_saveexec_b64 s[38:39], s[40:41]
	s_cbranch_execz .LBB4_5864
.LBB4_5863:                             ;   in Loop: Header=BB4_5228 Depth=4
	v_and_b32_e32 v37, 3, v1
	v_and_b32_e32 v28, 0x7c, v1
	v_cmp_eq_u32_e32 vcc, s85, v28
	v_ffbh_u32_e32 v28, v37
	v_min_u32_e32 v39, 32, v28
	v_mov_b32_e32 v2, v17
	v_subrev_u32_e32 v28, 29, v39
	v_bfe_u32 v38, v1, 2, 5
	v_lshlrev_b64 v[28:29], v28, v[1:2]
	v_cmp_eq_u32_e64 s[40:41], 0, v38
	v_sub_u32_e32 v2, 30, v39
	v_lshlrev_b32_e32 v1, 24, v1
	v_and_b32_e32 v28, 3, v28
	v_cndmask_b32_e64 v2, v38, v2, s[40:41]
	v_and_b32_e32 v1, 0x80000000, v1
	v_cndmask_b32_e64 v28, v37, v28, s[40:41]
	v_lshl_add_u32 v1, v2, 23, v1
	v_cmp_lt_i16_e64 s[42:43], -1, v0
	v_mov_b32_e32 v0, 0xff800000
	v_mov_b32_e32 v2, 0x7f800000
	v_lshl_or_b32 v1, v28, 21, v1
	v_cmp_eq_u32_e64 s[40:41], 0, v37
	v_cndmask_b32_e64 v0, v0, v2, s[42:43]
	v_mov_b32_e32 v2, 0x7f800001
	v_add_u32_e32 v1, 0x38000000, v1
	v_cndmask_b32_e64 v0, v2, v0, s[40:41]
	v_cndmask_b32_e32 v2, v1, v0, vcc
.LBB4_5864:                             ;   in Loop: Header=BB4_5228 Depth=4
	s_or_b64 exec, exec, s[38:39]
	v_add_f32_e32 v2, v3, v2
	v_and_b32_e32 v28, 0x7f800000, v2
	v_mov_b32_e32 v29, v17
	v_cmp_ne_u64_e32 vcc, s[76:77], v[28:29]
	v_and_b32_e32 v0, 0x7fffff, v2
	v_mov_b32_e32 v1, v17
                                        ; implicit-def: $vgpr37
	s_and_saveexec_b64 s[40:41], vcc
	s_xor_b64 s[42:43], exec, s[40:41]
	s_cbranch_execz .LBB4_5878
; %bb.5865:                             ;   in Loop: Header=BB4_5228 Depth=4
	v_and_b32_e32 v28, 0x7fffffff, v2
	v_mov_b32_e32 v29, v17
	v_cmp_gt_u64_e32 vcc, s[78:79], v[28:29]
	v_and_b32_sdwa v3, v2, s96 dst_sel:DWORD dst_unused:UNUSED_PAD src0_sel:BYTE_3 src1_sel:DWORD
                                        ; implicit-def: $vgpr37
	s_and_saveexec_b64 s[40:41], vcc
	s_xor_b64 s[38:39], exec, s[40:41]
	s_cbranch_execz .LBB4_5875
; %bb.5866:                             ;   in Loop: Header=BB4_5228 Depth=4
	v_mov_b32_e32 v37, 0
	v_cmp_ne_u32_e32 vcc, 0, v2
	s_and_saveexec_b64 s[48:49], vcc
	s_cbranch_execz .LBB4_5874
; %bb.5867:                             ;   in Loop: Header=BB4_5228 Depth=4
	v_bfe_u32 v37, v2, 23, 8
	v_cmp_gt_u32_e64 s[40:41], s46, v37
	v_sub_u32_e32 v2, 0x71, v37
	v_cmp_eq_u32_e32 vcc, 0, v37
	v_cndmask_b32_e64 v2, 0, v2, s[40:41]
	v_mov_b32_e32 v29, 0x70
	v_cndmask_b32_e32 v38, v2, v29, vcc
	v_or_b32_e32 v28, 0x800000, v0
	v_add_u32_e32 v2, 21, v38
	v_cndmask_b32_e32 v0, v28, v0, vcc
	v_lshlrev_b64 v[28:29], v2, -1
	v_add_u32_e32 v2, 20, v38
	v_bfi_b32 v28, v28, 0, v0
	v_lshlrev_b64 v[48:49], v2, 1
	v_lshrrev_b64 v[0:1], v38, v[0:1]
	v_bfi_b32 v29, v29, 0, 0
	v_cmp_eq_u64_e64 s[40:41], v[28:29], v[48:49]
	v_mov_b32_e32 v2, v1
	v_mov_b32_e32 v1, v0
	s_and_saveexec_b64 s[50:51], s[40:41]
; %bb.5868:                             ;   in Loop: Header=BB4_5228 Depth=4
	v_bfe_u32 v1, v0, 21, 1
	v_add_co_u32_e64 v1, s[40:41], v0, v1
	v_add_co_u32_e64 v1, s[40:41], -1, v1
; %bb.5869:                             ;   in Loop: Header=BB4_5228 Depth=4
	s_or_b64 exec, exec, s[50:51]
	v_add_u32_e32 v2, 0xffffff81, v37
	v_mov_b32_e32 v28, 0xffffff82
	v_cndmask_b32_e32 v2, v2, v28, vcc
	v_lshrrev_b32_e32 v28, 23, v0
	v_add3_u32 v38, v38, v2, v28
	v_add_u32_e32 v37, 14, v38
	v_and_b32_e32 v1, 0x1fffff, v1
	v_add_u32_e32 v0, v1, v0
	v_mov_b32_e32 v1, v17
	v_cmp_ne_u32_e32 vcc, 0, v37
                                        ; implicit-def: $vgpr2
	s_and_saveexec_b64 s[40:41], vcc
	s_xor_b64 s[40:41], exec, s[40:41]
; %bb.5870:                             ;   in Loop: Header=BB4_5228 Depth=4
	v_cmp_lt_u64_e32 vcc, s[88:89], v[0:1]
	v_add_u32_e32 v2, 15, v38
	v_cndmask_b32_e64 v28, 0, 1, vcc
	v_cndmask_b32_e32 v2, v37, v2, vcc
	v_lshrrev_b64 v[0:1], v28, v[0:1]
; %bb.5871:                             ;   in Loop: Header=BB4_5228 Depth=4
	s_andn2_saveexec_b64 s[40:41], s[40:41]
; %bb.5872:                             ;   in Loop: Header=BB4_5228 Depth=4
	v_bfe_u32 v2, v0, 23, 1
; %bb.5873:                             ;   in Loop: Header=BB4_5228 Depth=4
	s_or_b64 exec, exec, s[40:41]
	v_lshrrev_b64 v[0:1], 21, v[0:1]
	v_cmp_gt_i32_e32 vcc, 32, v2
	v_cndmask_b32_e32 v1, 0, v1, vcc
	v_cndmask_b32_e32 v0, 3, v0, vcc
	v_cmp_eq_u64_e64 s[40:41], 0, v[0:1]
	v_min_i32_e32 v1, 31, v2
	v_lshlrev_b32_e32 v1, 2, v1
	v_cmp_eq_u32_e32 vcc, 0, v2
	v_and_b32_e32 v1, 0xfc, v1
	v_and_or_b32 v0, v0, 3, v1
	s_and_b64 s[40:41], vcc, s[40:41]
	v_cndmask_b32_e64 v0, v0, 0, s[40:41]
	v_or_b32_e32 v37, v0, v3
.LBB4_5874:                             ;   in Loop: Header=BB4_5228 Depth=4
	s_or_b64 exec, exec, s[48:49]
                                        ; implicit-def: $vgpr3
.LBB4_5875:                             ;   in Loop: Header=BB4_5228 Depth=4
	s_andn2_saveexec_b64 s[40:41], s[38:39]
; %bb.5876:                             ;   in Loop: Header=BB4_5228 Depth=4
	v_or_b32_e32 v37, 0x7b, v3
; %bb.5877:                             ;   in Loop: Header=BB4_5228 Depth=4
	s_or_b64 exec, exec, s[40:41]
                                        ; implicit-def: $vgpr2
                                        ; implicit-def: $vgpr0_vgpr1
.LBB4_5878:                             ;   in Loop: Header=BB4_5228 Depth=4
	s_andn2_saveexec_b64 s[40:41], s[42:43]
	s_cbranch_execz .LBB4_5884
; %bb.5879:                             ;   in Loop: Header=BB4_5228 Depth=4
	v_cmp_ne_u64_e32 vcc, 0, v[0:1]
                                        ; implicit-def: $vgpr37
	s_and_saveexec_b64 s[42:43], vcc
	s_xor_b64 s[42:43], exec, s[42:43]
; %bb.5880:                             ;   in Loop: Header=BB4_5228 Depth=4
	v_or_b32_sdwa v37, v2, s47 dst_sel:DWORD dst_unused:UNUSED_PAD src0_sel:BYTE_3 src1_sel:DWORD
                                        ; implicit-def: $vgpr2
; %bb.5881:                             ;   in Loop: Header=BB4_5228 Depth=4
	s_andn2_saveexec_b64 s[42:43], s[42:43]
; %bb.5882:                             ;   in Loop: Header=BB4_5228 Depth=4
	v_cmp_lt_i32_e32 vcc, -1, v2
	v_bfrev_b32_e32 v0, 0.5
	v_cndmask_b32_e32 v37, v0, v52, vcc
; %bb.5883:                             ;   in Loop: Header=BB4_5228 Depth=4
	s_or_b64 exec, exec, s[42:43]
.LBB4_5884:                             ;   in Loop: Header=BB4_5228 Depth=4
	s_or_b64 exec, exec, s[40:41]
	v_and_b32_sdwa v2, v16, s87 dst_sel:DWORD dst_unused:UNUSED_PAD src0_sel:WORD_1 src1_sel:DWORD
	v_lshrrev_b32_e32 v0, 16, v16
	v_cmp_ne_u16_e32 vcc, 0, v2
	v_mov_b32_e32 v1, 0
	s_and_saveexec_b64 s[40:41], vcc
	s_cbranch_execz .LBB4_5892
; %bb.5885:                             ;   in Loop: Header=BB4_5228 Depth=4
	v_cmp_ne_u16_e32 vcc, s96, v2
	v_bfrev_b32_e32 v1, 1
	s_and_saveexec_b64 s[42:43], vcc
	s_cbranch_execz .LBB4_5891
; %bb.5886:                             ;   in Loop: Header=BB4_5228 Depth=4
	v_and_b32_e32 v1, 0x7c0000, v16
	v_bfe_u32 v2, v16, 16, 2
	v_cmp_ne_u32_e32 vcc, s44, v1
                                        ; implicit-def: $vgpr1
	s_and_saveexec_b64 s[38:39], vcc
	s_xor_b64 s[38:39], exec, s[38:39]
	s_cbranch_execz .LBB4_5888
; %bb.5887:                             ;   in Loop: Header=BB4_5228 Depth=4
	v_ffbh_u32_e32 v1, v2
	v_min_u32_e32 v28, 32, v1
	v_subrev_u32_e32 v1, 29, v28
	v_lshlrev_b64 v[0:1], v1, v[0:1]
	v_bfe_u32 v3, v16, 18, 5
	v_and_b32_e32 v0, 3, v0
	v_cmp_eq_u32_e32 vcc, 0, v3
	v_sub_u32_e32 v1, 30, v28
	v_cndmask_b32_e32 v0, v2, v0, vcc
	v_lshlrev_b32_e32 v2, 8, v16
	v_cndmask_b32_e32 v1, v3, v1, vcc
	v_and_b32_e32 v2, 0x80000000, v2
	v_lshl_add_u32 v1, v1, 23, v2
	v_lshl_or_b32 v0, v0, 21, v1
	v_add_u32_e32 v1, 0x38000000, v0
                                        ; implicit-def: $vgpr2
                                        ; implicit-def: $vgpr0
.LBB4_5888:                             ;   in Loop: Header=BB4_5228 Depth=4
	s_andn2_saveexec_b64 s[38:39], s[38:39]
; %bb.5889:                             ;   in Loop: Header=BB4_5228 Depth=4
	v_mov_b32_e32 v1, -1
	v_cmp_gt_i16_sdwa vcc, sext(v0), v1 src0_sel:BYTE_0 src1_sel:DWORD
	v_mov_b32_e32 v0, 0xff800000
	v_mov_b32_e32 v1, 0x7f800000
	v_cndmask_b32_e32 v0, v0, v1, vcc
	v_cmp_eq_u32_e32 vcc, 0, v2
	v_mov_b32_e32 v1, 0x7f800001
	v_cndmask_b32_e32 v1, v1, v0, vcc
; %bb.5890:                             ;   in Loop: Header=BB4_5228 Depth=4
	s_or_b64 exec, exec, s[38:39]
.LBB4_5891:                             ;   in Loop: Header=BB4_5228 Depth=4
	s_or_b64 exec, exec, s[42:43]
.LBB4_5892:                             ;   in Loop: Header=BB4_5228 Depth=4
	s_or_b64 exec, exec, s[40:41]
	v_lshrrev_b32_e32 v0, 16, v9
	v_cmp_gt_i16_sdwa s[42:43], v0, s47 src0_sel:BYTE_0 src1_sel:DWORD
	s_mov_b64 s[40:41], 0
	s_and_saveexec_b64 vcc, s[42:43]
	s_xor_b64 s[42:43], exec, vcc
	s_cbranch_execz .LBB4_6215
; %bb.5893:                             ;   in Loop: Header=BB4_5228 Depth=4
	v_cmp_eq_u16_sdwa s[38:39], v0, s96 src0_sel:BYTE_0 src1_sel:DWORD
	s_mov_b64 s[40:41], -1
	s_and_saveexec_b64 vcc, s[38:39]
; %bb.5894:                             ;   in Loop: Header=BB4_5228 Depth=4
	s_xor_b64 s[40:41], exec, -1
; %bb.5895:                             ;   in Loop: Header=BB4_5228 Depth=4
	s_or_b64 exec, exec, vcc
	s_and_b64 s[40:41], s[40:41], exec
	s_or_saveexec_b64 s[42:43], s[42:43]
	v_bfrev_b32_e32 v2, 1
	s_xor_b64 exec, exec, s[42:43]
	s_cbranch_execnz .LBB4_6216
.LBB4_5896:                             ;   in Loop: Header=BB4_5228 Depth=4
	s_or_b64 exec, exec, s[42:43]
	s_and_saveexec_b64 s[38:39], s[40:41]
	s_cbranch_execz .LBB4_5898
.LBB4_5897:                             ;   in Loop: Header=BB4_5228 Depth=4
	v_and_b32_e32 v28, 3, v0
	v_and_b32_e32 v2, 0x7c0000, v9
	v_cmp_eq_u32_e32 vcc, s44, v2
	v_ffbh_u32_e32 v2, v28
	v_min_u32_e32 v38, 32, v2
	v_subrev_u32_e32 v2, 29, v38
	v_bfe_u32 v29, v9, 18, 5
	v_lshlrev_b64 v[2:3], v2, v[0:1]
	v_cmp_eq_u32_e64 s[40:41], 0, v29
	v_sub_u32_e32 v3, 30, v38
	v_cndmask_b32_e64 v3, v29, v3, s[40:41]
	v_lshlrev_b32_e32 v29, 24, v0
	v_and_b32_e32 v2, 3, v2
	v_and_b32_e32 v29, 0x80000000, v29
	v_cndmask_b32_e64 v2, v28, v2, s[40:41]
	v_lshl_add_u32 v3, v3, 23, v29
	v_lshl_or_b32 v2, v2, 21, v3
	v_mov_b32_e32 v3, -1
	v_cmp_gt_i16_sdwa s[42:43], sext(v0), v3 src0_sel:BYTE_0 src1_sel:DWORD
	v_mov_b32_e32 v0, 0xff800000
	v_mov_b32_e32 v3, 0x7f800000
	v_cmp_eq_u32_e64 s[40:41], 0, v28
	v_cndmask_b32_e64 v0, v0, v3, s[42:43]
	v_mov_b32_e32 v3, 0x7f800001
	v_add_u32_e32 v2, 0x38000000, v2
	v_cndmask_b32_e64 v0, v3, v0, s[40:41]
	v_cndmask_b32_e32 v2, v2, v0, vcc
.LBB4_5898:                             ;   in Loop: Header=BB4_5228 Depth=4
	s_or_b64 exec, exec, s[38:39]
	v_add_f32_e32 v2, v1, v2
	v_and_b32_e32 v28, 0x7f800000, v2
	v_mov_b32_e32 v29, v17
	v_cmp_ne_u64_e32 vcc, s[76:77], v[28:29]
	v_and_b32_e32 v0, 0x7fffff, v2
	v_mov_b32_e32 v1, v17
                                        ; implicit-def: $vgpr38
	s_and_saveexec_b64 s[40:41], vcc
	s_xor_b64 s[42:43], exec, s[40:41]
	s_cbranch_execz .LBB4_5912
; %bb.5899:                             ;   in Loop: Header=BB4_5228 Depth=4
	v_and_b32_e32 v28, 0x7fffffff, v2
	v_mov_b32_e32 v29, v17
	v_cmp_gt_u64_e32 vcc, s[78:79], v[28:29]
	v_and_b32_sdwa v3, v2, s96 dst_sel:DWORD dst_unused:UNUSED_PAD src0_sel:BYTE_3 src1_sel:DWORD
                                        ; implicit-def: $vgpr38
	s_and_saveexec_b64 s[40:41], vcc
	s_xor_b64 s[38:39], exec, s[40:41]
	s_cbranch_execz .LBB4_5909
; %bb.5900:                             ;   in Loop: Header=BB4_5228 Depth=4
	v_mov_b32_e32 v38, 0
	v_cmp_ne_u32_e32 vcc, 0, v2
	s_and_saveexec_b64 s[48:49], vcc
	s_cbranch_execz .LBB4_5908
; %bb.5901:                             ;   in Loop: Header=BB4_5228 Depth=4
	v_bfe_u32 v38, v2, 23, 8
	v_cmp_gt_u32_e64 s[40:41], s46, v38
	v_sub_u32_e32 v2, 0x71, v38
	v_cmp_eq_u32_e32 vcc, 0, v38
	v_cndmask_b32_e64 v2, 0, v2, s[40:41]
	v_mov_b32_e32 v29, 0x70
	v_cndmask_b32_e32 v39, v2, v29, vcc
	v_or_b32_e32 v28, 0x800000, v0
	v_add_u32_e32 v2, 21, v39
	v_cndmask_b32_e32 v0, v28, v0, vcc
	v_lshlrev_b64 v[28:29], v2, -1
	v_add_u32_e32 v2, 20, v39
	v_bfi_b32 v28, v28, 0, v0
	v_lshlrev_b64 v[48:49], v2, 1
	v_lshrrev_b64 v[0:1], v39, v[0:1]
	v_bfi_b32 v29, v29, 0, 0
	v_cmp_eq_u64_e64 s[40:41], v[28:29], v[48:49]
	v_mov_b32_e32 v2, v1
	v_mov_b32_e32 v1, v0
	s_and_saveexec_b64 s[50:51], s[40:41]
; %bb.5902:                             ;   in Loop: Header=BB4_5228 Depth=4
	v_bfe_u32 v1, v0, 21, 1
	v_add_co_u32_e64 v1, s[40:41], v0, v1
	v_add_co_u32_e64 v1, s[40:41], -1, v1
; %bb.5903:                             ;   in Loop: Header=BB4_5228 Depth=4
	s_or_b64 exec, exec, s[50:51]
	v_add_u32_e32 v2, 0xffffff81, v38
	v_mov_b32_e32 v28, 0xffffff82
	v_cndmask_b32_e32 v2, v2, v28, vcc
	v_lshrrev_b32_e32 v28, 23, v0
	v_add3_u32 v39, v39, v2, v28
	v_add_u32_e32 v38, 14, v39
	v_and_b32_e32 v1, 0x1fffff, v1
	v_add_u32_e32 v0, v1, v0
	v_mov_b32_e32 v1, v17
	v_cmp_ne_u32_e32 vcc, 0, v38
                                        ; implicit-def: $vgpr2
	s_and_saveexec_b64 s[40:41], vcc
	s_xor_b64 s[40:41], exec, s[40:41]
; %bb.5904:                             ;   in Loop: Header=BB4_5228 Depth=4
	v_cmp_lt_u64_e32 vcc, s[88:89], v[0:1]
	v_add_u32_e32 v2, 15, v39
	v_cndmask_b32_e64 v28, 0, 1, vcc
	v_cndmask_b32_e32 v2, v38, v2, vcc
	v_lshrrev_b64 v[0:1], v28, v[0:1]
; %bb.5905:                             ;   in Loop: Header=BB4_5228 Depth=4
	s_andn2_saveexec_b64 s[40:41], s[40:41]
; %bb.5906:                             ;   in Loop: Header=BB4_5228 Depth=4
	v_bfe_u32 v2, v0, 23, 1
; %bb.5907:                             ;   in Loop: Header=BB4_5228 Depth=4
	s_or_b64 exec, exec, s[40:41]
	v_lshrrev_b64 v[0:1], 21, v[0:1]
	v_cmp_gt_i32_e32 vcc, 32, v2
	v_cndmask_b32_e32 v1, 0, v1, vcc
	v_cndmask_b32_e32 v0, 3, v0, vcc
	v_cmp_eq_u64_e64 s[40:41], 0, v[0:1]
	v_min_i32_e32 v1, 31, v2
	v_lshlrev_b32_e32 v1, 2, v1
	v_cmp_eq_u32_e32 vcc, 0, v2
	v_and_b32_e32 v1, 0xfc, v1
	v_and_or_b32 v0, v0, 3, v1
	s_and_b64 s[40:41], vcc, s[40:41]
	v_cndmask_b32_e64 v0, v0, 0, s[40:41]
	v_or_b32_e32 v38, v0, v3
.LBB4_5908:                             ;   in Loop: Header=BB4_5228 Depth=4
	s_or_b64 exec, exec, s[48:49]
                                        ; implicit-def: $vgpr3
.LBB4_5909:                             ;   in Loop: Header=BB4_5228 Depth=4
	s_andn2_saveexec_b64 s[40:41], s[38:39]
; %bb.5910:                             ;   in Loop: Header=BB4_5228 Depth=4
	v_or_b32_e32 v38, 0x7b, v3
; %bb.5911:                             ;   in Loop: Header=BB4_5228 Depth=4
	s_or_b64 exec, exec, s[40:41]
                                        ; implicit-def: $vgpr2
                                        ; implicit-def: $vgpr0_vgpr1
.LBB4_5912:                             ;   in Loop: Header=BB4_5228 Depth=4
	s_andn2_saveexec_b64 s[40:41], s[42:43]
	s_cbranch_execz .LBB4_5918
; %bb.5913:                             ;   in Loop: Header=BB4_5228 Depth=4
	v_cmp_ne_u64_e32 vcc, 0, v[0:1]
                                        ; implicit-def: $vgpr38
	s_and_saveexec_b64 s[42:43], vcc
	s_xor_b64 s[42:43], exec, s[42:43]
; %bb.5914:                             ;   in Loop: Header=BB4_5228 Depth=4
	v_or_b32_sdwa v38, v2, s47 dst_sel:DWORD dst_unused:UNUSED_PAD src0_sel:BYTE_3 src1_sel:DWORD
                                        ; implicit-def: $vgpr2
; %bb.5915:                             ;   in Loop: Header=BB4_5228 Depth=4
	s_andn2_saveexec_b64 s[42:43], s[42:43]
; %bb.5916:                             ;   in Loop: Header=BB4_5228 Depth=4
	v_cmp_lt_i32_e32 vcc, -1, v2
	v_bfrev_b32_e32 v0, 0.5
	v_cndmask_b32_e32 v38, v0, v52, vcc
; %bb.5917:                             ;   in Loop: Header=BB4_5228 Depth=4
	s_or_b64 exec, exec, s[42:43]
.LBB4_5918:                             ;   in Loop: Header=BB4_5228 Depth=4
	s_or_b64 exec, exec, s[40:41]
	v_cmp_lt_u32_e32 vcc, s57, v16
	v_mov_b32_e32 v1, 0
	s_and_saveexec_b64 s[40:41], vcc
	s_cbranch_execz .LBB4_5926
; %bb.5919:                             ;   in Loop: Header=BB4_5228 Depth=4
	v_lshrrev_b32_e32 v0, 24, v16
	v_cmp_ne_u32_e32 vcc, s96, v0
	v_bfrev_b32_e32 v1, 1
	s_and_saveexec_b64 s[42:43], vcc
	s_cbranch_execz .LBB4_5925
; %bb.5920:                             ;   in Loop: Header=BB4_5228 Depth=4
	v_and_b32_e32 v1, 0x7c000000, v16
	v_bfe_u32 v2, v16, 24, 2
	v_cmp_ne_u32_e32 vcc, s45, v1
                                        ; implicit-def: $vgpr1
	s_and_saveexec_b64 s[38:39], vcc
	s_xor_b64 s[38:39], exec, s[38:39]
	s_cbranch_execz .LBB4_5922
; %bb.5921:                             ;   in Loop: Header=BB4_5228 Depth=4
	v_ffbh_u32_e32 v1, v2
	v_min_u32_e32 v28, 32, v1
	v_subrev_u32_e32 v1, 29, v28
	v_lshlrev_b64 v[0:1], v1, v[0:1]
	v_bfe_u32 v3, v16, 26, 5
	v_sub_u32_e32 v1, 30, v28
	v_and_b32_e32 v0, 3, v0
	v_cmp_eq_u32_e32 vcc, 0, v3
	v_cndmask_b32_e32 v1, v3, v1, vcc
	v_cndmask_b32_e32 v0, v2, v0, vcc
	v_and_b32_e32 v2, 0x80000000, v16
	v_lshl_add_u32 v1, v1, 23, v2
	v_lshl_or_b32 v0, v0, 21, v1
	v_add_u32_e32 v1, 0x38000000, v0
                                        ; implicit-def: $vgpr2
.LBB4_5922:                             ;   in Loop: Header=BB4_5228 Depth=4
	s_andn2_saveexec_b64 s[38:39], s[38:39]
; %bb.5923:                             ;   in Loop: Header=BB4_5228 Depth=4
	v_cmp_lt_i32_e32 vcc, -1, v16
	v_mov_b32_e32 v0, 0xff800000
	v_mov_b32_e32 v1, 0x7f800000
	v_cndmask_b32_e32 v0, v0, v1, vcc
	v_cmp_eq_u32_e32 vcc, 0, v2
	v_mov_b32_e32 v1, 0x7f800001
	v_cndmask_b32_e32 v1, v1, v0, vcc
; %bb.5924:                             ;   in Loop: Header=BB4_5228 Depth=4
	s_or_b64 exec, exec, s[38:39]
.LBB4_5925:                             ;   in Loop: Header=BB4_5228 Depth=4
	s_or_b64 exec, exec, s[42:43]
.LBB4_5926:                             ;   in Loop: Header=BB4_5228 Depth=4
	s_or_b64 exec, exec, s[40:41]
	v_bfe_u32 v16, v9, 24, 2
	v_and_b32_e32 v2, 0x7c000000, v9
	v_cmp_eq_u32_e32 vcc, s45, v2
	v_ffbh_u32_e32 v2, v16
	v_min_u32_e32 v29, 32, v2
	v_lshrrev_b32_e32 v0, 24, v9
	v_subrev_u32_e32 v2, 29, v29
	v_bfe_u32 v28, v9, 26, 5
	v_lshlrev_b64 v[2:3], v2, v[0:1]
	v_cmp_eq_u32_e64 s[40:41], 0, v28
	v_sub_u32_e32 v3, 30, v29
	v_and_b32_e32 v2, 3, v2
	v_cndmask_b32_e64 v3, v28, v3, s[40:41]
	v_and_b32_e32 v28, 0x80000000, v9
	v_cndmask_b32_e64 v2, v16, v2, s[40:41]
	v_lshl_add_u32 v3, v3, 23, v28
	v_cmp_lt_i64_e64 s[42:43], -1, v[8:9]
	v_lshl_or_b32 v2, v2, 21, v3
	v_cmp_eq_u32_e64 s[40:41], 0, v16
	v_mov_b32_e32 v3, 0xff800000
	v_mov_b32_e32 v16, 0x7f800000
	v_cndmask_b32_e64 v3, v3, v16, s[42:43]
	v_mov_b32_e32 v16, 0x7f800001
	v_add_u32_e32 v2, 0x38000000, v2
	v_cndmask_b32_e64 v3, v16, v3, s[40:41]
	v_cndmask_b32_e32 v2, v2, v3, vcc
	v_cmp_ne_u32_e32 vcc, s96, v0
	v_bfrev_b32_e32 v0, 1
	v_cndmask_b32_e32 v0, v0, v2, vcc
	v_cmp_lt_u64_e32 vcc, s[56:57], v[8:9]
	v_mov_b32_e32 v2, v17
	v_cndmask_b32_e32 v0, 0, v0, vcc
	v_add_f32_e32 v0, v0, v1
	v_and_b32_e32 v1, 0x7f800000, v0
	v_cmp_ne_u64_e32 vcc, s[76:77], v[1:2]
	v_and_b32_e32 v16, 0x7fffff, v0
                                        ; implicit-def: $vgpr8
	s_and_saveexec_b64 s[40:41], vcc
	s_xor_b64 s[42:43], exec, s[40:41]
	s_cbranch_execz .LBB4_5940
; %bb.5927:                             ;   in Loop: Header=BB4_5228 Depth=4
	v_and_b32_e32 v1, 0x7fffffff, v0
	v_mov_b32_e32 v2, v17
	v_cmp_gt_u64_e32 vcc, s[78:79], v[1:2]
	v_and_b32_sdwa v3, v0, s96 dst_sel:DWORD dst_unused:UNUSED_PAD src0_sel:BYTE_3 src1_sel:DWORD
                                        ; implicit-def: $vgpr8
	s_and_saveexec_b64 s[40:41], vcc
	s_xor_b64 s[38:39], exec, s[40:41]
	s_cbranch_execz .LBB4_5937
; %bb.5928:                             ;   in Loop: Header=BB4_5228 Depth=4
	v_mov_b32_e32 v8, 0
	v_cmp_ne_u32_e32 vcc, 0, v0
	s_and_saveexec_b64 s[48:49], vcc
	s_cbranch_execz .LBB4_5936
; %bb.5929:                             ;   in Loop: Header=BB4_5228 Depth=4
	v_bfe_u32 v8, v0, 23, 8
	v_cmp_gt_u32_e64 s[40:41], s46, v8
	v_sub_u32_e32 v0, 0x71, v8
	v_cmp_eq_u32_e32 vcc, 0, v8
	v_cndmask_b32_e64 v0, 0, v0, s[40:41]
	v_mov_b32_e32 v2, 0x70
	v_cndmask_b32_e32 v9, v0, v2, vcc
	v_add_u32_e32 v2, 21, v9
	v_or_b32_e32 v1, 0x800000, v16
	v_lshlrev_b64 v[28:29], v2, -1
	v_cndmask_b32_e32 v0, v1, v16, vcc
	v_mov_b32_e32 v1, v17
	v_add_u32_e32 v2, 20, v9
	v_bfi_b32 v28, v28, 0, v0
	v_lshlrev_b64 v[48:49], v2, 1
	v_lshrrev_b64 v[0:1], v9, v[0:1]
	v_bfi_b32 v29, v29, 0, 0
	v_cmp_eq_u64_e64 s[40:41], v[28:29], v[48:49]
	v_mov_b32_e32 v2, v1
	v_mov_b32_e32 v1, v0
	s_and_saveexec_b64 s[50:51], s[40:41]
; %bb.5930:                             ;   in Loop: Header=BB4_5228 Depth=4
	v_bfe_u32 v1, v0, 21, 1
	v_add_co_u32_e64 v1, s[40:41], v0, v1
	v_add_co_u32_e64 v1, s[40:41], -1, v1
; %bb.5931:                             ;   in Loop: Header=BB4_5228 Depth=4
	s_or_b64 exec, exec, s[50:51]
	v_add_u32_e32 v2, 0xffffff81, v8
	v_mov_b32_e32 v8, 0xffffff82
	v_cndmask_b32_e32 v2, v2, v8, vcc
	v_lshrrev_b32_e32 v8, 23, v0
	v_add3_u32 v9, v9, v2, v8
	v_add_u32_e32 v8, 14, v9
	v_and_b32_e32 v1, 0x1fffff, v1
	v_add_u32_e32 v16, v1, v0
	v_cmp_ne_u32_e32 vcc, 0, v8
                                        ; implicit-def: $vgpr0_vgpr1
                                        ; implicit-def: $vgpr2
	s_and_saveexec_b64 s[40:41], vcc
	s_xor_b64 s[40:41], exec, s[40:41]
; %bb.5932:                             ;   in Loop: Header=BB4_5228 Depth=4
	v_cmp_lt_u64_e32 vcc, s[88:89], v[16:17]
	v_add_u32_e32 v0, 15, v9
	v_cndmask_b32_e32 v2, v8, v0, vcc
	v_cndmask_b32_e64 v0, 0, 1, vcc
	v_lshrrev_b64 v[0:1], v0, v[16:17]
; %bb.5933:                             ;   in Loop: Header=BB4_5228 Depth=4
	s_andn2_saveexec_b64 s[40:41], s[40:41]
; %bb.5934:                             ;   in Loop: Header=BB4_5228 Depth=4
	v_mov_b32_e32 v0, v16
	v_mov_b32_e32 v1, v17
	v_bfe_u32 v2, v16, 23, 1
; %bb.5935:                             ;   in Loop: Header=BB4_5228 Depth=4
	s_or_b64 exec, exec, s[40:41]
	v_lshrrev_b64 v[0:1], 21, v[0:1]
	v_cmp_gt_i32_e32 vcc, 32, v2
	v_cndmask_b32_e32 v1, 0, v1, vcc
	v_cndmask_b32_e32 v0, 3, v0, vcc
	v_cmp_eq_u64_e64 s[40:41], 0, v[0:1]
	v_min_i32_e32 v1, 31, v2
	v_lshlrev_b32_e32 v1, 2, v1
	v_cmp_eq_u32_e32 vcc, 0, v2
	v_and_b32_e32 v1, 0xfc, v1
	v_and_or_b32 v0, v0, 3, v1
	s_and_b64 s[40:41], vcc, s[40:41]
	v_cndmask_b32_e64 v0, v0, 0, s[40:41]
	v_or_b32_e32 v8, v0, v3
.LBB4_5936:                             ;   in Loop: Header=BB4_5228 Depth=4
	s_or_b64 exec, exec, s[48:49]
                                        ; implicit-def: $vgpr3
.LBB4_5937:                             ;   in Loop: Header=BB4_5228 Depth=4
	s_andn2_saveexec_b64 s[40:41], s[38:39]
; %bb.5938:                             ;   in Loop: Header=BB4_5228 Depth=4
	v_or_b32_e32 v8, 0x7b, v3
; %bb.5939:                             ;   in Loop: Header=BB4_5228 Depth=4
	s_or_b64 exec, exec, s[40:41]
                                        ; implicit-def: $vgpr0
.LBB4_5940:                             ;   in Loop: Header=BB4_5228 Depth=4
	s_andn2_saveexec_b64 s[40:41], s[42:43]
	s_cbranch_execz .LBB4_5946
; %bb.5941:                             ;   in Loop: Header=BB4_5228 Depth=4
	v_cmp_ne_u64_e32 vcc, 0, v[16:17]
                                        ; implicit-def: $vgpr8
	s_and_saveexec_b64 s[42:43], vcc
	s_xor_b64 s[42:43], exec, s[42:43]
; %bb.5942:                             ;   in Loop: Header=BB4_5228 Depth=4
	v_or_b32_sdwa v8, v0, s47 dst_sel:DWORD dst_unused:UNUSED_PAD src0_sel:BYTE_3 src1_sel:DWORD
                                        ; implicit-def: $vgpr0
; %bb.5943:                             ;   in Loop: Header=BB4_5228 Depth=4
	s_andn2_saveexec_b64 s[42:43], s[42:43]
; %bb.5944:                             ;   in Loop: Header=BB4_5228 Depth=4
	v_cmp_lt_i32_e32 vcc, -1, v0
	v_bfrev_b32_e32 v0, 0.5
	v_cndmask_b32_e32 v8, v0, v52, vcc
; %bb.5945:                             ;   in Loop: Header=BB4_5228 Depth=4
	s_or_b64 exec, exec, s[42:43]
.LBB4_5946:                             ;   in Loop: Header=BB4_5228 Depth=4
	s_or_b64 exec, exec, s[40:41]
	v_lshl_or_b32 v3, v31, 8, v25
	v_lshlrev_b32_e32 v0, 16, v34
	v_lshlrev_b32_e32 v1, 24, v36
	v_or3_b32 v16, v0, v1, v3
	v_cmp_ne_u32_e32 vcc, 0, v25
	v_mov_b32_e32 v0, 0
	s_and_saveexec_b64 s[42:43], vcc
	s_cbranch_execz .LBB4_5954
; %bb.5947:                             ;   in Loop: Header=BB4_5228 Depth=4
	v_cmp_ne_u32_e32 vcc, s96, v25
	v_bfrev_b32_e32 v0, 1
	s_and_saveexec_b64 s[38:39], vcc
	s_cbranch_execz .LBB4_5953
; %bb.5948:                             ;   in Loop: Header=BB4_5228 Depth=4
	v_and_b32_e32 v0, 0x7c, v25
	v_and_b32_e32 v1, 3, v25
	v_cmp_ne_u32_e32 vcc, s85, v0
                                        ; implicit-def: $vgpr0
	s_and_saveexec_b64 s[40:41], vcc
	s_xor_b64 s[40:41], exec, s[40:41]
	s_cbranch_execz .LBB4_5950
; %bb.5949:                             ;   in Loop: Header=BB4_5228 Depth=4
	v_ffbh_u32_e32 v2, v1
	v_min_u32_e32 v2, 32, v2
	v_bfe_u32 v0, v25, 2, 5
	v_subrev_u32_e32 v9, 29, v2
	v_lshlrev_b64 v[28:29], v9, v[16:17]
	v_sub_u32_e32 v2, 30, v2
	v_cmp_eq_u32_e32 vcc, 0, v0
	v_cndmask_b32_e32 v0, v0, v2, vcc
	v_lshlrev_b32_e32 v2, 24, v25
	v_and_b32_e32 v9, 3, v28
	v_and_b32_e32 v2, 0x80000000, v2
	v_cndmask_b32_e32 v1, v1, v9, vcc
	v_lshl_add_u32 v0, v0, 23, v2
	v_lshl_or_b32 v0, v1, 21, v0
	v_add_u32_e32 v0, 0x38000000, v0
                                        ; implicit-def: $vgpr1
                                        ; implicit-def: $vgpr25
.LBB4_5950:                             ;   in Loop: Header=BB4_5228 Depth=4
	s_andn2_saveexec_b64 s[48:49], s[40:41]
; %bb.5951:                             ;   in Loop: Header=BB4_5228 Depth=4
	v_and_b32_e32 v0, 0x80, v25
	v_cmp_eq_u32_e32 vcc, 0, v1
	v_cmp_eq_u32_e64 s[40:41], 0, v0
	v_mov_b32_e32 v0, 0xff800000
	v_mov_b32_e32 v1, 0x7f800000
	v_cndmask_b32_e64 v0, v0, v1, s[40:41]
	v_mov_b32_e32 v1, 0x7f800001
	v_cndmask_b32_e32 v0, v1, v0, vcc
; %bb.5952:                             ;   in Loop: Header=BB4_5228 Depth=4
	s_or_b64 exec, exec, s[48:49]
.LBB4_5953:                             ;   in Loop: Header=BB4_5228 Depth=4
	s_or_b64 exec, exec, s[38:39]
.LBB4_5954:                             ;   in Loop: Header=BB4_5228 Depth=4
	s_or_b64 exec, exec, s[42:43]
	v_cmp_gt_i16_sdwa s[42:43], v10, s47 src0_sel:BYTE_0 src1_sel:DWORD
	s_mov_b64 s[40:41], 0
	s_and_saveexec_b64 vcc, s[42:43]
	s_xor_b64 s[42:43], exec, vcc
	s_cbranch_execz .LBB4_6217
; %bb.5955:                             ;   in Loop: Header=BB4_5228 Depth=4
	v_cmp_eq_u16_sdwa s[38:39], v10, s96 src0_sel:BYTE_0 src1_sel:DWORD
	s_mov_b64 s[40:41], -1
	s_and_saveexec_b64 vcc, s[38:39]
; %bb.5956:                             ;   in Loop: Header=BB4_5228 Depth=4
	s_xor_b64 s[40:41], exec, -1
; %bb.5957:                             ;   in Loop: Header=BB4_5228 Depth=4
	s_or_b64 exec, exec, vcc
	s_and_b64 s[40:41], s[40:41], exec
	s_or_saveexec_b64 s[42:43], s[42:43]
	v_bfrev_b32_e32 v1, 1
	s_xor_b64 exec, exec, s[42:43]
	s_cbranch_execnz .LBB4_6218
.LBB4_5958:                             ;   in Loop: Header=BB4_5228 Depth=4
	s_or_b64 exec, exec, s[42:43]
	s_and_saveexec_b64 s[38:39], s[40:41]
	s_cbranch_execz .LBB4_5960
.LBB4_5959:                             ;   in Loop: Header=BB4_5228 Depth=4
	v_and_b32_e32 v9, 3, v10
	v_and_b32_e32 v1, 0x7c, v10
	v_cmp_eq_u32_e32 vcc, s85, v1
	v_ffbh_u32_e32 v1, v9
	v_min_u32_e32 v28, 32, v1
	v_subrev_u32_e32 v1, 29, v28
	v_bfe_u32 v25, v10, 2, 5
	v_lshlrev_b64 v[1:2], v1, v[10:11]
	v_cmp_eq_u32_e64 s[40:41], 0, v25
	v_sub_u32_e32 v2, 30, v28
	v_cndmask_b32_e64 v2, v25, v2, s[40:41]
	v_lshlrev_b32_e32 v25, 24, v10
	v_and_b32_e32 v1, 3, v1
	v_and_b32_e32 v25, 0x80000000, v25
	v_cndmask_b32_e64 v1, v9, v1, s[40:41]
	v_lshl_add_u32 v2, v2, 23, v25
	v_lshl_or_b32 v1, v1, 21, v2
	v_mov_b32_e32 v2, -1
	v_cmp_eq_u32_e64 s[40:41], 0, v9
	v_cmp_gt_i16_sdwa s[42:43], sext(v10), v2 src0_sel:BYTE_0 src1_sel:DWORD
	v_mov_b32_e32 v2, 0xff800000
	v_mov_b32_e32 v9, 0x7f800000
	v_cndmask_b32_e64 v2, v2, v9, s[42:43]
	v_mov_b32_e32 v9, 0x7f800001
	v_add_u32_e32 v1, 0x38000000, v1
	v_cndmask_b32_e64 v2, v9, v2, s[40:41]
	v_cndmask_b32_e32 v1, v1, v2, vcc
.LBB4_5960:                             ;   in Loop: Header=BB4_5228 Depth=4
	s_or_b64 exec, exec, s[38:39]
	v_add_f32_e32 v2, v0, v1
	v_and_b32_e32 v28, 0x7f800000, v2
	v_mov_b32_e32 v29, v17
	v_cmp_ne_u64_e32 vcc, s[76:77], v[28:29]
	v_and_b32_e32 v0, 0x7fffff, v2
	v_mov_b32_e32 v1, v17
                                        ; implicit-def: $vgpr9
	s_and_saveexec_b64 s[40:41], vcc
	s_xor_b64 s[42:43], exec, s[40:41]
	s_cbranch_execz .LBB4_5974
; %bb.5961:                             ;   in Loop: Header=BB4_5228 Depth=4
	v_and_b32_e32 v28, 0x7fffffff, v2
	v_mov_b32_e32 v29, v17
	v_cmp_gt_u64_e32 vcc, s[78:79], v[28:29]
	v_and_b32_sdwa v25, v2, s96 dst_sel:DWORD dst_unused:UNUSED_PAD src0_sel:BYTE_3 src1_sel:DWORD
                                        ; implicit-def: $vgpr9
	s_and_saveexec_b64 s[40:41], vcc
	s_xor_b64 s[38:39], exec, s[40:41]
	s_cbranch_execz .LBB4_5971
; %bb.5962:                             ;   in Loop: Header=BB4_5228 Depth=4
	v_mov_b32_e32 v9, 0
	v_cmp_ne_u32_e32 vcc, 0, v2
	s_and_saveexec_b64 s[48:49], vcc
	s_cbranch_execz .LBB4_5970
; %bb.5963:                             ;   in Loop: Header=BB4_5228 Depth=4
	v_bfe_u32 v9, v2, 23, 8
	v_cmp_gt_u32_e64 s[40:41], s46, v9
	v_sub_u32_e32 v2, 0x71, v9
	v_cmp_eq_u32_e32 vcc, 0, v9
	v_cndmask_b32_e64 v2, 0, v2, s[40:41]
	v_mov_b32_e32 v29, 0x70
	v_cndmask_b32_e32 v31, v2, v29, vcc
	v_or_b32_e32 v28, 0x800000, v0
	v_add_u32_e32 v2, 21, v31
	v_cndmask_b32_e32 v0, v28, v0, vcc
	v_lshlrev_b64 v[28:29], v2, -1
	v_add_u32_e32 v2, 20, v31
	v_bfi_b32 v28, v28, 0, v0
	v_lshlrev_b64 v[48:49], v2, 1
	v_lshrrev_b64 v[0:1], v31, v[0:1]
	v_bfi_b32 v29, v29, 0, 0
	v_cmp_eq_u64_e64 s[40:41], v[28:29], v[48:49]
	v_mov_b32_e32 v2, v1
	v_mov_b32_e32 v1, v0
	s_and_saveexec_b64 s[50:51], s[40:41]
; %bb.5964:                             ;   in Loop: Header=BB4_5228 Depth=4
	v_bfe_u32 v1, v0, 21, 1
	v_add_co_u32_e64 v1, s[40:41], v0, v1
	v_add_co_u32_e64 v1, s[40:41], -1, v1
; %bb.5965:                             ;   in Loop: Header=BB4_5228 Depth=4
	s_or_b64 exec, exec, s[50:51]
	v_add_u32_e32 v2, 0xffffff81, v9
	v_mov_b32_e32 v9, 0xffffff82
	v_cndmask_b32_e32 v2, v2, v9, vcc
	v_lshrrev_b32_e32 v9, 23, v0
	v_add3_u32 v31, v31, v2, v9
	v_add_u32_e32 v9, 14, v31
	v_and_b32_e32 v1, 0x1fffff, v1
	v_add_u32_e32 v0, v1, v0
	v_mov_b32_e32 v1, v17
	v_cmp_ne_u32_e32 vcc, 0, v9
                                        ; implicit-def: $vgpr2
	s_and_saveexec_b64 s[40:41], vcc
	s_xor_b64 s[40:41], exec, s[40:41]
; %bb.5966:                             ;   in Loop: Header=BB4_5228 Depth=4
	v_cmp_lt_u64_e32 vcc, s[88:89], v[0:1]
	v_add_u32_e32 v2, 15, v31
	v_cndmask_b32_e32 v2, v9, v2, vcc
	v_cndmask_b32_e64 v9, 0, 1, vcc
	v_lshrrev_b64 v[0:1], v9, v[0:1]
; %bb.5967:                             ;   in Loop: Header=BB4_5228 Depth=4
	s_andn2_saveexec_b64 s[40:41], s[40:41]
; %bb.5968:                             ;   in Loop: Header=BB4_5228 Depth=4
	v_bfe_u32 v2, v0, 23, 1
; %bb.5969:                             ;   in Loop: Header=BB4_5228 Depth=4
	s_or_b64 exec, exec, s[40:41]
	v_lshrrev_b64 v[0:1], 21, v[0:1]
	v_cmp_gt_i32_e32 vcc, 32, v2
	v_cndmask_b32_e32 v1, 0, v1, vcc
	v_cndmask_b32_e32 v0, 3, v0, vcc
	v_cmp_eq_u64_e64 s[40:41], 0, v[0:1]
	v_min_i32_e32 v1, 31, v2
	v_lshlrev_b32_e32 v1, 2, v1
	v_cmp_eq_u32_e32 vcc, 0, v2
	v_and_b32_e32 v1, 0xfc, v1
	v_and_or_b32 v0, v0, 3, v1
	s_and_b64 s[40:41], vcc, s[40:41]
	v_cndmask_b32_e64 v0, v0, 0, s[40:41]
	v_or_b32_e32 v9, v0, v25
.LBB4_5970:                             ;   in Loop: Header=BB4_5228 Depth=4
	s_or_b64 exec, exec, s[48:49]
                                        ; implicit-def: $vgpr25
.LBB4_5971:                             ;   in Loop: Header=BB4_5228 Depth=4
	s_andn2_saveexec_b64 s[40:41], s[38:39]
; %bb.5972:                             ;   in Loop: Header=BB4_5228 Depth=4
	v_or_b32_e32 v9, 0x7b, v25
; %bb.5973:                             ;   in Loop: Header=BB4_5228 Depth=4
	s_or_b64 exec, exec, s[40:41]
                                        ; implicit-def: $vgpr2
                                        ; implicit-def: $vgpr0_vgpr1
.LBB4_5974:                             ;   in Loop: Header=BB4_5228 Depth=4
	s_andn2_saveexec_b64 s[40:41], s[42:43]
	s_cbranch_execz .LBB4_5980
; %bb.5975:                             ;   in Loop: Header=BB4_5228 Depth=4
	v_cmp_ne_u64_e32 vcc, 0, v[0:1]
                                        ; implicit-def: $vgpr9
	s_and_saveexec_b64 s[42:43], vcc
	s_xor_b64 s[42:43], exec, s[42:43]
; %bb.5976:                             ;   in Loop: Header=BB4_5228 Depth=4
	v_or_b32_sdwa v9, v2, s47 dst_sel:DWORD dst_unused:UNUSED_PAD src0_sel:BYTE_3 src1_sel:DWORD
                                        ; implicit-def: $vgpr2
; %bb.5977:                             ;   in Loop: Header=BB4_5228 Depth=4
	s_andn2_saveexec_b64 s[42:43], s[42:43]
; %bb.5978:                             ;   in Loop: Header=BB4_5228 Depth=4
	v_cmp_lt_i32_e32 vcc, -1, v2
	v_bfrev_b32_e32 v0, 0.5
	v_cndmask_b32_e32 v9, v0, v52, vcc
; %bb.5979:                             ;   in Loop: Header=BB4_5228 Depth=4
	s_or_b64 exec, exec, s[42:43]
.LBB4_5980:                             ;   in Loop: Header=BB4_5228 Depth=4
	s_or_b64 exec, exec, s[40:41]
	v_lshrrev_b16_e32 v0, 8, v3
	v_cmp_ne_u16_e32 vcc, 0, v0
	v_mov_b32_e32 v2, 0
	s_and_saveexec_b64 s[40:41], vcc
	s_cbranch_execz .LBB4_5988
; %bb.5981:                             ;   in Loop: Header=BB4_5228 Depth=4
	v_cmp_ne_u16_e32 vcc, s96, v0
	v_bfrev_b32_e32 v2, 1
	s_and_saveexec_b64 s[42:43], vcc
	s_cbranch_execz .LBB4_5987
; %bb.5982:                             ;   in Loop: Header=BB4_5228 Depth=4
	v_and_b32_e32 v1, 0x7c, v0
	v_and_b32_e32 v25, 3, v0
	v_cmp_ne_u32_e32 vcc, s85, v1
                                        ; implicit-def: $vgpr2
	s_and_saveexec_b64 s[38:39], vcc
	s_xor_b64 s[38:39], exec, s[38:39]
	s_cbranch_execz .LBB4_5984
; %bb.5983:                             ;   in Loop: Header=BB4_5228 Depth=4
	v_ffbh_u32_e32 v28, v25
	v_min_u32_e32 v28, 32, v28
	v_mov_b32_e32 v1, v17
	v_subrev_u32_e32 v29, 29, v28
	v_bfe_u32 v2, v0, 2, 5
	v_lshlrev_b64 v[0:1], v29, v[0:1]
	v_sub_u32_e32 v1, 30, v28
	v_cmp_eq_u32_e32 vcc, 0, v2
	v_cndmask_b32_e32 v1, v2, v1, vcc
	v_lshlrev_b32_e32 v2, 16, v3
	v_and_b32_e32 v0, 3, v0
	v_and_b32_e32 v2, 0x80000000, v2
	v_cndmask_b32_e32 v0, v25, v0, vcc
	v_lshl_add_u32 v1, v1, 23, v2
	v_lshl_or_b32 v0, v0, 21, v1
	v_add_u32_e32 v2, 0x38000000, v0
                                        ; implicit-def: $vgpr25
                                        ; implicit-def: $vgpr3
.LBB4_5984:                             ;   in Loop: Header=BB4_5228 Depth=4
	s_andn2_saveexec_b64 s[38:39], s[38:39]
; %bb.5985:                             ;   in Loop: Header=BB4_5228 Depth=4
	v_cmp_lt_i16_e32 vcc, -1, v3
	v_mov_b32_e32 v0, 0xff800000
	v_mov_b32_e32 v1, 0x7f800000
	v_cndmask_b32_e32 v0, v0, v1, vcc
	v_cmp_eq_u32_e32 vcc, 0, v25
	v_mov_b32_e32 v1, 0x7f800001
	v_cndmask_b32_e32 v2, v1, v0, vcc
; %bb.5986:                             ;   in Loop: Header=BB4_5228 Depth=4
	s_or_b64 exec, exec, s[38:39]
.LBB4_5987:                             ;   in Loop: Header=BB4_5228 Depth=4
	s_or_b64 exec, exec, s[42:43]
.LBB4_5988:                             ;   in Loop: Header=BB4_5228 Depth=4
	s_or_b64 exec, exec, s[40:41]
	v_lshrrev_b16_e32 v0, 8, v10
	v_cmp_lt_i16_e32 vcc, s47, v0
	s_mov_b64 s[40:41], 0
	s_and_saveexec_b64 s[42:43], vcc
	s_xor_b64 s[42:43], exec, s[42:43]
	s_cbranch_execz .LBB4_6219
; %bb.5989:                             ;   in Loop: Header=BB4_5228 Depth=4
	v_cmp_eq_u16_e32 vcc, s96, v0
	s_mov_b64 s[40:41], -1
	s_and_saveexec_b64 s[38:39], vcc
; %bb.5990:                             ;   in Loop: Header=BB4_5228 Depth=4
	s_xor_b64 s[40:41], exec, -1
; %bb.5991:                             ;   in Loop: Header=BB4_5228 Depth=4
	s_or_b64 exec, exec, s[38:39]
	s_and_b64 s[40:41], s[40:41], exec
	s_or_saveexec_b64 s[42:43], s[42:43]
	v_bfrev_b32_e32 v1, 1
	s_xor_b64 exec, exec, s[42:43]
	s_cbranch_execnz .LBB4_6220
.LBB4_5992:                             ;   in Loop: Header=BB4_5228 Depth=4
	s_or_b64 exec, exec, s[42:43]
	s_and_saveexec_b64 s[38:39], s[40:41]
	s_cbranch_execz .LBB4_5994
.LBB4_5993:                             ;   in Loop: Header=BB4_5228 Depth=4
	v_and_b32_e32 v3, 3, v0
	v_and_b32_e32 v28, 0x7c, v0
	v_cmp_eq_u32_e32 vcc, s85, v28
	v_ffbh_u32_e32 v28, v3
	v_min_u32_e32 v31, 32, v28
	v_mov_b32_e32 v1, v17
	v_subrev_u32_e32 v28, 29, v31
	v_bfe_u32 v25, v0, 2, 5
	v_lshlrev_b64 v[28:29], v28, v[0:1]
	v_cmp_eq_u32_e64 s[40:41], 0, v25
	v_sub_u32_e32 v1, 30, v31
	v_lshlrev_b32_e32 v0, 24, v0
	v_and_b32_e32 v28, 3, v28
	v_cndmask_b32_e64 v1, v25, v1, s[40:41]
	v_and_b32_e32 v0, 0x80000000, v0
	v_cndmask_b32_e64 v25, v3, v28, s[40:41]
	v_lshl_add_u32 v0, v1, 23, v0
	v_cmp_eq_u32_e64 s[40:41], 0, v3
	v_cmp_lt_i16_e64 s[42:43], -1, v10
	v_mov_b32_e32 v1, 0xff800000
	v_mov_b32_e32 v3, 0x7f800000
	v_lshl_or_b32 v0, v25, 21, v0
	v_cndmask_b32_e64 v1, v1, v3, s[42:43]
	v_mov_b32_e32 v3, 0x7f800001
	v_add_u32_e32 v0, 0x38000000, v0
	v_cndmask_b32_e64 v1, v3, v1, s[40:41]
	v_cndmask_b32_e32 v1, v0, v1, vcc
.LBB4_5994:                             ;   in Loop: Header=BB4_5228 Depth=4
	s_or_b64 exec, exec, s[38:39]
	v_add_f32_e32 v2, v2, v1
	v_and_b32_e32 v28, 0x7f800000, v2
	v_mov_b32_e32 v29, v17
	v_cmp_ne_u64_e32 vcc, s[76:77], v[28:29]
	v_and_b32_e32 v0, 0x7fffff, v2
	v_mov_b32_e32 v1, v17
                                        ; implicit-def: $vgpr25
	s_and_saveexec_b64 s[40:41], vcc
	s_xor_b64 s[42:43], exec, s[40:41]
	s_cbranch_execz .LBB4_6008
; %bb.5995:                             ;   in Loop: Header=BB4_5228 Depth=4
	v_and_b32_e32 v28, 0x7fffffff, v2
	v_mov_b32_e32 v29, v17
	v_cmp_gt_u64_e32 vcc, s[78:79], v[28:29]
	v_and_b32_sdwa v3, v2, s96 dst_sel:DWORD dst_unused:UNUSED_PAD src0_sel:BYTE_3 src1_sel:DWORD
                                        ; implicit-def: $vgpr25
	s_and_saveexec_b64 s[40:41], vcc
	s_xor_b64 s[38:39], exec, s[40:41]
	s_cbranch_execz .LBB4_6005
; %bb.5996:                             ;   in Loop: Header=BB4_5228 Depth=4
	v_mov_b32_e32 v25, 0
	v_cmp_ne_u32_e32 vcc, 0, v2
	s_and_saveexec_b64 s[48:49], vcc
	s_cbranch_execz .LBB4_6004
; %bb.5997:                             ;   in Loop: Header=BB4_5228 Depth=4
	v_bfe_u32 v25, v2, 23, 8
	v_cmp_gt_u32_e64 s[40:41], s46, v25
	v_sub_u32_e32 v2, 0x71, v25
	v_cmp_eq_u32_e32 vcc, 0, v25
	v_cndmask_b32_e64 v2, 0, v2, s[40:41]
	v_mov_b32_e32 v29, 0x70
	v_cndmask_b32_e32 v31, v2, v29, vcc
	v_or_b32_e32 v28, 0x800000, v0
	v_add_u32_e32 v2, 21, v31
	v_cndmask_b32_e32 v0, v28, v0, vcc
	v_lshlrev_b64 v[28:29], v2, -1
	v_add_u32_e32 v2, 20, v31
	v_bfi_b32 v28, v28, 0, v0
	v_lshlrev_b64 v[48:49], v2, 1
	v_lshrrev_b64 v[0:1], v31, v[0:1]
	v_bfi_b32 v29, v29, 0, 0
	v_cmp_eq_u64_e64 s[40:41], v[28:29], v[48:49]
	v_mov_b32_e32 v2, v1
	v_mov_b32_e32 v1, v0
	s_and_saveexec_b64 s[50:51], s[40:41]
; %bb.5998:                             ;   in Loop: Header=BB4_5228 Depth=4
	v_bfe_u32 v1, v0, 21, 1
	v_add_co_u32_e64 v1, s[40:41], v0, v1
	v_add_co_u32_e64 v1, s[40:41], -1, v1
; %bb.5999:                             ;   in Loop: Header=BB4_5228 Depth=4
	s_or_b64 exec, exec, s[50:51]
	v_add_u32_e32 v2, 0xffffff81, v25
	v_mov_b32_e32 v25, 0xffffff82
	v_cndmask_b32_e32 v2, v2, v25, vcc
	v_lshrrev_b32_e32 v25, 23, v0
	v_add3_u32 v31, v31, v2, v25
	v_add_u32_e32 v25, 14, v31
	v_and_b32_e32 v1, 0x1fffff, v1
	v_add_u32_e32 v0, v1, v0
	v_mov_b32_e32 v1, v17
	v_cmp_ne_u32_e32 vcc, 0, v25
                                        ; implicit-def: $vgpr2
	s_and_saveexec_b64 s[40:41], vcc
	s_xor_b64 s[40:41], exec, s[40:41]
; %bb.6000:                             ;   in Loop: Header=BB4_5228 Depth=4
	v_cmp_lt_u64_e32 vcc, s[88:89], v[0:1]
	v_add_u32_e32 v2, 15, v31
	v_cndmask_b32_e32 v2, v25, v2, vcc
	v_cndmask_b32_e64 v25, 0, 1, vcc
	v_lshrrev_b64 v[0:1], v25, v[0:1]
; %bb.6001:                             ;   in Loop: Header=BB4_5228 Depth=4
	s_andn2_saveexec_b64 s[40:41], s[40:41]
; %bb.6002:                             ;   in Loop: Header=BB4_5228 Depth=4
	v_bfe_u32 v2, v0, 23, 1
; %bb.6003:                             ;   in Loop: Header=BB4_5228 Depth=4
	s_or_b64 exec, exec, s[40:41]
	v_lshrrev_b64 v[0:1], 21, v[0:1]
	v_cmp_gt_i32_e32 vcc, 32, v2
	v_cndmask_b32_e32 v1, 0, v1, vcc
	v_cndmask_b32_e32 v0, 3, v0, vcc
	v_cmp_eq_u64_e64 s[40:41], 0, v[0:1]
	v_min_i32_e32 v1, 31, v2
	v_lshlrev_b32_e32 v1, 2, v1
	v_cmp_eq_u32_e32 vcc, 0, v2
	v_and_b32_e32 v1, 0xfc, v1
	v_and_or_b32 v0, v0, 3, v1
	s_and_b64 s[40:41], vcc, s[40:41]
	v_cndmask_b32_e64 v0, v0, 0, s[40:41]
	v_or_b32_e32 v25, v0, v3
.LBB4_6004:                             ;   in Loop: Header=BB4_5228 Depth=4
	s_or_b64 exec, exec, s[48:49]
                                        ; implicit-def: $vgpr3
.LBB4_6005:                             ;   in Loop: Header=BB4_5228 Depth=4
	s_andn2_saveexec_b64 s[40:41], s[38:39]
; %bb.6006:                             ;   in Loop: Header=BB4_5228 Depth=4
	v_or_b32_e32 v25, 0x7b, v3
; %bb.6007:                             ;   in Loop: Header=BB4_5228 Depth=4
	s_or_b64 exec, exec, s[40:41]
                                        ; implicit-def: $vgpr2
                                        ; implicit-def: $vgpr0_vgpr1
.LBB4_6008:                             ;   in Loop: Header=BB4_5228 Depth=4
	s_andn2_saveexec_b64 s[40:41], s[42:43]
	s_cbranch_execz .LBB4_6014
; %bb.6009:                             ;   in Loop: Header=BB4_5228 Depth=4
	v_cmp_ne_u64_e32 vcc, 0, v[0:1]
                                        ; implicit-def: $vgpr25
	s_and_saveexec_b64 s[42:43], vcc
	s_xor_b64 s[42:43], exec, s[42:43]
; %bb.6010:                             ;   in Loop: Header=BB4_5228 Depth=4
	v_or_b32_sdwa v25, v2, s47 dst_sel:DWORD dst_unused:UNUSED_PAD src0_sel:BYTE_3 src1_sel:DWORD
                                        ; implicit-def: $vgpr2
; %bb.6011:                             ;   in Loop: Header=BB4_5228 Depth=4
	s_andn2_saveexec_b64 s[42:43], s[42:43]
; %bb.6012:                             ;   in Loop: Header=BB4_5228 Depth=4
	v_cmp_lt_i32_e32 vcc, -1, v2
	v_bfrev_b32_e32 v0, 0.5
	v_cndmask_b32_e32 v25, v0, v52, vcc
; %bb.6013:                             ;   in Loop: Header=BB4_5228 Depth=4
	s_or_b64 exec, exec, s[42:43]
.LBB4_6014:                             ;   in Loop: Header=BB4_5228 Depth=4
	s_or_b64 exec, exec, s[40:41]
	v_and_b32_sdwa v2, v16, s87 dst_sel:DWORD dst_unused:UNUSED_PAD src0_sel:WORD_1 src1_sel:DWORD
	v_lshrrev_b32_e32 v0, 16, v16
	v_cmp_ne_u16_e32 vcc, 0, v2
	v_mov_b32_e32 v1, 0
	s_and_saveexec_b64 s[40:41], vcc
	s_cbranch_execz .LBB4_6022
; %bb.6015:                             ;   in Loop: Header=BB4_5228 Depth=4
	v_cmp_ne_u16_e32 vcc, s96, v2
	v_bfrev_b32_e32 v1, 1
	s_and_saveexec_b64 s[42:43], vcc
	s_cbranch_execz .LBB4_6021
; %bb.6016:                             ;   in Loop: Header=BB4_5228 Depth=4
	v_and_b32_e32 v1, 0x7c0000, v16
	v_bfe_u32 v2, v16, 16, 2
	v_cmp_ne_u32_e32 vcc, s44, v1
                                        ; implicit-def: $vgpr1
	s_and_saveexec_b64 s[38:39], vcc
	s_xor_b64 s[38:39], exec, s[38:39]
	s_cbranch_execz .LBB4_6018
; %bb.6017:                             ;   in Loop: Header=BB4_5228 Depth=4
	v_ffbh_u32_e32 v1, v2
	v_min_u32_e32 v28, 32, v1
	v_subrev_u32_e32 v1, 29, v28
	v_lshlrev_b64 v[0:1], v1, v[0:1]
	v_bfe_u32 v3, v16, 18, 5
	v_and_b32_e32 v0, 3, v0
	v_cmp_eq_u32_e32 vcc, 0, v3
	v_sub_u32_e32 v1, 30, v28
	v_cndmask_b32_e32 v0, v2, v0, vcc
	v_lshlrev_b32_e32 v2, 8, v16
	v_cndmask_b32_e32 v1, v3, v1, vcc
	v_and_b32_e32 v2, 0x80000000, v2
	v_lshl_add_u32 v1, v1, 23, v2
	v_lshl_or_b32 v0, v0, 21, v1
	v_add_u32_e32 v1, 0x38000000, v0
                                        ; implicit-def: $vgpr2
                                        ; implicit-def: $vgpr0
.LBB4_6018:                             ;   in Loop: Header=BB4_5228 Depth=4
	s_andn2_saveexec_b64 s[38:39], s[38:39]
; %bb.6019:                             ;   in Loop: Header=BB4_5228 Depth=4
	v_mov_b32_e32 v1, -1
	v_cmp_gt_i16_sdwa vcc, sext(v0), v1 src0_sel:BYTE_0 src1_sel:DWORD
	v_mov_b32_e32 v0, 0xff800000
	v_mov_b32_e32 v1, 0x7f800000
	v_cndmask_b32_e32 v0, v0, v1, vcc
	v_cmp_eq_u32_e32 vcc, 0, v2
	v_mov_b32_e32 v1, 0x7f800001
	v_cndmask_b32_e32 v1, v1, v0, vcc
; %bb.6020:                             ;   in Loop: Header=BB4_5228 Depth=4
	s_or_b64 exec, exec, s[38:39]
.LBB4_6021:                             ;   in Loop: Header=BB4_5228 Depth=4
	s_or_b64 exec, exec, s[42:43]
.LBB4_6022:                             ;   in Loop: Header=BB4_5228 Depth=4
	s_or_b64 exec, exec, s[40:41]
	v_lshrrev_b32_e32 v0, 16, v10
	v_cmp_gt_i16_sdwa s[42:43], v0, s47 src0_sel:BYTE_0 src1_sel:DWORD
	s_mov_b64 s[40:41], 0
	s_and_saveexec_b64 vcc, s[42:43]
	s_xor_b64 s[42:43], exec, vcc
	s_cbranch_execz .LBB4_6221
; %bb.6023:                             ;   in Loop: Header=BB4_5228 Depth=4
	v_cmp_eq_u16_sdwa s[38:39], v0, s96 src0_sel:BYTE_0 src1_sel:DWORD
	s_mov_b64 s[40:41], -1
	s_and_saveexec_b64 vcc, s[38:39]
; %bb.6024:                             ;   in Loop: Header=BB4_5228 Depth=4
	s_xor_b64 s[40:41], exec, -1
; %bb.6025:                             ;   in Loop: Header=BB4_5228 Depth=4
	s_or_b64 exec, exec, vcc
	s_and_b64 s[40:41], s[40:41], exec
	s_or_saveexec_b64 s[42:43], s[42:43]
	v_bfrev_b32_e32 v2, 1
	s_xor_b64 exec, exec, s[42:43]
	s_cbranch_execnz .LBB4_6222
.LBB4_6026:                             ;   in Loop: Header=BB4_5228 Depth=4
	s_or_b64 exec, exec, s[42:43]
	s_and_saveexec_b64 s[38:39], s[40:41]
	s_cbranch_execz .LBB4_6028
.LBB4_6027:                             ;   in Loop: Header=BB4_5228 Depth=4
	v_and_b32_e32 v28, 3, v0
	v_and_b32_e32 v2, 0x7c0000, v10
	v_cmp_eq_u32_e32 vcc, s44, v2
	v_ffbh_u32_e32 v2, v28
	v_min_u32_e32 v31, 32, v2
	v_subrev_u32_e32 v2, 29, v31
	v_bfe_u32 v29, v10, 18, 5
	v_lshlrev_b64 v[2:3], v2, v[0:1]
	v_cmp_eq_u32_e64 s[40:41], 0, v29
	v_sub_u32_e32 v3, 30, v31
	v_cndmask_b32_e64 v3, v29, v3, s[40:41]
	v_lshlrev_b32_e32 v29, 24, v0
	v_and_b32_e32 v2, 3, v2
	v_and_b32_e32 v29, 0x80000000, v29
	v_cndmask_b32_e64 v2, v28, v2, s[40:41]
	v_lshl_add_u32 v3, v3, 23, v29
	v_lshl_or_b32 v2, v2, 21, v3
	v_mov_b32_e32 v3, -1
	v_cmp_gt_i16_sdwa s[42:43], sext(v0), v3 src0_sel:BYTE_0 src1_sel:DWORD
	v_mov_b32_e32 v0, 0xff800000
	v_mov_b32_e32 v3, 0x7f800000
	v_cmp_eq_u32_e64 s[40:41], 0, v28
	v_cndmask_b32_e64 v0, v0, v3, s[42:43]
	v_mov_b32_e32 v3, 0x7f800001
	v_add_u32_e32 v2, 0x38000000, v2
	v_cndmask_b32_e64 v0, v3, v0, s[40:41]
	v_cndmask_b32_e32 v2, v2, v0, vcc
.LBB4_6028:                             ;   in Loop: Header=BB4_5228 Depth=4
	s_or_b64 exec, exec, s[38:39]
	v_add_f32_e32 v2, v1, v2
	v_and_b32_e32 v28, 0x7f800000, v2
	v_mov_b32_e32 v29, v17
	v_cmp_ne_u64_e32 vcc, s[76:77], v[28:29]
	v_and_b32_e32 v0, 0x7fffff, v2
	v_mov_b32_e32 v1, v17
                                        ; implicit-def: $vgpr31
	s_and_saveexec_b64 s[40:41], vcc
	s_xor_b64 s[42:43], exec, s[40:41]
	s_cbranch_execz .LBB4_6042
; %bb.6029:                             ;   in Loop: Header=BB4_5228 Depth=4
	v_and_b32_e32 v28, 0x7fffffff, v2
	v_mov_b32_e32 v29, v17
	v_cmp_gt_u64_e32 vcc, s[78:79], v[28:29]
	v_and_b32_sdwa v3, v2, s96 dst_sel:DWORD dst_unused:UNUSED_PAD src0_sel:BYTE_3 src1_sel:DWORD
                                        ; implicit-def: $vgpr31
	s_and_saveexec_b64 s[40:41], vcc
	s_xor_b64 s[38:39], exec, s[40:41]
	s_cbranch_execz .LBB4_6039
; %bb.6030:                             ;   in Loop: Header=BB4_5228 Depth=4
	v_mov_b32_e32 v31, 0
	v_cmp_ne_u32_e32 vcc, 0, v2
	s_and_saveexec_b64 s[48:49], vcc
	s_cbranch_execz .LBB4_6038
; %bb.6031:                             ;   in Loop: Header=BB4_5228 Depth=4
	v_bfe_u32 v31, v2, 23, 8
	v_cmp_gt_u32_e64 s[40:41], s46, v31
	v_sub_u32_e32 v2, 0x71, v31
	v_cmp_eq_u32_e32 vcc, 0, v31
	v_cndmask_b32_e64 v2, 0, v2, s[40:41]
	v_mov_b32_e32 v29, 0x70
	v_cndmask_b32_e32 v34, v2, v29, vcc
	v_or_b32_e32 v28, 0x800000, v0
	v_add_u32_e32 v2, 21, v34
	v_cndmask_b32_e32 v0, v28, v0, vcc
	v_lshlrev_b64 v[28:29], v2, -1
	v_add_u32_e32 v2, 20, v34
	v_bfi_b32 v28, v28, 0, v0
	v_lshlrev_b64 v[48:49], v2, 1
	v_lshrrev_b64 v[0:1], v34, v[0:1]
	v_bfi_b32 v29, v29, 0, 0
	v_cmp_eq_u64_e64 s[40:41], v[28:29], v[48:49]
	v_mov_b32_e32 v2, v1
	v_mov_b32_e32 v1, v0
	s_and_saveexec_b64 s[50:51], s[40:41]
; %bb.6032:                             ;   in Loop: Header=BB4_5228 Depth=4
	v_bfe_u32 v1, v0, 21, 1
	v_add_co_u32_e64 v1, s[40:41], v0, v1
	v_add_co_u32_e64 v1, s[40:41], -1, v1
; %bb.6033:                             ;   in Loop: Header=BB4_5228 Depth=4
	s_or_b64 exec, exec, s[50:51]
	v_add_u32_e32 v2, 0xffffff81, v31
	v_mov_b32_e32 v28, 0xffffff82
	v_cndmask_b32_e32 v2, v2, v28, vcc
	v_lshrrev_b32_e32 v28, 23, v0
	v_add3_u32 v34, v34, v2, v28
	v_add_u32_e32 v31, 14, v34
	v_and_b32_e32 v1, 0x1fffff, v1
	v_add_u32_e32 v0, v1, v0
	v_mov_b32_e32 v1, v17
	v_cmp_ne_u32_e32 vcc, 0, v31
                                        ; implicit-def: $vgpr2
	s_and_saveexec_b64 s[40:41], vcc
	s_xor_b64 s[40:41], exec, s[40:41]
; %bb.6034:                             ;   in Loop: Header=BB4_5228 Depth=4
	v_cmp_lt_u64_e32 vcc, s[88:89], v[0:1]
	v_add_u32_e32 v2, 15, v34
	v_cndmask_b32_e64 v28, 0, 1, vcc
	v_cndmask_b32_e32 v2, v31, v2, vcc
	v_lshrrev_b64 v[0:1], v28, v[0:1]
; %bb.6035:                             ;   in Loop: Header=BB4_5228 Depth=4
	s_andn2_saveexec_b64 s[40:41], s[40:41]
; %bb.6036:                             ;   in Loop: Header=BB4_5228 Depth=4
	v_bfe_u32 v2, v0, 23, 1
; %bb.6037:                             ;   in Loop: Header=BB4_5228 Depth=4
	s_or_b64 exec, exec, s[40:41]
	v_lshrrev_b64 v[0:1], 21, v[0:1]
	v_cmp_gt_i32_e32 vcc, 32, v2
	v_cndmask_b32_e32 v1, 0, v1, vcc
	v_cndmask_b32_e32 v0, 3, v0, vcc
	v_cmp_eq_u64_e64 s[40:41], 0, v[0:1]
	v_min_i32_e32 v1, 31, v2
	v_lshlrev_b32_e32 v1, 2, v1
	v_cmp_eq_u32_e32 vcc, 0, v2
	v_and_b32_e32 v1, 0xfc, v1
	v_and_or_b32 v0, v0, 3, v1
	s_and_b64 s[40:41], vcc, s[40:41]
	v_cndmask_b32_e64 v0, v0, 0, s[40:41]
	v_or_b32_e32 v31, v0, v3
.LBB4_6038:                             ;   in Loop: Header=BB4_5228 Depth=4
	s_or_b64 exec, exec, s[48:49]
                                        ; implicit-def: $vgpr3
.LBB4_6039:                             ;   in Loop: Header=BB4_5228 Depth=4
	s_andn2_saveexec_b64 s[40:41], s[38:39]
; %bb.6040:                             ;   in Loop: Header=BB4_5228 Depth=4
	v_or_b32_e32 v31, 0x7b, v3
; %bb.6041:                             ;   in Loop: Header=BB4_5228 Depth=4
	s_or_b64 exec, exec, s[40:41]
                                        ; implicit-def: $vgpr2
                                        ; implicit-def: $vgpr0_vgpr1
.LBB4_6042:                             ;   in Loop: Header=BB4_5228 Depth=4
	s_andn2_saveexec_b64 s[40:41], s[42:43]
	s_cbranch_execz .LBB4_6048
; %bb.6043:                             ;   in Loop: Header=BB4_5228 Depth=4
	v_cmp_ne_u64_e32 vcc, 0, v[0:1]
                                        ; implicit-def: $vgpr31
	s_and_saveexec_b64 s[42:43], vcc
	s_xor_b64 s[42:43], exec, s[42:43]
; %bb.6044:                             ;   in Loop: Header=BB4_5228 Depth=4
	v_or_b32_sdwa v31, v2, s47 dst_sel:DWORD dst_unused:UNUSED_PAD src0_sel:BYTE_3 src1_sel:DWORD
                                        ; implicit-def: $vgpr2
; %bb.6045:                             ;   in Loop: Header=BB4_5228 Depth=4
	s_andn2_saveexec_b64 s[42:43], s[42:43]
; %bb.6046:                             ;   in Loop: Header=BB4_5228 Depth=4
	v_cmp_lt_i32_e32 vcc, -1, v2
	v_bfrev_b32_e32 v0, 0.5
	v_cndmask_b32_e32 v31, v0, v52, vcc
; %bb.6047:                             ;   in Loop: Header=BB4_5228 Depth=4
	s_or_b64 exec, exec, s[42:43]
.LBB4_6048:                             ;   in Loop: Header=BB4_5228 Depth=4
	s_or_b64 exec, exec, s[40:41]
	v_cmp_lt_u32_e32 vcc, s57, v16
	v_mov_b32_e32 v1, 0
	s_and_saveexec_b64 s[40:41], vcc
	s_cbranch_execz .LBB4_6056
; %bb.6049:                             ;   in Loop: Header=BB4_5228 Depth=4
	v_lshrrev_b32_e32 v0, 24, v16
	v_cmp_ne_u32_e32 vcc, s96, v0
	v_bfrev_b32_e32 v1, 1
	s_and_saveexec_b64 s[42:43], vcc
	s_cbranch_execz .LBB4_6055
; %bb.6050:                             ;   in Loop: Header=BB4_5228 Depth=4
	v_and_b32_e32 v1, 0x7c000000, v16
	v_bfe_u32 v2, v16, 24, 2
	v_cmp_ne_u32_e32 vcc, s45, v1
                                        ; implicit-def: $vgpr1
	s_and_saveexec_b64 s[38:39], vcc
	s_xor_b64 s[38:39], exec, s[38:39]
	s_cbranch_execz .LBB4_6052
; %bb.6051:                             ;   in Loop: Header=BB4_5228 Depth=4
	v_ffbh_u32_e32 v1, v2
	v_min_u32_e32 v28, 32, v1
	v_subrev_u32_e32 v1, 29, v28
	v_lshlrev_b64 v[0:1], v1, v[0:1]
	v_bfe_u32 v3, v16, 26, 5
	v_sub_u32_e32 v1, 30, v28
	v_and_b32_e32 v0, 3, v0
	v_cmp_eq_u32_e32 vcc, 0, v3
	v_cndmask_b32_e32 v1, v3, v1, vcc
	v_cndmask_b32_e32 v0, v2, v0, vcc
	v_and_b32_e32 v2, 0x80000000, v16
	v_lshl_add_u32 v1, v1, 23, v2
	v_lshl_or_b32 v0, v0, 21, v1
	v_add_u32_e32 v1, 0x38000000, v0
                                        ; implicit-def: $vgpr2
.LBB4_6052:                             ;   in Loop: Header=BB4_5228 Depth=4
	s_andn2_saveexec_b64 s[38:39], s[38:39]
; %bb.6053:                             ;   in Loop: Header=BB4_5228 Depth=4
	v_cmp_lt_i32_e32 vcc, -1, v16
	v_mov_b32_e32 v0, 0xff800000
	v_mov_b32_e32 v1, 0x7f800000
	v_cndmask_b32_e32 v0, v0, v1, vcc
	v_cmp_eq_u32_e32 vcc, 0, v2
	v_mov_b32_e32 v1, 0x7f800001
	v_cndmask_b32_e32 v1, v1, v0, vcc
; %bb.6054:                             ;   in Loop: Header=BB4_5228 Depth=4
	s_or_b64 exec, exec, s[38:39]
.LBB4_6055:                             ;   in Loop: Header=BB4_5228 Depth=4
	s_or_b64 exec, exec, s[42:43]
.LBB4_6056:                             ;   in Loop: Header=BB4_5228 Depth=4
	s_or_b64 exec, exec, s[40:41]
	v_bfe_u32 v16, v10, 24, 2
	v_and_b32_e32 v2, 0x7c000000, v10
	v_cmp_eq_u32_e32 vcc, s45, v2
	v_ffbh_u32_e32 v2, v16
	v_min_u32_e32 v29, 32, v2
	v_lshrrev_b32_e32 v0, 24, v10
	v_subrev_u32_e32 v2, 29, v29
	v_bfe_u32 v28, v10, 26, 5
	v_lshlrev_b64 v[2:3], v2, v[0:1]
	v_cmp_eq_u32_e64 s[40:41], 0, v28
	v_sub_u32_e32 v3, 30, v29
	v_and_b32_e32 v2, 3, v2
	v_cndmask_b32_e64 v3, v28, v3, s[40:41]
	v_and_b32_e32 v28, 0x80000000, v10
	v_cndmask_b32_e64 v2, v16, v2, s[40:41]
	v_lshl_add_u32 v3, v3, 23, v28
	v_lshl_or_b32 v2, v2, 21, v3
	v_cmp_eq_u32_e64 s[40:41], 0, v16
	v_cmp_lt_i32_e64 s[42:43], -1, v10
	v_mov_b32_e32 v3, 0xff800000
	v_mov_b32_e32 v16, 0x7f800000
	v_cndmask_b32_e64 v3, v3, v16, s[42:43]
	v_mov_b32_e32 v16, 0x7f800001
	v_add_u32_e32 v2, 0x38000000, v2
	v_cndmask_b32_e64 v3, v16, v3, s[40:41]
	v_cndmask_b32_e32 v2, v2, v3, vcc
	v_cmp_ne_u32_e32 vcc, s96, v0
	v_bfrev_b32_e32 v0, 1
	v_cndmask_b32_e32 v0, v0, v2, vcc
	v_cmp_lt_u32_e32 vcc, s57, v10
	v_cndmask_b32_e32 v0, 0, v0, vcc
	v_add_f32_e32 v0, v0, v1
	v_and_b32_e32 v1, 0x7f800000, v0
	v_mov_b32_e32 v2, v17
	v_cmp_ne_u64_e32 vcc, s[76:77], v[1:2]
	v_and_b32_e32 v16, 0x7fffff, v0
                                        ; implicit-def: $vgpr34
	s_and_saveexec_b64 s[40:41], vcc
	s_xor_b64 s[42:43], exec, s[40:41]
	s_cbranch_execz .LBB4_6070
; %bb.6057:                             ;   in Loop: Header=BB4_5228 Depth=4
	v_and_b32_e32 v1, 0x7fffffff, v0
	v_mov_b32_e32 v2, v17
	v_cmp_gt_u64_e32 vcc, s[78:79], v[1:2]
	v_and_b32_sdwa v3, v0, s96 dst_sel:DWORD dst_unused:UNUSED_PAD src0_sel:BYTE_3 src1_sel:DWORD
                                        ; implicit-def: $vgpr34
	s_and_saveexec_b64 s[40:41], vcc
	s_xor_b64 s[38:39], exec, s[40:41]
	s_cbranch_execz .LBB4_6067
; %bb.6058:                             ;   in Loop: Header=BB4_5228 Depth=4
	v_mov_b32_e32 v34, 0
	v_cmp_ne_u32_e32 vcc, 0, v0
	s_and_saveexec_b64 s[48:49], vcc
	s_cbranch_execz .LBB4_6066
; %bb.6059:                             ;   in Loop: Header=BB4_5228 Depth=4
	v_bfe_u32 v34, v0, 23, 8
	v_cmp_gt_u32_e64 s[40:41], s46, v34
	v_sub_u32_e32 v0, 0x71, v34
	v_cmp_eq_u32_e32 vcc, 0, v34
	v_cndmask_b32_e64 v0, 0, v0, s[40:41]
	v_mov_b32_e32 v2, 0x70
	v_cndmask_b32_e32 v36, v0, v2, vcc
	v_add_u32_e32 v2, 21, v36
	v_or_b32_e32 v1, 0x800000, v16
	v_lshlrev_b64 v[28:29], v2, -1
	v_cndmask_b32_e32 v0, v1, v16, vcc
	v_mov_b32_e32 v1, v17
	v_add_u32_e32 v2, 20, v36
	v_bfi_b32 v28, v28, 0, v0
	v_lshlrev_b64 v[48:49], v2, 1
	v_lshrrev_b64 v[0:1], v36, v[0:1]
	v_bfi_b32 v29, v29, 0, 0
	v_cmp_eq_u64_e64 s[40:41], v[28:29], v[48:49]
	v_mov_b32_e32 v2, v1
	v_mov_b32_e32 v1, v0
	s_and_saveexec_b64 s[50:51], s[40:41]
; %bb.6060:                             ;   in Loop: Header=BB4_5228 Depth=4
	v_bfe_u32 v1, v0, 21, 1
	v_add_co_u32_e64 v1, s[40:41], v0, v1
	v_add_co_u32_e64 v1, s[40:41], -1, v1
; %bb.6061:                             ;   in Loop: Header=BB4_5228 Depth=4
	s_or_b64 exec, exec, s[50:51]
	v_add_u32_e32 v2, 0xffffff81, v34
	v_mov_b32_e32 v16, 0xffffff82
	v_cndmask_b32_e32 v2, v2, v16, vcc
	v_lshrrev_b32_e32 v16, 23, v0
	v_add3_u32 v36, v36, v2, v16
	v_add_u32_e32 v34, 14, v36
	v_and_b32_e32 v1, 0x1fffff, v1
	v_add_u32_e32 v16, v1, v0
	v_cmp_ne_u32_e32 vcc, 0, v34
                                        ; implicit-def: $vgpr0_vgpr1
                                        ; implicit-def: $vgpr2
	s_and_saveexec_b64 s[40:41], vcc
	s_xor_b64 s[40:41], exec, s[40:41]
; %bb.6062:                             ;   in Loop: Header=BB4_5228 Depth=4
	v_cmp_lt_u64_e32 vcc, s[88:89], v[16:17]
	v_add_u32_e32 v0, 15, v36
	v_cndmask_b32_e32 v2, v34, v0, vcc
	v_cndmask_b32_e64 v0, 0, 1, vcc
	v_lshrrev_b64 v[0:1], v0, v[16:17]
; %bb.6063:                             ;   in Loop: Header=BB4_5228 Depth=4
	s_andn2_saveexec_b64 s[40:41], s[40:41]
; %bb.6064:                             ;   in Loop: Header=BB4_5228 Depth=4
	v_mov_b32_e32 v0, v16
	v_mov_b32_e32 v1, v17
	v_bfe_u32 v2, v16, 23, 1
; %bb.6065:                             ;   in Loop: Header=BB4_5228 Depth=4
	s_or_b64 exec, exec, s[40:41]
	v_lshrrev_b64 v[0:1], 21, v[0:1]
	v_cmp_gt_i32_e32 vcc, 32, v2
	v_cndmask_b32_e32 v1, 0, v1, vcc
	v_cndmask_b32_e32 v0, 3, v0, vcc
	v_cmp_eq_u64_e64 s[40:41], 0, v[0:1]
	v_min_i32_e32 v1, 31, v2
	v_lshlrev_b32_e32 v1, 2, v1
	v_cmp_eq_u32_e32 vcc, 0, v2
	v_and_b32_e32 v1, 0xfc, v1
	v_and_or_b32 v0, v0, 3, v1
	s_and_b64 s[40:41], vcc, s[40:41]
	v_cndmask_b32_e64 v0, v0, 0, s[40:41]
	v_or_b32_e32 v34, v0, v3
.LBB4_6066:                             ;   in Loop: Header=BB4_5228 Depth=4
	s_or_b64 exec, exec, s[48:49]
                                        ; implicit-def: $vgpr3
.LBB4_6067:                             ;   in Loop: Header=BB4_5228 Depth=4
	s_andn2_saveexec_b64 s[40:41], s[38:39]
; %bb.6068:                             ;   in Loop: Header=BB4_5228 Depth=4
	v_or_b32_e32 v34, 0x7b, v3
; %bb.6069:                             ;   in Loop: Header=BB4_5228 Depth=4
	s_or_b64 exec, exec, s[40:41]
                                        ; implicit-def: $vgpr0
.LBB4_6070:                             ;   in Loop: Header=BB4_5228 Depth=4
	s_andn2_saveexec_b64 s[40:41], s[42:43]
	s_cbranch_execz .LBB4_6076
; %bb.6071:                             ;   in Loop: Header=BB4_5228 Depth=4
	v_cmp_ne_u64_e32 vcc, 0, v[16:17]
                                        ; implicit-def: $vgpr34
	s_and_saveexec_b64 s[42:43], vcc
	s_xor_b64 s[42:43], exec, s[42:43]
; %bb.6072:                             ;   in Loop: Header=BB4_5228 Depth=4
	v_or_b32_sdwa v34, v0, s47 dst_sel:DWORD dst_unused:UNUSED_PAD src0_sel:BYTE_3 src1_sel:DWORD
                                        ; implicit-def: $vgpr0
; %bb.6073:                             ;   in Loop: Header=BB4_5228 Depth=4
	s_andn2_saveexec_b64 s[42:43], s[42:43]
; %bb.6074:                             ;   in Loop: Header=BB4_5228 Depth=4
	v_cmp_lt_i32_e32 vcc, -1, v0
	v_bfrev_b32_e32 v0, 0.5
	v_cndmask_b32_e32 v34, v0, v52, vcc
; %bb.6075:                             ;   in Loop: Header=BB4_5228 Depth=4
	s_or_b64 exec, exec, s[42:43]
.LBB4_6076:                             ;   in Loop: Header=BB4_5228 Depth=4
	s_or_b64 exec, exec, s[40:41]
	v_lshlrev_b32_e32 v0, 24, v32
	v_lshlrev_b32_e32 v1, 16, v30
	v_lshl_or_b32 v26, v26, 8, v23
	v_or3_b32 v16, v1, v0, v26
	v_cmp_ne_u32_e32 vcc, 0, v23
	v_mov_b32_e32 v2, 0
	s_and_saveexec_b64 s[42:43], vcc
	s_cbranch_execz .LBB4_6084
; %bb.6077:                             ;   in Loop: Header=BB4_5228 Depth=4
	v_cmp_ne_u32_e32 vcc, s96, v23
	v_bfrev_b32_e32 v2, 1
	s_and_saveexec_b64 s[38:39], vcc
	s_cbranch_execz .LBB4_6083
; %bb.6078:                             ;   in Loop: Header=BB4_5228 Depth=4
	v_and_b32_e32 v1, 0x7c, v23
	v_and_b32_e32 v0, 3, v23
	v_cmp_ne_u32_e32 vcc, s85, v1
                                        ; implicit-def: $vgpr2
	s_and_saveexec_b64 s[40:41], vcc
	s_xor_b64 s[40:41], exec, s[40:41]
	s_cbranch_execz .LBB4_6080
; %bb.6079:                             ;   in Loop: Header=BB4_5228 Depth=4
	v_ffbh_u32_e32 v1, v0
	v_min_u32_e32 v28, 32, v1
	v_subrev_u32_e32 v1, 29, v28
	v_lshlrev_b64 v[1:2], v1, v[16:17]
	v_bfe_u32 v3, v23, 2, 5
	v_and_b32_e32 v1, 3, v1
	v_cmp_eq_u32_e32 vcc, 0, v3
	v_sub_u32_e32 v2, 30, v28
	v_cndmask_b32_e32 v0, v0, v1, vcc
	v_lshlrev_b32_e32 v1, 24, v23
	v_cndmask_b32_e32 v2, v3, v2, vcc
	v_and_b32_e32 v1, 0x80000000, v1
	v_lshl_add_u32 v1, v2, 23, v1
	v_lshl_or_b32 v0, v0, 21, v1
	v_add_u32_e32 v2, 0x38000000, v0
                                        ; implicit-def: $vgpr0
                                        ; implicit-def: $vgpr23
.LBB4_6080:                             ;   in Loop: Header=BB4_5228 Depth=4
	s_andn2_saveexec_b64 s[48:49], s[40:41]
; %bb.6081:                             ;   in Loop: Header=BB4_5228 Depth=4
	v_cmp_eq_u32_e32 vcc, 0, v0
	v_and_b32_e32 v0, 0x80, v23
	v_cmp_eq_u32_e64 s[40:41], 0, v0
	v_mov_b32_e32 v0, 0xff800000
	v_mov_b32_e32 v1, 0x7f800000
	v_cndmask_b32_e64 v0, v0, v1, s[40:41]
	v_mov_b32_e32 v1, 0x7f800001
	v_cndmask_b32_e32 v2, v1, v0, vcc
; %bb.6082:                             ;   in Loop: Header=BB4_5228 Depth=4
	s_or_b64 exec, exec, s[48:49]
.LBB4_6083:                             ;   in Loop: Header=BB4_5228 Depth=4
	s_or_b64 exec, exec, s[38:39]
.LBB4_6084:                             ;   in Loop: Header=BB4_5228 Depth=4
	s_or_b64 exec, exec, s[42:43]
	v_cmp_gt_i16_sdwa s[42:43], v11, s47 src0_sel:BYTE_0 src1_sel:DWORD
	s_mov_b64 s[40:41], 0
	s_and_saveexec_b64 vcc, s[42:43]
	s_xor_b64 s[42:43], exec, vcc
	s_cbranch_execz .LBB4_6088
; %bb.6085:                             ;   in Loop: Header=BB4_5228 Depth=4
	v_cmp_eq_u16_sdwa s[38:39], v11, s96 src0_sel:BYTE_0 src1_sel:DWORD
	s_mov_b64 s[40:41], -1
	s_and_saveexec_b64 vcc, s[38:39]
; %bb.6086:                             ;   in Loop: Header=BB4_5228 Depth=4
	s_xor_b64 s[40:41], exec, -1
; %bb.6087:                             ;   in Loop: Header=BB4_5228 Depth=4
	s_or_b64 exec, exec, vcc
	s_and_b64 s[40:41], s[40:41], exec
.LBB4_6088:                             ;   in Loop: Header=BB4_5228 Depth=4
	s_or_saveexec_b64 s[42:43], s[42:43]
	v_bfrev_b32_e32 v3, 1
	s_xor_b64 exec, exec, s[42:43]
; %bb.6089:                             ;   in Loop: Header=BB4_5228 Depth=4
	v_cmp_ne_u16_sdwa vcc, v11, v17 src0_sel:BYTE_0 src1_sel:DWORD
	s_andn2_b64 s[40:41], s[40:41], exec
	s_and_b64 vcc, vcc, exec
	v_mov_b32_e32 v3, 0
	s_or_b64 s[40:41], s[40:41], vcc
; %bb.6090:                             ;   in Loop: Header=BB4_5228 Depth=4
	s_or_b64 exec, exec, s[42:43]
	v_mov_b32_e32 v0, v11
	v_mov_b32_e32 v1, v17
	s_and_saveexec_b64 s[38:39], s[40:41]
	s_cbranch_execz .LBB4_6092
; %bb.6091:                             ;   in Loop: Header=BB4_5228 Depth=4
	v_and_b32_e32 v3, 3, v11
	v_and_b32_e32 v28, 0x7c, v11
	v_cmp_eq_u32_e32 vcc, s85, v28
	v_ffbh_u32_e32 v28, v3
	v_min_u32_e32 v30, 32, v28
	v_subrev_u32_e32 v28, 29, v30
	v_lshlrev_b64 v[28:29], v28, v[0:1]
	v_bfe_u32 v23, v11, 2, 5
	v_cmp_eq_u32_e64 s[40:41], 0, v23
	v_sub_u32_e32 v1, 30, v30
	v_and_b32_e32 v28, 3, v28
	v_cndmask_b32_e64 v1, v23, v1, s[40:41]
	v_cndmask_b32_e64 v23, v3, v28, s[40:41]
	v_lshlrev_b32_e32 v28, 24, v11
	v_and_b32_e32 v28, 0x80000000, v28
	v_lshl_add_u32 v1, v1, 23, v28
	v_cmp_eq_u32_e64 s[40:41], 0, v3
	v_mov_b32_e32 v3, -1
	v_lshl_or_b32 v1, v23, 21, v1
	v_cmp_gt_i16_sdwa s[42:43], sext(v11), v3 src0_sel:BYTE_0 src1_sel:DWORD
	v_mov_b32_e32 v3, 0xff800000
	v_mov_b32_e32 v23, 0x7f800000
	v_cndmask_b32_e64 v3, v3, v23, s[42:43]
	v_mov_b32_e32 v23, 0x7f800001
	v_add_u32_e32 v1, 0x38000000, v1
	v_cndmask_b32_e64 v3, v23, v3, s[40:41]
	v_cndmask_b32_e32 v3, v1, v3, vcc
.LBB4_6092:                             ;   in Loop: Header=BB4_5228 Depth=4
	s_or_b64 exec, exec, s[38:39]
	v_add_f32_e32 v30, v2, v3
	v_and_b32_e32 v2, 0x7f800000, v30
	v_mov_b32_e32 v3, v17
	v_cmp_ne_u64_e32 vcc, s[76:77], v[2:3]
	v_and_b32_e32 v1, 0x7fffff, v30
	v_mov_b32_e32 v2, v17
                                        ; implicit-def: $vgpr3
	s_and_saveexec_b64 s[40:41], vcc
	s_xor_b64 s[42:43], exec, s[40:41]
	s_cbranch_execz .LBB4_6106
; %bb.6093:                             ;   in Loop: Header=BB4_5228 Depth=4
	v_and_b32_e32 v28, 0x7fffffff, v30
	v_mov_b32_e32 v29, v17
	v_cmp_gt_u64_e32 vcc, s[78:79], v[28:29]
	v_and_b32_sdwa v23, v30, s96 dst_sel:DWORD dst_unused:UNUSED_PAD src0_sel:BYTE_3 src1_sel:DWORD
                                        ; implicit-def: $vgpr3
	s_and_saveexec_b64 s[40:41], vcc
	s_xor_b64 s[38:39], exec, s[40:41]
	s_cbranch_execz .LBB4_6103
; %bb.6094:                             ;   in Loop: Header=BB4_5228 Depth=4
	v_mov_b32_e32 v3, 0
	v_cmp_ne_u32_e32 vcc, 0, v30
	s_and_saveexec_b64 s[48:49], vcc
	s_cbranch_execz .LBB4_6102
; %bb.6095:                             ;   in Loop: Header=BB4_5228 Depth=4
	v_bfe_u32 v30, v30, 23, 8
	v_cmp_gt_u32_e64 s[40:41], s46, v30
	v_sub_u32_e32 v3, 0x71, v30
	v_cmp_eq_u32_e32 vcc, 0, v30
	v_cndmask_b32_e64 v3, 0, v3, s[40:41]
	v_mov_b32_e32 v29, 0x70
	v_cndmask_b32_e32 v32, v3, v29, vcc
	v_or_b32_e32 v28, 0x800000, v1
	v_add_u32_e32 v3, 21, v32
	v_cndmask_b32_e32 v1, v28, v1, vcc
	v_lshlrev_b64 v[28:29], v3, -1
	v_add_u32_e32 v3, 20, v32
	v_bfi_b32 v28, v28, 0, v1
	v_lshlrev_b64 v[48:49], v3, 1
	v_lshrrev_b64 v[1:2], v32, v[1:2]
	v_bfi_b32 v29, v29, 0, 0
	v_cmp_eq_u64_e64 s[40:41], v[28:29], v[48:49]
	v_mov_b32_e32 v3, v2
	v_mov_b32_e32 v2, v1
	s_and_saveexec_b64 s[50:51], s[40:41]
; %bb.6096:                             ;   in Loop: Header=BB4_5228 Depth=4
	v_bfe_u32 v2, v1, 21, 1
	v_add_co_u32_e64 v2, s[40:41], v1, v2
	v_add_co_u32_e64 v2, s[40:41], -1, v2
; %bb.6097:                             ;   in Loop: Header=BB4_5228 Depth=4
	s_or_b64 exec, exec, s[50:51]
	v_add_u32_e32 v3, 0xffffff81, v30
	v_mov_b32_e32 v28, 0xffffff82
	v_cndmask_b32_e32 v3, v3, v28, vcc
	v_lshrrev_b32_e32 v28, 23, v1
	v_add3_u32 v32, v32, v3, v28
	v_add_u32_e32 v30, 14, v32
	v_and_b32_e32 v2, 0x1fffff, v2
	v_add_u32_e32 v1, v2, v1
	v_mov_b32_e32 v2, v17
	v_cmp_ne_u32_e32 vcc, 0, v30
                                        ; implicit-def: $vgpr3
	s_and_saveexec_b64 s[40:41], vcc
	s_xor_b64 s[40:41], exec, s[40:41]
; %bb.6098:                             ;   in Loop: Header=BB4_5228 Depth=4
	v_cmp_lt_u64_e32 vcc, s[88:89], v[1:2]
	v_add_u32_e32 v3, 15, v32
	v_cndmask_b32_e64 v28, 0, 1, vcc
	v_cndmask_b32_e32 v3, v30, v3, vcc
	v_lshrrev_b64 v[1:2], v28, v[1:2]
; %bb.6099:                             ;   in Loop: Header=BB4_5228 Depth=4
	s_andn2_saveexec_b64 s[40:41], s[40:41]
; %bb.6100:                             ;   in Loop: Header=BB4_5228 Depth=4
	v_bfe_u32 v3, v1, 23, 1
; %bb.6101:                             ;   in Loop: Header=BB4_5228 Depth=4
	s_or_b64 exec, exec, s[40:41]
	v_lshrrev_b64 v[1:2], 21, v[1:2]
	v_cmp_gt_i32_e32 vcc, 32, v3
	v_cndmask_b32_e32 v2, 0, v2, vcc
	v_cndmask_b32_e32 v1, 3, v1, vcc
	v_cmp_eq_u64_e64 s[40:41], 0, v[1:2]
	v_min_i32_e32 v2, 31, v3
	v_lshlrev_b32_e32 v2, 2, v2
	v_cmp_eq_u32_e32 vcc, 0, v3
	v_and_b32_e32 v2, 0xfc, v2
	v_and_or_b32 v1, v1, 3, v2
	s_and_b64 s[40:41], vcc, s[40:41]
	v_cndmask_b32_e64 v1, v1, 0, s[40:41]
	v_or_b32_e32 v3, v1, v23
.LBB4_6102:                             ;   in Loop: Header=BB4_5228 Depth=4
	s_or_b64 exec, exec, s[48:49]
                                        ; implicit-def: $vgpr23
.LBB4_6103:                             ;   in Loop: Header=BB4_5228 Depth=4
	s_andn2_saveexec_b64 s[40:41], s[38:39]
; %bb.6104:                             ;   in Loop: Header=BB4_5228 Depth=4
	v_or_b32_e32 v3, 0x7b, v23
; %bb.6105:                             ;   in Loop: Header=BB4_5228 Depth=4
	s_or_b64 exec, exec, s[40:41]
                                        ; implicit-def: $vgpr30
                                        ; implicit-def: $vgpr1_vgpr2
.LBB4_6106:                             ;   in Loop: Header=BB4_5228 Depth=4
	s_andn2_saveexec_b64 s[40:41], s[42:43]
	s_cbranch_execz .LBB4_6112
; %bb.6107:                             ;   in Loop: Header=BB4_5228 Depth=4
	v_cmp_ne_u64_e32 vcc, 0, v[1:2]
                                        ; implicit-def: $vgpr3
	s_and_saveexec_b64 s[42:43], vcc
	s_xor_b64 s[42:43], exec, s[42:43]
; %bb.6108:                             ;   in Loop: Header=BB4_5228 Depth=4
	v_or_b32_sdwa v3, v30, s47 dst_sel:DWORD dst_unused:UNUSED_PAD src0_sel:BYTE_3 src1_sel:DWORD
                                        ; implicit-def: $vgpr30
; %bb.6109:                             ;   in Loop: Header=BB4_5228 Depth=4
	s_andn2_saveexec_b64 s[42:43], s[42:43]
; %bb.6110:                             ;   in Loop: Header=BB4_5228 Depth=4
	v_cmp_lt_i32_e32 vcc, -1, v30
	v_bfrev_b32_e32 v1, 0.5
	v_cndmask_b32_e32 v3, v1, v52, vcc
; %bb.6111:                             ;   in Loop: Header=BB4_5228 Depth=4
	s_or_b64 exec, exec, s[42:43]
.LBB4_6112:                             ;   in Loop: Header=BB4_5228 Depth=4
	s_or_b64 exec, exec, s[40:41]
	v_lshrrev_b16_e32 v1, 8, v26
	v_cmp_ne_u16_e32 vcc, 0, v1
	v_mov_b32_e32 v23, 0
	s_and_saveexec_b64 s[40:41], vcc
	s_cbranch_execz .LBB4_6120
; %bb.6113:                             ;   in Loop: Header=BB4_5228 Depth=4
	v_cmp_ne_u16_e32 vcc, s96, v1
	v_bfrev_b32_e32 v23, 1
	s_and_saveexec_b64 s[42:43], vcc
	s_cbranch_execz .LBB4_6119
; %bb.6114:                             ;   in Loop: Header=BB4_5228 Depth=4
	v_and_b32_e32 v2, 0x7c, v1
	v_and_b32_e32 v30, 3, v1
	v_cmp_ne_u32_e32 vcc, s85, v2
                                        ; implicit-def: $vgpr23
	s_and_saveexec_b64 s[38:39], vcc
	s_xor_b64 s[38:39], exec, s[38:39]
	s_cbranch_execz .LBB4_6116
; %bb.6115:                             ;   in Loop: Header=BB4_5228 Depth=4
	v_ffbh_u32_e32 v28, v30
	v_min_u32_e32 v28, 32, v28
	v_mov_b32_e32 v2, v17
	v_subrev_u32_e32 v29, 29, v28
	v_bfe_u32 v23, v1, 2, 5
	v_lshlrev_b64 v[1:2], v29, v[1:2]
	v_sub_u32_e32 v2, 30, v28
	v_cmp_eq_u32_e32 vcc, 0, v23
	v_cndmask_b32_e32 v2, v23, v2, vcc
	v_lshlrev_b32_e32 v23, 16, v26
	v_and_b32_e32 v1, 3, v1
	v_and_b32_e32 v23, 0x80000000, v23
	v_cndmask_b32_e32 v1, v30, v1, vcc
	v_lshl_add_u32 v2, v2, 23, v23
	v_lshl_or_b32 v1, v1, 21, v2
	v_add_u32_e32 v23, 0x38000000, v1
                                        ; implicit-def: $vgpr30
                                        ; implicit-def: $vgpr26
.LBB4_6116:                             ;   in Loop: Header=BB4_5228 Depth=4
	s_andn2_saveexec_b64 s[38:39], s[38:39]
; %bb.6117:                             ;   in Loop: Header=BB4_5228 Depth=4
	v_cmp_lt_i16_e32 vcc, -1, v26
	v_mov_b32_e32 v1, 0xff800000
	v_mov_b32_e32 v2, 0x7f800000
	v_cndmask_b32_e32 v1, v1, v2, vcc
	v_cmp_eq_u32_e32 vcc, 0, v30
	v_mov_b32_e32 v2, 0x7f800001
	v_cndmask_b32_e32 v23, v2, v1, vcc
; %bb.6118:                             ;   in Loop: Header=BB4_5228 Depth=4
	s_or_b64 exec, exec, s[38:39]
.LBB4_6119:                             ;   in Loop: Header=BB4_5228 Depth=4
	s_or_b64 exec, exec, s[42:43]
.LBB4_6120:                             ;   in Loop: Header=BB4_5228 Depth=4
	s_or_b64 exec, exec, s[40:41]
	v_lshrrev_b16_e32 v1, 8, v0
	v_cmp_lt_i16_e32 vcc, s47, v1
	s_mov_b64 s[40:41], 0
	s_and_saveexec_b64 s[42:43], vcc
	s_xor_b64 s[42:43], exec, s[42:43]
	s_cbranch_execz .LBB4_6223
; %bb.6121:                             ;   in Loop: Header=BB4_5228 Depth=4
	v_cmp_eq_u16_e32 vcc, s96, v1
	s_mov_b64 s[40:41], -1
	s_and_saveexec_b64 s[38:39], vcc
; %bb.6122:                             ;   in Loop: Header=BB4_5228 Depth=4
	s_xor_b64 s[40:41], exec, -1
; %bb.6123:                             ;   in Loop: Header=BB4_5228 Depth=4
	s_or_b64 exec, exec, s[38:39]
	s_and_b64 s[40:41], s[40:41], exec
	s_or_saveexec_b64 s[42:43], s[42:43]
	v_bfrev_b32_e32 v2, 1
	s_xor_b64 exec, exec, s[42:43]
	s_cbranch_execnz .LBB4_6224
.LBB4_6124:                             ;   in Loop: Header=BB4_5228 Depth=4
	s_or_b64 exec, exec, s[42:43]
	s_and_saveexec_b64 s[38:39], s[40:41]
	s_cbranch_execz .LBB4_6126
.LBB4_6125:                             ;   in Loop: Header=BB4_5228 Depth=4
	v_and_b32_e32 v26, 3, v1
	v_and_b32_e32 v28, 0x7c, v1
	v_cmp_eq_u32_e32 vcc, s85, v28
	v_ffbh_u32_e32 v28, v26
	v_min_u32_e32 v32, 32, v28
	v_mov_b32_e32 v2, v17
	v_subrev_u32_e32 v28, 29, v32
	v_bfe_u32 v30, v1, 2, 5
	v_lshlrev_b64 v[28:29], v28, v[1:2]
	v_cmp_eq_u32_e64 s[40:41], 0, v30
	v_sub_u32_e32 v2, 30, v32
	v_lshlrev_b32_e32 v1, 24, v1
	v_and_b32_e32 v28, 3, v28
	v_cndmask_b32_e64 v2, v30, v2, s[40:41]
	v_and_b32_e32 v1, 0x80000000, v1
	v_cndmask_b32_e64 v28, v26, v28, s[40:41]
	v_lshl_add_u32 v1, v2, 23, v1
	v_cmp_lt_i16_e64 s[42:43], -1, v0
	v_mov_b32_e32 v0, 0xff800000
	v_mov_b32_e32 v2, 0x7f800000
	v_lshl_or_b32 v1, v28, 21, v1
	v_cmp_eq_u32_e64 s[40:41], 0, v26
	v_cndmask_b32_e64 v0, v0, v2, s[42:43]
	v_mov_b32_e32 v2, 0x7f800001
	v_add_u32_e32 v1, 0x38000000, v1
	v_cndmask_b32_e64 v0, v2, v0, s[40:41]
	v_cndmask_b32_e32 v2, v1, v0, vcc
.LBB4_6126:                             ;   in Loop: Header=BB4_5228 Depth=4
	s_or_b64 exec, exec, s[38:39]
	v_add_f32_e32 v2, v23, v2
	v_and_b32_e32 v28, 0x7f800000, v2
	v_mov_b32_e32 v29, v17
	v_cmp_ne_u64_e32 vcc, s[76:77], v[28:29]
	v_and_b32_e32 v0, 0x7fffff, v2
	v_mov_b32_e32 v1, v17
                                        ; implicit-def: $vgpr23
	s_and_saveexec_b64 s[40:41], vcc
	s_xor_b64 s[42:43], exec, s[40:41]
	s_cbranch_execz .LBB4_6140
; %bb.6127:                             ;   in Loop: Header=BB4_5228 Depth=4
	v_and_b32_e32 v28, 0x7fffffff, v2
	v_mov_b32_e32 v29, v17
	v_cmp_gt_u64_e32 vcc, s[78:79], v[28:29]
	v_and_b32_sdwa v26, v2, s96 dst_sel:DWORD dst_unused:UNUSED_PAD src0_sel:BYTE_3 src1_sel:DWORD
                                        ; implicit-def: $vgpr23
	s_and_saveexec_b64 s[40:41], vcc
	s_xor_b64 s[38:39], exec, s[40:41]
	s_cbranch_execz .LBB4_6137
; %bb.6128:                             ;   in Loop: Header=BB4_5228 Depth=4
	v_mov_b32_e32 v23, 0
	v_cmp_ne_u32_e32 vcc, 0, v2
	s_and_saveexec_b64 s[48:49], vcc
	s_cbranch_execz .LBB4_6136
; %bb.6129:                             ;   in Loop: Header=BB4_5228 Depth=4
	v_bfe_u32 v23, v2, 23, 8
	v_cmp_gt_u32_e64 s[40:41], s46, v23
	v_sub_u32_e32 v2, 0x71, v23
	v_cmp_eq_u32_e32 vcc, 0, v23
	v_cndmask_b32_e64 v2, 0, v2, s[40:41]
	v_mov_b32_e32 v29, 0x70
	v_cndmask_b32_e32 v30, v2, v29, vcc
	v_or_b32_e32 v28, 0x800000, v0
	v_add_u32_e32 v2, 21, v30
	v_cndmask_b32_e32 v0, v28, v0, vcc
	v_lshlrev_b64 v[28:29], v2, -1
	v_add_u32_e32 v2, 20, v30
	v_bfi_b32 v28, v28, 0, v0
	v_lshlrev_b64 v[48:49], v2, 1
	v_lshrrev_b64 v[0:1], v30, v[0:1]
	v_bfi_b32 v29, v29, 0, 0
	v_cmp_eq_u64_e64 s[40:41], v[28:29], v[48:49]
	v_mov_b32_e32 v2, v1
	v_mov_b32_e32 v1, v0
	s_and_saveexec_b64 s[50:51], s[40:41]
; %bb.6130:                             ;   in Loop: Header=BB4_5228 Depth=4
	v_bfe_u32 v1, v0, 21, 1
	v_add_co_u32_e64 v1, s[40:41], v0, v1
	v_add_co_u32_e64 v1, s[40:41], -1, v1
; %bb.6131:                             ;   in Loop: Header=BB4_5228 Depth=4
	s_or_b64 exec, exec, s[50:51]
	v_add_u32_e32 v2, 0xffffff81, v23
	v_mov_b32_e32 v23, 0xffffff82
	v_cndmask_b32_e32 v2, v2, v23, vcc
	v_lshrrev_b32_e32 v23, 23, v0
	v_add3_u32 v30, v30, v2, v23
	v_add_u32_e32 v23, 14, v30
	v_and_b32_e32 v1, 0x1fffff, v1
	v_add_u32_e32 v0, v1, v0
	v_mov_b32_e32 v1, v17
	v_cmp_ne_u32_e32 vcc, 0, v23
                                        ; implicit-def: $vgpr2
	s_and_saveexec_b64 s[40:41], vcc
	s_xor_b64 s[40:41], exec, s[40:41]
; %bb.6132:                             ;   in Loop: Header=BB4_5228 Depth=4
	v_cmp_lt_u64_e32 vcc, s[88:89], v[0:1]
	v_add_u32_e32 v2, 15, v30
	v_cndmask_b32_e32 v2, v23, v2, vcc
	v_cndmask_b32_e64 v23, 0, 1, vcc
	v_lshrrev_b64 v[0:1], v23, v[0:1]
; %bb.6133:                             ;   in Loop: Header=BB4_5228 Depth=4
	s_andn2_saveexec_b64 s[40:41], s[40:41]
; %bb.6134:                             ;   in Loop: Header=BB4_5228 Depth=4
	v_bfe_u32 v2, v0, 23, 1
; %bb.6135:                             ;   in Loop: Header=BB4_5228 Depth=4
	s_or_b64 exec, exec, s[40:41]
	v_lshrrev_b64 v[0:1], 21, v[0:1]
	v_cmp_gt_i32_e32 vcc, 32, v2
	v_cndmask_b32_e32 v1, 0, v1, vcc
	v_cndmask_b32_e32 v0, 3, v0, vcc
	v_cmp_eq_u64_e64 s[40:41], 0, v[0:1]
	v_min_i32_e32 v1, 31, v2
	v_lshlrev_b32_e32 v1, 2, v1
	v_cmp_eq_u32_e32 vcc, 0, v2
	v_and_b32_e32 v1, 0xfc, v1
	v_and_or_b32 v0, v0, 3, v1
	s_and_b64 s[40:41], vcc, s[40:41]
	v_cndmask_b32_e64 v0, v0, 0, s[40:41]
	v_or_b32_e32 v23, v0, v26
.LBB4_6136:                             ;   in Loop: Header=BB4_5228 Depth=4
	s_or_b64 exec, exec, s[48:49]
                                        ; implicit-def: $vgpr26
.LBB4_6137:                             ;   in Loop: Header=BB4_5228 Depth=4
	s_andn2_saveexec_b64 s[40:41], s[38:39]
; %bb.6138:                             ;   in Loop: Header=BB4_5228 Depth=4
	v_or_b32_e32 v23, 0x7b, v26
; %bb.6139:                             ;   in Loop: Header=BB4_5228 Depth=4
	s_or_b64 exec, exec, s[40:41]
                                        ; implicit-def: $vgpr2
                                        ; implicit-def: $vgpr0_vgpr1
.LBB4_6140:                             ;   in Loop: Header=BB4_5228 Depth=4
	s_andn2_saveexec_b64 s[40:41], s[42:43]
	s_cbranch_execz .LBB4_6146
; %bb.6141:                             ;   in Loop: Header=BB4_5228 Depth=4
	v_cmp_ne_u64_e32 vcc, 0, v[0:1]
                                        ; implicit-def: $vgpr23
	s_and_saveexec_b64 s[42:43], vcc
	s_xor_b64 s[42:43], exec, s[42:43]
; %bb.6142:                             ;   in Loop: Header=BB4_5228 Depth=4
	v_or_b32_sdwa v23, v2, s47 dst_sel:DWORD dst_unused:UNUSED_PAD src0_sel:BYTE_3 src1_sel:DWORD
                                        ; implicit-def: $vgpr2
; %bb.6143:                             ;   in Loop: Header=BB4_5228 Depth=4
	s_andn2_saveexec_b64 s[42:43], s[42:43]
; %bb.6144:                             ;   in Loop: Header=BB4_5228 Depth=4
	v_cmp_lt_i32_e32 vcc, -1, v2
	v_bfrev_b32_e32 v0, 0.5
	v_cndmask_b32_e32 v23, v0, v52, vcc
; %bb.6145:                             ;   in Loop: Header=BB4_5228 Depth=4
	s_or_b64 exec, exec, s[42:43]
.LBB4_6146:                             ;   in Loop: Header=BB4_5228 Depth=4
	s_or_b64 exec, exec, s[40:41]
	v_and_b32_sdwa v2, v16, s87 dst_sel:DWORD dst_unused:UNUSED_PAD src0_sel:WORD_1 src1_sel:DWORD
	v_lshrrev_b32_e32 v0, 16, v16
	v_cmp_ne_u16_e32 vcc, 0, v2
	v_mov_b32_e32 v1, 0
	s_and_saveexec_b64 s[40:41], vcc
	s_cbranch_execz .LBB4_6154
; %bb.6147:                             ;   in Loop: Header=BB4_5228 Depth=4
	v_cmp_ne_u16_e32 vcc, s96, v2
	v_bfrev_b32_e32 v1, 1
	s_and_saveexec_b64 s[42:43], vcc
	s_cbranch_execz .LBB4_6153
; %bb.6148:                             ;   in Loop: Header=BB4_5228 Depth=4
	v_and_b32_e32 v1, 0x7c0000, v16
	v_bfe_u32 v2, v16, 16, 2
	v_cmp_ne_u32_e32 vcc, s44, v1
                                        ; implicit-def: $vgpr1
	s_and_saveexec_b64 s[38:39], vcc
	s_xor_b64 s[38:39], exec, s[38:39]
	s_cbranch_execz .LBB4_6150
; %bb.6149:                             ;   in Loop: Header=BB4_5228 Depth=4
	v_ffbh_u32_e32 v1, v2
	v_min_u32_e32 v28, 32, v1
	v_subrev_u32_e32 v1, 29, v28
	v_lshlrev_b64 v[0:1], v1, v[0:1]
	v_bfe_u32 v26, v16, 18, 5
	v_and_b32_e32 v0, 3, v0
	v_cmp_eq_u32_e32 vcc, 0, v26
	v_sub_u32_e32 v1, 30, v28
	v_cndmask_b32_e32 v0, v2, v0, vcc
	v_lshlrev_b32_e32 v2, 8, v16
	v_cndmask_b32_e32 v1, v26, v1, vcc
	v_and_b32_e32 v2, 0x80000000, v2
	v_lshl_add_u32 v1, v1, 23, v2
	v_lshl_or_b32 v0, v0, 21, v1
	v_add_u32_e32 v1, 0x38000000, v0
                                        ; implicit-def: $vgpr2
                                        ; implicit-def: $vgpr0
.LBB4_6150:                             ;   in Loop: Header=BB4_5228 Depth=4
	s_andn2_saveexec_b64 s[38:39], s[38:39]
; %bb.6151:                             ;   in Loop: Header=BB4_5228 Depth=4
	v_mov_b32_e32 v1, -1
	v_cmp_gt_i16_sdwa vcc, sext(v0), v1 src0_sel:BYTE_0 src1_sel:DWORD
	v_mov_b32_e32 v0, 0xff800000
	v_mov_b32_e32 v1, 0x7f800000
	v_cndmask_b32_e32 v0, v0, v1, vcc
	v_cmp_eq_u32_e32 vcc, 0, v2
	v_mov_b32_e32 v1, 0x7f800001
	v_cndmask_b32_e32 v1, v1, v0, vcc
; %bb.6152:                             ;   in Loop: Header=BB4_5228 Depth=4
	s_or_b64 exec, exec, s[38:39]
.LBB4_6153:                             ;   in Loop: Header=BB4_5228 Depth=4
	s_or_b64 exec, exec, s[42:43]
.LBB4_6154:                             ;   in Loop: Header=BB4_5228 Depth=4
	s_or_b64 exec, exec, s[40:41]
	v_lshrrev_b32_e32 v0, 16, v11
	v_cmp_gt_i16_sdwa s[42:43], v0, s47 src0_sel:BYTE_0 src1_sel:DWORD
	s_mov_b64 s[40:41], 0
	s_and_saveexec_b64 vcc, s[42:43]
	s_xor_b64 s[42:43], exec, vcc
	s_cbranch_execz .LBB4_6225
; %bb.6155:                             ;   in Loop: Header=BB4_5228 Depth=4
	v_cmp_eq_u16_sdwa s[38:39], v0, s96 src0_sel:BYTE_0 src1_sel:DWORD
	s_mov_b64 s[40:41], -1
	s_and_saveexec_b64 vcc, s[38:39]
; %bb.6156:                             ;   in Loop: Header=BB4_5228 Depth=4
	s_xor_b64 s[40:41], exec, -1
; %bb.6157:                             ;   in Loop: Header=BB4_5228 Depth=4
	s_or_b64 exec, exec, vcc
	s_and_b64 s[40:41], s[40:41], exec
	s_or_saveexec_b64 s[42:43], s[42:43]
	v_bfrev_b32_e32 v2, 1
	s_xor_b64 exec, exec, s[42:43]
	s_cbranch_execnz .LBB4_6226
.LBB4_6158:                             ;   in Loop: Header=BB4_5228 Depth=4
	s_or_b64 exec, exec, s[42:43]
	s_and_saveexec_b64 s[38:39], s[40:41]
	s_cbranch_execz .LBB4_6160
.LBB4_6159:                             ;   in Loop: Header=BB4_5228 Depth=4
	v_and_b32_e32 v2, 3, v0
	v_and_b32_e32 v28, 0x7c0000, v11
	v_cmp_eq_u32_e32 vcc, s44, v28
	v_ffbh_u32_e32 v28, v2
	v_min_u32_e32 v30, 32, v28
	v_subrev_u32_e32 v28, 29, v30
	v_bfe_u32 v26, v11, 18, 5
	v_lshlrev_b64 v[28:29], v28, v[0:1]
	v_cmp_eq_u32_e64 s[40:41], 0, v26
	v_sub_u32_e32 v29, 30, v30
	v_and_b32_e32 v28, 3, v28
	v_cndmask_b32_e64 v26, v26, v29, s[40:41]
	v_lshlrev_b32_e32 v29, 24, v0
	v_cndmask_b32_e64 v28, v2, v28, s[40:41]
	v_and_b32_e32 v29, 0x80000000, v29
	v_cmp_eq_u32_e64 s[40:41], 0, v2
	v_mov_b32_e32 v2, -1
	v_lshl_add_u32 v26, v26, 23, v29
	v_cmp_gt_i16_sdwa s[42:43], sext(v0), v2 src0_sel:BYTE_0 src1_sel:DWORD
	v_mov_b32_e32 v0, 0xff800000
	v_mov_b32_e32 v2, 0x7f800000
	v_lshl_or_b32 v26, v28, 21, v26
	v_cndmask_b32_e64 v0, v0, v2, s[42:43]
	v_mov_b32_e32 v2, 0x7f800001
	v_add_u32_e32 v26, 0x38000000, v26
	v_cndmask_b32_e64 v0, v2, v0, s[40:41]
	v_cndmask_b32_e32 v2, v26, v0, vcc
.LBB4_6160:                             ;   in Loop: Header=BB4_5228 Depth=4
	s_or_b64 exec, exec, s[38:39]
	v_add_f32_e32 v2, v1, v2
	v_and_b32_e32 v28, 0x7f800000, v2
	v_mov_b32_e32 v29, v17
	v_cmp_ne_u64_e32 vcc, s[76:77], v[28:29]
	v_and_b32_e32 v0, 0x7fffff, v2
	v_mov_b32_e32 v1, v17
                                        ; implicit-def: $vgpr26
	s_and_saveexec_b64 s[40:41], vcc
	s_xor_b64 s[42:43], exec, s[40:41]
	s_cbranch_execz .LBB4_6174
; %bb.6161:                             ;   in Loop: Header=BB4_5228 Depth=4
	v_and_b32_e32 v28, 0x7fffffff, v2
	v_mov_b32_e32 v29, v17
	v_cmp_gt_u64_e32 vcc, s[78:79], v[28:29]
	v_and_b32_sdwa v30, v2, s96 dst_sel:DWORD dst_unused:UNUSED_PAD src0_sel:BYTE_3 src1_sel:DWORD
                                        ; implicit-def: $vgpr26
	s_and_saveexec_b64 s[40:41], vcc
	s_xor_b64 s[38:39], exec, s[40:41]
	s_cbranch_execz .LBB4_6171
; %bb.6162:                             ;   in Loop: Header=BB4_5228 Depth=4
	v_mov_b32_e32 v26, 0
	v_cmp_ne_u32_e32 vcc, 0, v2
	s_and_saveexec_b64 s[48:49], vcc
	s_cbranch_execz .LBB4_6170
; %bb.6163:                             ;   in Loop: Header=BB4_5228 Depth=4
	v_bfe_u32 v26, v2, 23, 8
	v_cmp_gt_u32_e64 s[40:41], s46, v26
	v_sub_u32_e32 v2, 0x71, v26
	v_cmp_eq_u32_e32 vcc, 0, v26
	v_cndmask_b32_e64 v2, 0, v2, s[40:41]
	v_mov_b32_e32 v29, 0x70
	v_cndmask_b32_e32 v32, v2, v29, vcc
	v_or_b32_e32 v28, 0x800000, v0
	v_add_u32_e32 v2, 21, v32
	v_cndmask_b32_e32 v0, v28, v0, vcc
	v_lshlrev_b64 v[28:29], v2, -1
	v_add_u32_e32 v2, 20, v32
	v_bfi_b32 v28, v28, 0, v0
	v_lshlrev_b64 v[48:49], v2, 1
	v_lshrrev_b64 v[0:1], v32, v[0:1]
	v_bfi_b32 v29, v29, 0, 0
	v_cmp_eq_u64_e64 s[40:41], v[28:29], v[48:49]
	v_mov_b32_e32 v2, v1
	v_mov_b32_e32 v1, v0
	s_and_saveexec_b64 s[50:51], s[40:41]
; %bb.6164:                             ;   in Loop: Header=BB4_5228 Depth=4
	v_bfe_u32 v1, v0, 21, 1
	v_add_co_u32_e64 v1, s[40:41], v0, v1
	v_add_co_u32_e64 v1, s[40:41], -1, v1
; %bb.6165:                             ;   in Loop: Header=BB4_5228 Depth=4
	s_or_b64 exec, exec, s[50:51]
	v_add_u32_e32 v2, 0xffffff81, v26
	v_mov_b32_e32 v26, 0xffffff82
	v_cndmask_b32_e32 v2, v2, v26, vcc
	v_lshrrev_b32_e32 v26, 23, v0
	v_add3_u32 v32, v32, v2, v26
	v_add_u32_e32 v26, 14, v32
	v_and_b32_e32 v1, 0x1fffff, v1
	v_add_u32_e32 v0, v1, v0
	v_mov_b32_e32 v1, v17
	v_cmp_ne_u32_e32 vcc, 0, v26
                                        ; implicit-def: $vgpr2
	s_and_saveexec_b64 s[40:41], vcc
	s_xor_b64 s[40:41], exec, s[40:41]
; %bb.6166:                             ;   in Loop: Header=BB4_5228 Depth=4
	v_cmp_lt_u64_e32 vcc, s[88:89], v[0:1]
	v_add_u32_e32 v2, 15, v32
	v_cndmask_b32_e32 v2, v26, v2, vcc
	v_cndmask_b32_e64 v26, 0, 1, vcc
	v_lshrrev_b64 v[0:1], v26, v[0:1]
; %bb.6167:                             ;   in Loop: Header=BB4_5228 Depth=4
	s_andn2_saveexec_b64 s[40:41], s[40:41]
; %bb.6168:                             ;   in Loop: Header=BB4_5228 Depth=4
	v_bfe_u32 v2, v0, 23, 1
; %bb.6169:                             ;   in Loop: Header=BB4_5228 Depth=4
	s_or_b64 exec, exec, s[40:41]
	v_lshrrev_b64 v[0:1], 21, v[0:1]
	v_cmp_gt_i32_e32 vcc, 32, v2
	v_cndmask_b32_e32 v1, 0, v1, vcc
	v_cndmask_b32_e32 v0, 3, v0, vcc
	v_cmp_eq_u64_e64 s[40:41], 0, v[0:1]
	v_min_i32_e32 v1, 31, v2
	v_lshlrev_b32_e32 v1, 2, v1
	v_cmp_eq_u32_e32 vcc, 0, v2
	v_and_b32_e32 v1, 0xfc, v1
	v_and_or_b32 v0, v0, 3, v1
	s_and_b64 s[40:41], vcc, s[40:41]
	v_cndmask_b32_e64 v0, v0, 0, s[40:41]
	v_or_b32_e32 v26, v0, v30
.LBB4_6170:                             ;   in Loop: Header=BB4_5228 Depth=4
	s_or_b64 exec, exec, s[48:49]
                                        ; implicit-def: $vgpr30
.LBB4_6171:                             ;   in Loop: Header=BB4_5228 Depth=4
	s_andn2_saveexec_b64 s[40:41], s[38:39]
; %bb.6172:                             ;   in Loop: Header=BB4_5228 Depth=4
	v_or_b32_e32 v26, 0x7b, v30
; %bb.6173:                             ;   in Loop: Header=BB4_5228 Depth=4
	s_or_b64 exec, exec, s[40:41]
                                        ; implicit-def: $vgpr2
                                        ; implicit-def: $vgpr0_vgpr1
.LBB4_6174:                             ;   in Loop: Header=BB4_5228 Depth=4
	s_andn2_saveexec_b64 s[40:41], s[42:43]
	s_cbranch_execz .LBB4_6180
; %bb.6175:                             ;   in Loop: Header=BB4_5228 Depth=4
	v_cmp_ne_u64_e32 vcc, 0, v[0:1]
                                        ; implicit-def: $vgpr26
	s_and_saveexec_b64 s[42:43], vcc
	s_xor_b64 s[42:43], exec, s[42:43]
; %bb.6176:                             ;   in Loop: Header=BB4_5228 Depth=4
	v_or_b32_sdwa v26, v2, s47 dst_sel:DWORD dst_unused:UNUSED_PAD src0_sel:BYTE_3 src1_sel:DWORD
                                        ; implicit-def: $vgpr2
; %bb.6177:                             ;   in Loop: Header=BB4_5228 Depth=4
	s_andn2_saveexec_b64 s[42:43], s[42:43]
; %bb.6178:                             ;   in Loop: Header=BB4_5228 Depth=4
	v_cmp_lt_i32_e32 vcc, -1, v2
	v_bfrev_b32_e32 v0, 0.5
	v_cndmask_b32_e32 v26, v0, v52, vcc
; %bb.6179:                             ;   in Loop: Header=BB4_5228 Depth=4
	s_or_b64 exec, exec, s[42:43]
.LBB4_6180:                             ;   in Loop: Header=BB4_5228 Depth=4
	s_or_b64 exec, exec, s[40:41]
	v_cmp_lt_u32_e32 vcc, s57, v16
	v_mov_b32_e32 v1, 0
	s_and_saveexec_b64 s[40:41], vcc
	s_cbranch_execz .LBB4_6188
; %bb.6181:                             ;   in Loop: Header=BB4_5228 Depth=4
	v_lshrrev_b32_e32 v0, 24, v16
	v_cmp_ne_u32_e32 vcc, s96, v0
	v_bfrev_b32_e32 v1, 1
	s_and_saveexec_b64 s[42:43], vcc
	s_cbranch_execz .LBB4_6187
; %bb.6182:                             ;   in Loop: Header=BB4_5228 Depth=4
	v_and_b32_e32 v1, 0x7c000000, v16
	v_bfe_u32 v2, v16, 24, 2
	v_cmp_ne_u32_e32 vcc, s45, v1
                                        ; implicit-def: $vgpr1
	s_and_saveexec_b64 s[38:39], vcc
	s_xor_b64 s[38:39], exec, s[38:39]
	s_cbranch_execz .LBB4_6184
; %bb.6183:                             ;   in Loop: Header=BB4_5228 Depth=4
	v_ffbh_u32_e32 v1, v2
	v_min_u32_e32 v29, 32, v1
	v_subrev_u32_e32 v1, 29, v29
	v_lshlrev_b64 v[0:1], v1, v[0:1]
	v_bfe_u32 v28, v16, 26, 5
	v_sub_u32_e32 v1, 30, v29
	v_and_b32_e32 v0, 3, v0
	v_cmp_eq_u32_e32 vcc, 0, v28
	v_cndmask_b32_e32 v1, v28, v1, vcc
	v_cndmask_b32_e32 v0, v2, v0, vcc
	v_and_b32_e32 v2, 0x80000000, v16
	v_lshl_add_u32 v1, v1, 23, v2
	v_lshl_or_b32 v0, v0, 21, v1
	v_add_u32_e32 v1, 0x38000000, v0
                                        ; implicit-def: $vgpr2
.LBB4_6184:                             ;   in Loop: Header=BB4_5228 Depth=4
	s_andn2_saveexec_b64 s[38:39], s[38:39]
; %bb.6185:                             ;   in Loop: Header=BB4_5228 Depth=4
	v_cmp_lt_i32_e32 vcc, -1, v16
	v_mov_b32_e32 v0, 0xff800000
	v_mov_b32_e32 v1, 0x7f800000
	v_cndmask_b32_e32 v0, v0, v1, vcc
	v_cmp_eq_u32_e32 vcc, 0, v2
	v_mov_b32_e32 v1, 0x7f800001
	v_cndmask_b32_e32 v1, v1, v0, vcc
; %bb.6186:                             ;   in Loop: Header=BB4_5228 Depth=4
	s_or_b64 exec, exec, s[38:39]
.LBB4_6187:                             ;   in Loop: Header=BB4_5228 Depth=4
	s_or_b64 exec, exec, s[42:43]
.LBB4_6188:                             ;   in Loop: Header=BB4_5228 Depth=4
	s_or_b64 exec, exec, s[40:41]
	v_bfe_u32 v2, v11, 24, 2
	v_and_b32_e32 v28, 0x7c000000, v11
	v_cmp_eq_u32_e32 vcc, s45, v28
	v_ffbh_u32_e32 v28, v2
	v_min_u32_e32 v30, 32, v28
	v_lshrrev_b32_e32 v0, 24, v11
	v_subrev_u32_e32 v28, 29, v30
	v_bfe_u32 v16, v11, 26, 5
	v_lshlrev_b64 v[28:29], v28, v[0:1]
	v_cmp_eq_u32_e64 s[40:41], 0, v16
	v_sub_u32_e32 v29, 30, v30
	v_and_b32_e32 v28, 3, v28
	v_cndmask_b32_e64 v16, v16, v29, s[40:41]
	v_and_b32_e32 v29, 0x80000000, v11
	v_cndmask_b32_e64 v28, v2, v28, s[40:41]
	v_lshl_add_u32 v16, v16, 23, v29
	v_cmp_lt_i64_e64 s[42:43], -1, v[10:11]
	v_lshl_or_b32 v16, v28, 21, v16
	v_cmp_eq_u32_e64 s[40:41], 0, v2
	v_mov_b32_e32 v2, 0xff800000
	v_mov_b32_e32 v28, 0x7f800000
	v_cndmask_b32_e64 v2, v2, v28, s[42:43]
	v_mov_b32_e32 v28, 0x7f800001
	v_add_u32_e32 v16, 0x38000000, v16
	v_cndmask_b32_e64 v2, v28, v2, s[40:41]
	v_cndmask_b32_e32 v2, v16, v2, vcc
	v_cmp_ne_u32_e32 vcc, s96, v0
	v_bfrev_b32_e32 v0, 1
	v_cndmask_b32_e32 v0, v0, v2, vcc
	v_cmp_lt_u64_e32 vcc, s[56:57], v[10:11]
	v_mov_b32_e32 v11, v17
	v_cndmask_b32_e32 v0, 0, v0, vcc
	v_add_f32_e32 v1, v0, v1
	v_and_b32_e32 v10, 0x7f800000, v1
	v_cmp_ne_u64_e32 vcc, s[76:77], v[10:11]
	v_and_b32_e32 v16, 0x7fffff, v1
                                        ; implicit-def: $vgpr0
	s_and_saveexec_b64 s[40:41], vcc
	s_xor_b64 s[42:43], exec, s[40:41]
	s_cbranch_execz .LBB4_6202
; %bb.6189:                             ;   in Loop: Header=BB4_5228 Depth=4
	v_and_b32_e32 v10, 0x7fffffff, v1
	v_mov_b32_e32 v11, v17
	v_cmp_gt_u64_e32 vcc, s[78:79], v[10:11]
	v_and_b32_sdwa v10, v1, s96 dst_sel:DWORD dst_unused:UNUSED_PAD src0_sel:BYTE_3 src1_sel:DWORD
                                        ; implicit-def: $vgpr0
	s_and_saveexec_b64 s[40:41], vcc
	s_xor_b64 s[38:39], exec, s[40:41]
	s_cbranch_execz .LBB4_6199
; %bb.6190:                             ;   in Loop: Header=BB4_5228 Depth=4
	v_mov_b32_e32 v0, 0
	v_cmp_ne_u32_e32 vcc, 0, v1
	s_and_saveexec_b64 s[48:49], vcc
	s_cbranch_execz .LBB4_6198
; %bb.6191:                             ;   in Loop: Header=BB4_5228 Depth=4
	v_bfe_u32 v11, v1, 23, 8
	v_cmp_gt_u32_e64 s[40:41], s46, v11
	v_sub_u32_e32 v0, 0x71, v11
	v_cmp_eq_u32_e32 vcc, 0, v11
	v_cndmask_b32_e64 v0, 0, v0, s[40:41]
	v_mov_b32_e32 v2, 0x70
	v_cndmask_b32_e32 v30, v0, v2, vcc
	v_add_u32_e32 v2, 21, v30
	v_or_b32_e32 v1, 0x800000, v16
	v_lshlrev_b64 v[28:29], v2, -1
	v_cndmask_b32_e32 v0, v1, v16, vcc
	v_mov_b32_e32 v1, v17
	v_add_u32_e32 v2, 20, v30
	v_bfi_b32 v28, v28, 0, v0
	v_lshlrev_b64 v[48:49], v2, 1
	v_lshrrev_b64 v[0:1], v30, v[0:1]
	v_bfi_b32 v29, v29, 0, 0
	v_cmp_eq_u64_e64 s[40:41], v[28:29], v[48:49]
	v_mov_b32_e32 v2, v1
	v_mov_b32_e32 v1, v0
	s_and_saveexec_b64 s[50:51], s[40:41]
; %bb.6192:                             ;   in Loop: Header=BB4_5228 Depth=4
	v_bfe_u32 v1, v0, 21, 1
	v_add_co_u32_e64 v1, s[40:41], v0, v1
	v_add_co_u32_e64 v1, s[40:41], -1, v1
; %bb.6193:                             ;   in Loop: Header=BB4_5228 Depth=4
	s_or_b64 exec, exec, s[50:51]
	v_add_u32_e32 v2, 0xffffff81, v11
	v_mov_b32_e32 v11, 0xffffff82
	v_cndmask_b32_e32 v2, v2, v11, vcc
	v_lshrrev_b32_e32 v11, 23, v0
	v_add3_u32 v30, v30, v2, v11
	v_add_u32_e32 v11, 14, v30
	v_and_b32_e32 v1, 0x1fffff, v1
	v_add_u32_e32 v16, v1, v0
	v_cmp_ne_u32_e32 vcc, 0, v11
                                        ; implicit-def: $vgpr0_vgpr1
                                        ; implicit-def: $vgpr2
	s_and_saveexec_b64 s[40:41], vcc
	s_xor_b64 s[40:41], exec, s[40:41]
; %bb.6194:                             ;   in Loop: Header=BB4_5228 Depth=4
	v_cmp_lt_u64_e32 vcc, s[88:89], v[16:17]
	v_add_u32_e32 v0, 15, v30
	v_cndmask_b32_e32 v2, v11, v0, vcc
	v_cndmask_b32_e64 v0, 0, 1, vcc
	v_lshrrev_b64 v[0:1], v0, v[16:17]
; %bb.6195:                             ;   in Loop: Header=BB4_5228 Depth=4
	s_andn2_saveexec_b64 s[40:41], s[40:41]
; %bb.6196:                             ;   in Loop: Header=BB4_5228 Depth=4
	v_mov_b32_e32 v0, v16
	v_mov_b32_e32 v1, v17
	v_bfe_u32 v2, v16, 23, 1
; %bb.6197:                             ;   in Loop: Header=BB4_5228 Depth=4
	s_or_b64 exec, exec, s[40:41]
	v_lshrrev_b64 v[0:1], 21, v[0:1]
	v_cmp_gt_i32_e32 vcc, 32, v2
	v_cndmask_b32_e32 v1, 0, v1, vcc
	v_cndmask_b32_e32 v0, 3, v0, vcc
	v_cmp_eq_u64_e64 s[40:41], 0, v[0:1]
	v_min_i32_e32 v1, 31, v2
	v_lshlrev_b32_e32 v1, 2, v1
	v_cmp_eq_u32_e32 vcc, 0, v2
	v_and_b32_e32 v1, 0xfc, v1
	v_and_or_b32 v0, v0, 3, v1
	s_and_b64 s[40:41], vcc, s[40:41]
	v_cndmask_b32_e64 v0, v0, 0, s[40:41]
	v_or_b32_e32 v0, v0, v10
.LBB4_6198:                             ;   in Loop: Header=BB4_5228 Depth=4
	s_or_b64 exec, exec, s[48:49]
                                        ; implicit-def: $vgpr10
.LBB4_6199:                             ;   in Loop: Header=BB4_5228 Depth=4
	s_andn2_saveexec_b64 s[40:41], s[38:39]
; %bb.6200:                             ;   in Loop: Header=BB4_5228 Depth=4
	v_or_b32_e32 v0, 0x7b, v10
; %bb.6201:                             ;   in Loop: Header=BB4_5228 Depth=4
	s_or_b64 exec, exec, s[40:41]
                                        ; implicit-def: $vgpr1
.LBB4_6202:                             ;   in Loop: Header=BB4_5228 Depth=4
	s_andn2_saveexec_b64 s[40:41], s[42:43]
	s_cbranch_execz .LBB4_5227
; %bb.6203:                             ;   in Loop: Header=BB4_5228 Depth=4
	v_cmp_ne_u64_e32 vcc, 0, v[16:17]
                                        ; implicit-def: $vgpr0
	s_and_saveexec_b64 s[42:43], vcc
	s_xor_b64 s[42:43], exec, s[42:43]
; %bb.6204:                             ;   in Loop: Header=BB4_5228 Depth=4
	v_or_b32_sdwa v0, v1, s47 dst_sel:DWORD dst_unused:UNUSED_PAD src0_sel:BYTE_3 src1_sel:DWORD
                                        ; implicit-def: $vgpr1
; %bb.6205:                             ;   in Loop: Header=BB4_5228 Depth=4
	s_andn2_saveexec_b64 s[42:43], s[42:43]
	s_cbranch_execz .LBB4_5226
; %bb.6206:                             ;   in Loop: Header=BB4_5228 Depth=4
	v_cmp_lt_i32_e32 vcc, -1, v1
	v_bfrev_b32_e32 v0, 0.5
	v_cndmask_b32_e32 v0, v0, v52, vcc
	s_branch .LBB4_5226
.LBB4_6207:                             ;   in Loop: Header=BB4_5228 Depth=4
	s_or_saveexec_b64 s[42:43], s[42:43]
	v_bfrev_b32_e32 v1, 1
	s_xor_b64 exec, exec, s[42:43]
	s_cbranch_execz .LBB4_5696
.LBB4_6208:                             ;   in Loop: Header=BB4_5228 Depth=4
	v_cmp_ne_u16_sdwa vcc, v8, v17 src0_sel:BYTE_0 src1_sel:DWORD
	s_andn2_b64 s[40:41], s[40:41], exec
	s_and_b64 vcc, vcc, exec
	v_mov_b32_e32 v1, 0
	s_or_b64 s[40:41], s[40:41], vcc
	s_or_b64 exec, exec, s[42:43]
	s_and_saveexec_b64 s[38:39], s[40:41]
	s_cbranch_execnz .LBB4_5697
	s_branch .LBB4_5698
.LBB4_6209:                             ;   in Loop: Header=BB4_5228 Depth=4
	s_or_saveexec_b64 s[42:43], s[42:43]
	v_bfrev_b32_e32 v1, 1
	s_xor_b64 exec, exec, s[42:43]
	s_cbranch_execz .LBB4_5730
.LBB4_6210:                             ;   in Loop: Header=BB4_5228 Depth=4
	v_cmp_ne_u16_e32 vcc, 0, v0
	s_andn2_b64 s[40:41], s[40:41], exec
	s_and_b64 vcc, vcc, exec
	v_mov_b32_e32 v1, 0
	s_or_b64 s[40:41], s[40:41], vcc
	s_or_b64 exec, exec, s[42:43]
	s_and_saveexec_b64 s[38:39], s[40:41]
	s_cbranch_execnz .LBB4_5731
	s_branch .LBB4_5732
.LBB4_6211:                             ;   in Loop: Header=BB4_5228 Depth=4
	s_or_saveexec_b64 s[42:43], s[42:43]
	v_bfrev_b32_e32 v2, 1
	s_xor_b64 exec, exec, s[42:43]
	s_cbranch_execz .LBB4_5764
.LBB4_6212:                             ;   in Loop: Header=BB4_5228 Depth=4
	v_cmp_ne_u16_sdwa vcc, v0, v17 src0_sel:BYTE_0 src1_sel:DWORD
	s_andn2_b64 s[40:41], s[40:41], exec
	s_and_b64 vcc, vcc, exec
	v_mov_b32_e32 v2, 0
	s_or_b64 s[40:41], s[40:41], vcc
	s_or_b64 exec, exec, s[42:43]
	s_and_saveexec_b64 s[38:39], s[40:41]
	s_cbranch_execnz .LBB4_5765
	s_branch .LBB4_5766
.LBB4_6213:                             ;   in Loop: Header=BB4_5228 Depth=4
	s_or_saveexec_b64 s[42:43], s[42:43]
	v_bfrev_b32_e32 v2, 1
	s_xor_b64 exec, exec, s[42:43]
	s_cbranch_execz .LBB4_5862
.LBB4_6214:                             ;   in Loop: Header=BB4_5228 Depth=4
	v_cmp_ne_u16_e32 vcc, 0, v1
	s_andn2_b64 s[40:41], s[40:41], exec
	s_and_b64 vcc, vcc, exec
	v_mov_b32_e32 v2, 0
	s_or_b64 s[40:41], s[40:41], vcc
	s_or_b64 exec, exec, s[42:43]
	s_and_saveexec_b64 s[38:39], s[40:41]
	s_cbranch_execnz .LBB4_5863
	s_branch .LBB4_5864
.LBB4_6215:                             ;   in Loop: Header=BB4_5228 Depth=4
	s_or_saveexec_b64 s[42:43], s[42:43]
	v_bfrev_b32_e32 v2, 1
	s_xor_b64 exec, exec, s[42:43]
	s_cbranch_execz .LBB4_5896
.LBB4_6216:                             ;   in Loop: Header=BB4_5228 Depth=4
	v_cmp_ne_u16_sdwa vcc, v0, v17 src0_sel:BYTE_0 src1_sel:DWORD
	s_andn2_b64 s[40:41], s[40:41], exec
	s_and_b64 vcc, vcc, exec
	v_mov_b32_e32 v2, 0
	s_or_b64 s[40:41], s[40:41], vcc
	s_or_b64 exec, exec, s[42:43]
	s_and_saveexec_b64 s[38:39], s[40:41]
	s_cbranch_execnz .LBB4_5897
	s_branch .LBB4_5898
.LBB4_6217:                             ;   in Loop: Header=BB4_5228 Depth=4
	s_or_saveexec_b64 s[42:43], s[42:43]
	v_bfrev_b32_e32 v1, 1
	s_xor_b64 exec, exec, s[42:43]
	s_cbranch_execz .LBB4_5958
.LBB4_6218:                             ;   in Loop: Header=BB4_5228 Depth=4
	v_cmp_ne_u16_sdwa vcc, v10, v17 src0_sel:BYTE_0 src1_sel:DWORD
	s_andn2_b64 s[40:41], s[40:41], exec
	s_and_b64 vcc, vcc, exec
	v_mov_b32_e32 v1, 0
	s_or_b64 s[40:41], s[40:41], vcc
	s_or_b64 exec, exec, s[42:43]
	s_and_saveexec_b64 s[38:39], s[40:41]
	s_cbranch_execnz .LBB4_5959
	s_branch .LBB4_5960
.LBB4_6219:                             ;   in Loop: Header=BB4_5228 Depth=4
	s_or_saveexec_b64 s[42:43], s[42:43]
	v_bfrev_b32_e32 v1, 1
	s_xor_b64 exec, exec, s[42:43]
	s_cbranch_execz .LBB4_5992
.LBB4_6220:                             ;   in Loop: Header=BB4_5228 Depth=4
	v_cmp_ne_u16_e32 vcc, 0, v0
	s_andn2_b64 s[40:41], s[40:41], exec
	s_and_b64 vcc, vcc, exec
	v_mov_b32_e32 v1, 0
	s_or_b64 s[40:41], s[40:41], vcc
	s_or_b64 exec, exec, s[42:43]
	s_and_saveexec_b64 s[38:39], s[40:41]
	s_cbranch_execnz .LBB4_5993
	s_branch .LBB4_5994
.LBB4_6221:                             ;   in Loop: Header=BB4_5228 Depth=4
	s_or_saveexec_b64 s[42:43], s[42:43]
	v_bfrev_b32_e32 v2, 1
	s_xor_b64 exec, exec, s[42:43]
	s_cbranch_execz .LBB4_6026
.LBB4_6222:                             ;   in Loop: Header=BB4_5228 Depth=4
	v_cmp_ne_u16_sdwa vcc, v0, v17 src0_sel:BYTE_0 src1_sel:DWORD
	s_andn2_b64 s[40:41], s[40:41], exec
	s_and_b64 vcc, vcc, exec
	v_mov_b32_e32 v2, 0
	s_or_b64 s[40:41], s[40:41], vcc
	s_or_b64 exec, exec, s[42:43]
	s_and_saveexec_b64 s[38:39], s[40:41]
	s_cbranch_execnz .LBB4_6027
	s_branch .LBB4_6028
.LBB4_6223:                             ;   in Loop: Header=BB4_5228 Depth=4
	s_or_saveexec_b64 s[42:43], s[42:43]
	v_bfrev_b32_e32 v2, 1
	s_xor_b64 exec, exec, s[42:43]
	s_cbranch_execz .LBB4_6124
.LBB4_6224:                             ;   in Loop: Header=BB4_5228 Depth=4
	v_cmp_ne_u16_e32 vcc, 0, v1
	s_andn2_b64 s[40:41], s[40:41], exec
	s_and_b64 vcc, vcc, exec
	v_mov_b32_e32 v2, 0
	s_or_b64 s[40:41], s[40:41], vcc
	s_or_b64 exec, exec, s[42:43]
	s_and_saveexec_b64 s[38:39], s[40:41]
	s_cbranch_execnz .LBB4_6125
	s_branch .LBB4_6126
.LBB4_6225:                             ;   in Loop: Header=BB4_5228 Depth=4
	s_or_saveexec_b64 s[42:43], s[42:43]
	v_bfrev_b32_e32 v2, 1
	s_xor_b64 exec, exec, s[42:43]
	s_cbranch_execz .LBB4_6158
.LBB4_6226:                             ;   in Loop: Header=BB4_5228 Depth=4
	v_cmp_ne_u16_sdwa vcc, v0, v17 src0_sel:BYTE_0 src1_sel:DWORD
	s_andn2_b64 s[40:41], s[40:41], exec
	s_and_b64 vcc, vcc, exec
	v_mov_b32_e32 v2, 0
	s_or_b64 s[40:41], s[40:41], vcc
	s_or_b64 exec, exec, s[42:43]
	s_and_saveexec_b64 s[38:39], s[40:41]
	s_cbranch_execnz .LBB4_6159
	s_branch .LBB4_6160
.LBB4_6227:                             ;   in Loop: Header=BB4_3084 Depth=3
	s_or_b64 exec, exec, s[36:37]
.LBB4_6228:                             ;   in Loop: Header=BB4_3084 Depth=3
	s_or_b64 exec, exec, s[34:35]
	buffer_load_dword v0, off, s[0:3], s33 offset:148 ; 4-byte Folded Reload
	v_cmp_lt_i32_e32 vcc, 0, v18
	s_waitcnt vmcnt(0)
	v_and_b32_e32 v0, 15, v0
	v_sub_u32_e32 v1, v7, v0
	v_cndmask_b32_e64 v7, v7, v0, s[28:29]
	buffer_load_dword v0, off, s[0:3], s33 offset:92 ; 4-byte Folded Reload
	v_cndmask_b32_e64 v1, 0, v1, s[28:29]
	v_add3_u32 v6, v6, v4, v1
	s_waitcnt vmcnt(0)
	v_cndmask_b32_e32 v0, 0, v0, vcc
	v_sub_u32_e32 v0, v0, v18
	v_cmp_ne_u32_e32 vcc, 0, v7
	v_lshl_add_u32 v2, v0, 6, v5
	s_and_b64 s[28:29], vcc, exec
.LBB4_6229:                             ;   in Loop: Header=BB4_3084 Depth=3
	s_or_b64 exec, exec, s[30:31]
	s_and_saveexec_b64 s[40:41], s[28:29]
	s_cbranch_execz .LBB4_7474
.LBB4_6230:                             ;   in Loop: Header=BB4_3084 Depth=3
	s_waitcnt vmcnt(1)
	v_ashrrev_i32_e32 v0, 31, v2
	v_ashrrev_i32_e32 v1, 31, v7
	v_lshrrev_b32_e32 v0, 26, v0
	v_lshrrev_b32_e32 v1, 22, v1
	v_add_u32_e32 v0, v2, v0
	v_add_u32_e32 v1, v7, v1
	v_ashrrev_i32_e32 v3, 6, v0
	v_ashrrev_i32_e32 v1, 10, v1
	v_sub_u32_e32 v23, v1, v3
	v_cmp_lt_i32_e32 vcc, 0, v23
	s_and_saveexec_b64 s[42:43], vcc
	s_cbranch_execz .LBB4_7392
; %bb.6231:                             ;   in Loop: Header=BB4_3084 Depth=3
	v_and_b32_e32 v0, 0xffffffc0, v0
	buffer_store_dword v1, off, s[0:3], s33 offset:252 ; 4-byte Folded Spill
	buffer_store_dword v7, off, s[0:3], s33 offset:236 ; 4-byte Folded Spill
	v_sub_u32_e32 v0, v2, v0
	v_lshlrev_b32_e32 v1, 10, v3
	buffer_store_dword v2, off, s[0:3], s33 offset:244 ; 4-byte Folded Spill
	buffer_store_dword v3, off, s[0:3], s33 offset:248 ; 4-byte Folded Spill
	;; [unrolled: 1-line block ×3, first 2 shown]
	v_add3_u32 v2, v6, v0, v1
	s_trap 2
	ds_read_b64 v[0:1], v0
	v_ashrrev_i32_e32 v3, 31, v2
	v_add_co_u32_e32 v8, vcc, v2, v40
	v_addc_co_u32_e32 v9, vcc, v3, v41, vcc
	s_waitcnt lgkmcnt(0)
	v_add_co_u32_e32 v10, vcc, v0, v2
	v_addc_co_u32_e32 v11, vcc, v1, v3, vcc
	v_add_co_u32_e32 v0, vcc, 0x3c0, v53
	v_addc_co_u32_e32 v1, vcc, 0, v54, vcc
	v_add_co_u32_e32 v12, vcc, v0, v2
	v_addc_co_u32_e32 v13, vcc, v1, v3, vcc
	s_mov_b64 s[30:31], 0
	s_branch .LBB4_6234
.LBB4_6232:                             ;   in Loop: Header=BB4_6234 Depth=4
	s_or_b64 exec, exec, s[34:35]
.LBB4_6233:                             ;   in Loop: Header=BB4_6234 Depth=4
	s_or_b64 exec, exec, s[28:29]
	v_add_co_u32_e32 v14, vcc, 0xfffffc40, v12
	v_addc_co_u32_e32 v15, vcc, -1, v13, vcc
	flat_store_byte v[14:15], v33 glc slc
	v_add_co_u32_e32 v14, vcc, 0xfffffc80, v12
	v_addc_co_u32_e32 v15, vcc, -1, v13, vcc
	flat_store_byte v[14:15], v32 glc slc
	;; [unrolled: 3-line block ×6, first 2 shown]
	v_add_co_u32_e32 v4, vcc, 0xfffffdc0, v12
	v_addc_co_u32_e32 v5, vcc, -1, v13, vcc
	v_add_co_u32_e32 v2, vcc, 0xfffffe00, v12
	flat_store_byte v[4:5], v3 glc slc
	v_addc_co_u32_e32 v3, vcc, -1, v13, vcc
	flat_store_byte v[2:3], v6 glc slc
	v_add_co_u32_e32 v2, vcc, 0xfffffe40, v12
	v_addc_co_u32_e32 v3, vcc, -1, v13, vcc
	flat_store_byte v[2:3], v7 glc slc
	v_add_co_u32_e32 v2, vcc, 0xfffffe80, v12
	;; [unrolled: 3-line block ×7, first 2 shown]
	v_addc_co_u32_e32 v3, vcc, -1, v13, vcc
	flat_store_byte v[2:3], v26 glc slc
	flat_store_byte v[12:13], v1 glc slc
	buffer_load_dword v1, off, s[0:3], s33 offset:96 ; 4-byte Folded Reload
	s_nop 0
	buffer_load_dword v0, off, s[0:3], s33 offset:92 ; 4-byte Folded Reload
	s_waitcnt vmcnt(0)
	v_add_co_u32_e32 v8, vcc, v8, v1
	v_addc_co_u32_e32 v9, vcc, 0, v9, vcc
	v_add_co_u32_e32 v10, vcc, v10, v1
	v_addc_co_u32_e32 v11, vcc, 0, v11, vcc
	v_sub_u32_e32 v23, v23, v0
	v_cmp_gt_i32_e32 vcc, 1, v23
	s_or_b64 s[30:31], vcc, s[30:31]
	v_add_co_u32_e32 v12, vcc, v12, v1
	v_addc_co_u32_e32 v13, vcc, 0, v13, vcc
	s_andn2_b64 exec, exec, s[30:31]
	s_cbranch_execz .LBB4_7391
.LBB4_6234:                             ;   Parent Loop BB4_47 Depth=1
                                        ;     Parent Loop BB4_3081 Depth=2
                                        ;       Parent Loop BB4_3084 Depth=3
                                        ; =>      This Inner Loop Header: Depth=4
	s_trap 2
	ds_read_b64 v[0:1], v0
	v_mov_b32_e32 v7, 0
	s_waitcnt lgkmcnt(0)
	v_cmp_eq_u32_sdwa vcc, v0, v17 src0_sel:BYTE_0 src1_sel:DWORD
	v_readfirstlane_b32 s28, v0
	v_readfirstlane_b32 s29, v1
	v_mov_b32_e32 v1, 0
	s_and_b64 vcc, exec, vcc
	s_cbranch_vccnz .LBB4_6240
; %bb.6235:                             ;   in Loop: Header=BB4_6234 Depth=4
	s_bfe_i32 s35, s28, 0x80000
	s_and_b32 vcc_lo, 0xffff, s35
	s_cmpk_eq_u32 vcc_lo, 0xff80
	v_bfrev_b32_e32 v7, 1
	s_cbranch_scc1 .LBB4_6240
; %bb.6236:                             ;   in Loop: Header=BB4_6234 Depth=4
	s_and_b32 s34, s28, 3
	s_and_b32 s36, s28, 0x7c
	s_mov_b64 vcc, -1
	s_cmpk_lg_i32 s36, 0x7c
	s_sext_i32_i16 s35, s35
                                        ; implicit-def: $sgpr36
	s_cbranch_scc0 .LBB4_6238
; %bb.6237:                             ;   in Loop: Header=BB4_6234 Depth=4
	s_flbit_i32_b32 vcc_hi, s34
	s_min_u32 vcc_hi, vcc_hi, 32
	s_sub_i32 s36, vcc_hi, 29
	s_bfe_u32 vcc_lo, s28, 0x50002
	s_lshl_b64 s[28:29], s[28:29], s36
	s_sub_i32 s29, 30, vcc_hi
	s_and_b32 s28, s28, 3
	s_cmp_eq_u32 vcc_lo, 0
	s_cselect_b32 s29, s29, vcc_lo
	s_cselect_b32 s28, s28, s34
	s_and_b32 vcc_lo, s35, 0x80000000
	s_lshl_b32 s29, s29, 23
	s_add_i32 s29, s29, vcc_lo
	s_lshl_b32 s28, s28, 21
	s_or_b32 s28, s29, s28
	s_add_i32 s36, s28, 0x38000000
	s_mov_b64 vcc, 0
.LBB4_6238:                             ;   in Loop: Header=BB4_6234 Depth=4
	s_andn2_b64 vcc, exec, vcc
	v_mov_b32_e32 v7, s36
	s_cbranch_vccnz .LBB4_6240
; %bb.6239:                             ;   in Loop: Header=BB4_6234 Depth=4
	s_cmp_eq_u32 s34, 0
	s_cselect_b64 vcc, -1, 0
	s_cmp_gt_i32 s35, -1
	s_cselect_b64 s[28:29], -1, 0
	v_mov_b32_e32 v0, 0xff800000
	v_mov_b32_e32 v2, 0x7f800000
	v_cndmask_b32_e64 v0, v0, v2, s[28:29]
	v_mov_b32_e32 v2, 0x7f800001
	v_cndmask_b32_e32 v7, v2, v0, vcc
.LBB4_6240:                             ;   in Loop: Header=BB4_6234 Depth=4
	flat_load_sbyte v0, v[8:9] glc slc
	s_waitcnt vmcnt(0) lgkmcnt(0)
	v_cmp_ne_u16_e32 vcc, 0, v0
	s_and_saveexec_b64 s[28:29], vcc
	s_cbranch_execz .LBB4_6248
; %bb.6241:                             ;   in Loop: Header=BB4_6234 Depth=4
	v_cmp_ne_u16_e32 vcc, s97, v0
	v_bfrev_b32_e32 v1, 1
	s_and_saveexec_b64 s[34:35], vcc
	s_cbranch_execz .LBB4_6247
; %bb.6242:                             ;   in Loop: Header=BB4_6234 Depth=4
	v_and_b32_e32 v1, 0x7c, v0
	v_and_b32_e32 v2, 3, v0
	v_cmp_ne_u32_e32 vcc, s85, v1
                                        ; implicit-def: $vgpr1
	s_and_saveexec_b64 s[36:37], vcc
	s_xor_b64 s[36:37], exec, s[36:37]
	s_cbranch_execz .LBB4_6244
; %bb.6243:                             ;   in Loop: Header=BB4_6234 Depth=4
	v_and_b32_e32 v3, 0xff, v0
	v_bfe_u32 v5, v3, 2, 5
	v_ffbh_u32_e32 v3, v2
	v_min_u32_e32 v6, 32, v3
	v_mov_b32_e32 v1, v17
	v_subrev_u32_e32 v3, 29, v6
	v_lshlrev_b64 v[3:4], v3, v[0:1]
	v_sub_u32_e32 v1, 30, v6
	v_cmp_eq_u32_e32 vcc, 0, v5
	v_and_b32_e32 v3, 3, v3
	v_cndmask_b32_e32 v1, v5, v1, vcc
	v_and_b32_sdwa v0, sext(v0), s86 dst_sel:DWORD dst_unused:UNUSED_PAD src0_sel:WORD_0 src1_sel:DWORD
	v_cndmask_b32_e32 v2, v2, v3, vcc
	v_lshl_add_u32 v0, v1, 23, v0
	v_lshl_or_b32 v0, v2, 21, v0
	v_add_u32_e32 v1, 0x38000000, v0
                                        ; implicit-def: $vgpr2
                                        ; implicit-def: $vgpr0
.LBB4_6244:                             ;   in Loop: Header=BB4_6234 Depth=4
	s_andn2_saveexec_b64 s[36:37], s[36:37]
; %bb.6245:                             ;   in Loop: Header=BB4_6234 Depth=4
	v_cmp_lt_i16_e32 vcc, -1, v0
	v_mov_b32_e32 v0, 0xff800000
	v_mov_b32_e32 v1, 0x7f800000
	v_cndmask_b32_e32 v0, v0, v1, vcc
	v_cmp_eq_u32_e32 vcc, 0, v2
	v_mov_b32_e32 v1, 0x7f800001
	v_cndmask_b32_e32 v1, v1, v0, vcc
; %bb.6246:                             ;   in Loop: Header=BB4_6234 Depth=4
	s_or_b64 exec, exec, s[36:37]
.LBB4_6247:                             ;   in Loop: Header=BB4_6234 Depth=4
	s_or_b64 exec, exec, s[34:35]
.LBB4_6248:                             ;   in Loop: Header=BB4_6234 Depth=4
	s_or_b64 exec, exec, s[28:29]
	v_mul_f32_e32 v0, v7, v1
	v_and_b32_e32 v1, 0x7f800000, v0
	v_mov_b32_e32 v2, v17
	v_cmp_ne_u64_e32 vcc, s[76:77], v[1:2]
	v_and_b32_e32 v16, 0x7fffff, v0
                                        ; implicit-def: $vgpr31
	s_and_saveexec_b64 s[28:29], vcc
	s_xor_b64 s[34:35], exec, s[28:29]
	s_cbranch_execz .LBB4_6266
; %bb.6249:                             ;   in Loop: Header=BB4_6234 Depth=4
	v_and_b32_e32 v1, 0x7fffffff, v0
	v_mov_b32_e32 v2, v17
	v_cmp_gt_u64_e32 vcc, s[78:79], v[1:2]
	v_and_b32_sdwa v3, v0, s96 dst_sel:DWORD dst_unused:UNUSED_PAD src0_sel:BYTE_3 src1_sel:DWORD
                                        ; implicit-def: $vgpr31
	s_and_saveexec_b64 s[28:29], vcc
	s_xor_b64 s[36:37], exec, s[28:29]
	s_cbranch_execz .LBB4_6263
; %bb.6250:                             ;   in Loop: Header=BB4_6234 Depth=4
	v_cmp_ne_u32_e32 vcc, 0, v0
	v_mov_b32_e32 v31, 0
	s_and_saveexec_b64 s[38:39], vcc
	s_cbranch_execz .LBB4_6262
; %bb.6251:                             ;   in Loop: Header=BB4_6234 Depth=4
	v_bfe_u32 v4, v0, 23, 8
	v_cmp_gt_u32_e64 s[28:29], s46, v4
	v_sub_u32_e32 v0, 0x71, v4
	v_cmp_eq_u32_e32 vcc, 0, v4
	v_cndmask_b32_e64 v0, 0, v0, s[28:29]
	v_mov_b32_e32 v2, 0x70
	v_cndmask_b32_e32 v5, v0, v2, vcc
	v_add_u32_e32 v2, 21, v5
	v_or_b32_e32 v1, 0x800000, v16
	v_lshlrev_b64 v[14:15], v2, -1
	v_cndmask_b32_e32 v0, v1, v16, vcc
	v_mov_b32_e32 v1, v17
	v_add_u32_e32 v2, 20, v5
	v_bfi_b32 v14, v14, 0, v0
	v_lshlrev_b64 v[18:19], v2, 1
	v_lshrrev_b64 v[0:1], v5, v[0:1]
	v_bfi_b32 v15, v15, 0, 0
	v_cmp_eq_u64_e64 s[28:29], v[14:15], v[18:19]
	v_mov_b32_e32 v2, v1
	v_mov_b32_e32 v1, v0
	s_and_saveexec_b64 s[48:49], s[28:29]
; %bb.6252:                             ;   in Loop: Header=BB4_6234 Depth=4
	v_bfe_u32 v1, v0, 21, 1
	v_add_co_u32_e64 v1, s[28:29], v0, v1
	v_add_co_u32_e64 v1, s[28:29], -1, v1
; %bb.6253:                             ;   in Loop: Header=BB4_6234 Depth=4
	s_or_b64 exec, exec, s[48:49]
	v_add_u32_e32 v2, 0xffffff81, v4
	v_mov_b32_e32 v4, 0xffffff82
	v_cndmask_b32_e32 v2, v2, v4, vcc
	v_lshrrev_b32_e32 v4, 23, v0
	v_add3_u32 v5, v5, v2, v4
	v_add_u32_e32 v4, 14, v5
	v_and_b32_e32 v1, 0x1fffff, v1
	v_add_u32_e32 v16, v1, v0
	v_cmp_ne_u32_e32 vcc, 0, v4
                                        ; implicit-def: $vgpr0_vgpr1
                                        ; implicit-def: $vgpr2
	s_and_saveexec_b64 s[28:29], vcc
	s_xor_b64 s[28:29], exec, s[28:29]
; %bb.6254:                             ;   in Loop: Header=BB4_6234 Depth=4
	v_cmp_lt_u64_e32 vcc, s[88:89], v[16:17]
	v_add_u32_e32 v0, 15, v5
	v_cndmask_b32_e32 v2, v4, v0, vcc
	v_cndmask_b32_e64 v0, 0, 1, vcc
	v_lshrrev_b64 v[0:1], v0, v[16:17]
; %bb.6255:                             ;   in Loop: Header=BB4_6234 Depth=4
	s_andn2_saveexec_b64 s[28:29], s[28:29]
; %bb.6256:                             ;   in Loop: Header=BB4_6234 Depth=4
	v_mov_b32_e32 v0, v16
	v_mov_b32_e32 v1, v17
	v_bfe_u32 v2, v16, 23, 1
; %bb.6257:                             ;   in Loop: Header=BB4_6234 Depth=4
	s_or_b64 exec, exec, s[28:29]
	v_lshrrev_b64 v[0:1], 21, v[0:1]
	v_cmp_gt_i32_e32 vcc, 32, v2
	v_cndmask_b32_e32 v1, 0, v1, vcc
	v_cndmask_b32_e32 v0, 3, v0, vcc
	v_cmp_ne_u64_e32 vcc, 0, v[0:1]
	v_cmp_ne_u32_e64 s[28:29], 0, v2
	s_or_b64 s[28:29], s[28:29], vcc
                                        ; implicit-def: $vgpr31
	s_and_saveexec_b64 vcc, s[28:29]
	s_xor_b64 s[28:29], exec, vcc
; %bb.6258:                             ;   in Loop: Header=BB4_6234 Depth=4
	v_min_i32_e32 v1, 31, v2
	v_lshl_or_b32 v1, v1, 2, v3
	v_and_or_b32 v31, v0, 3, v1
                                        ; implicit-def: $vgpr3
; %bb.6259:                             ;   in Loop: Header=BB4_6234 Depth=4
	s_andn2_saveexec_b64 s[28:29], s[28:29]
; %bb.6260:                             ;   in Loop: Header=BB4_6234 Depth=4
	v_mov_b32_e32 v31, v3
; %bb.6261:                             ;   in Loop: Header=BB4_6234 Depth=4
	s_or_b64 exec, exec, s[28:29]
.LBB4_6262:                             ;   in Loop: Header=BB4_6234 Depth=4
	s_or_b64 exec, exec, s[38:39]
                                        ; implicit-def: $vgpr3
.LBB4_6263:                             ;   in Loop: Header=BB4_6234 Depth=4
	s_andn2_saveexec_b64 s[28:29], s[36:37]
; %bb.6264:                             ;   in Loop: Header=BB4_6234 Depth=4
	v_or_b32_e32 v31, 0x7b, v3
; %bb.6265:                             ;   in Loop: Header=BB4_6234 Depth=4
	s_or_b64 exec, exec, s[28:29]
                                        ; implicit-def: $vgpr0
.LBB4_6266:                             ;   in Loop: Header=BB4_6234 Depth=4
	s_andn2_saveexec_b64 s[28:29], s[34:35]
	s_cbranch_execz .LBB4_6272
; %bb.6267:                             ;   in Loop: Header=BB4_6234 Depth=4
	v_cmp_ne_u64_e32 vcc, 0, v[16:17]
                                        ; implicit-def: $vgpr31
	s_and_saveexec_b64 s[34:35], vcc
	s_xor_b64 vcc, exec, s[34:35]
; %bb.6268:                             ;   in Loop: Header=BB4_6234 Depth=4
	v_or_b32_sdwa v31, v0, s47 dst_sel:DWORD dst_unused:UNUSED_PAD src0_sel:BYTE_3 src1_sel:DWORD
                                        ; implicit-def: $vgpr0
; %bb.6269:                             ;   in Loop: Header=BB4_6234 Depth=4
	s_andn2_saveexec_b64 s[34:35], vcc
; %bb.6270:                             ;   in Loop: Header=BB4_6234 Depth=4
	v_cmp_lt_i32_e32 vcc, -1, v0
	v_cndmask_b32_e32 v31, -4, v52, vcc
; %bb.6271:                             ;   in Loop: Header=BB4_6234 Depth=4
	s_or_b64 exec, exec, s[34:35]
.LBB4_6272:                             ;   in Loop: Header=BB4_6234 Depth=4
	s_or_b64 exec, exec, s[28:29]
	flat_load_sbyte v0, v[8:9] offset:64 glc slc
	v_mov_b32_e32 v1, 0
	s_waitcnt vmcnt(0) lgkmcnt(0)
	v_cmp_ne_u16_e32 vcc, 0, v0
	s_and_saveexec_b64 s[28:29], vcc
	s_cbranch_execz .LBB4_6280
; %bb.6273:                             ;   in Loop: Header=BB4_6234 Depth=4
	v_cmp_ne_u16_e32 vcc, s97, v0
	v_bfrev_b32_e32 v1, 1
	s_and_saveexec_b64 s[34:35], vcc
	s_cbranch_execz .LBB4_6279
; %bb.6274:                             ;   in Loop: Header=BB4_6234 Depth=4
	v_and_b32_e32 v1, 0x7c, v0
	v_and_b32_e32 v2, 3, v0
	v_cmp_ne_u32_e32 vcc, s85, v1
                                        ; implicit-def: $vgpr1
	s_and_saveexec_b64 s[36:37], vcc
	s_xor_b64 s[36:37], exec, s[36:37]
	s_cbranch_execz .LBB4_6276
; %bb.6275:                             ;   in Loop: Header=BB4_6234 Depth=4
	v_and_b32_e32 v3, 0xff, v0
	v_bfe_u32 v5, v3, 2, 5
	v_ffbh_u32_e32 v3, v2
	v_min_u32_e32 v6, 32, v3
	v_mov_b32_e32 v1, v17
	v_subrev_u32_e32 v3, 29, v6
	v_lshlrev_b64 v[3:4], v3, v[0:1]
	v_sub_u32_e32 v1, 30, v6
	v_cmp_eq_u32_e32 vcc, 0, v5
	v_and_b32_e32 v3, 3, v3
	v_cndmask_b32_e32 v1, v5, v1, vcc
	v_and_b32_sdwa v0, sext(v0), s86 dst_sel:DWORD dst_unused:UNUSED_PAD src0_sel:WORD_0 src1_sel:DWORD
	v_cndmask_b32_e32 v2, v2, v3, vcc
	v_lshl_add_u32 v0, v1, 23, v0
	v_lshl_or_b32 v0, v2, 21, v0
	v_add_u32_e32 v1, 0x38000000, v0
                                        ; implicit-def: $vgpr2
                                        ; implicit-def: $vgpr0
.LBB4_6276:                             ;   in Loop: Header=BB4_6234 Depth=4
	s_andn2_saveexec_b64 s[36:37], s[36:37]
; %bb.6277:                             ;   in Loop: Header=BB4_6234 Depth=4
	v_cmp_lt_i16_e32 vcc, -1, v0
	v_mov_b32_e32 v0, 0xff800000
	v_mov_b32_e32 v1, 0x7f800000
	v_cndmask_b32_e32 v0, v0, v1, vcc
	v_cmp_eq_u32_e32 vcc, 0, v2
	v_mov_b32_e32 v1, 0x7f800001
	v_cndmask_b32_e32 v1, v1, v0, vcc
; %bb.6278:                             ;   in Loop: Header=BB4_6234 Depth=4
	s_or_b64 exec, exec, s[36:37]
.LBB4_6279:                             ;   in Loop: Header=BB4_6234 Depth=4
	s_or_b64 exec, exec, s[34:35]
.LBB4_6280:                             ;   in Loop: Header=BB4_6234 Depth=4
	s_or_b64 exec, exec, s[28:29]
	v_mul_f32_e32 v0, v7, v1
	v_and_b32_e32 v1, 0x7f800000, v0
	v_mov_b32_e32 v2, v17
	v_cmp_ne_u64_e32 vcc, s[76:77], v[1:2]
	v_and_b32_e32 v16, 0x7fffff, v0
                                        ; implicit-def: $vgpr2
	s_and_saveexec_b64 s[28:29], vcc
	s_xor_b64 s[34:35], exec, s[28:29]
	s_cbranch_execz .LBB4_6298
; %bb.6281:                             ;   in Loop: Header=BB4_6234 Depth=4
	v_and_b32_e32 v1, 0x7fffffff, v0
	v_mov_b32_e32 v2, v17
	v_cmp_gt_u64_e32 vcc, s[78:79], v[1:2]
	v_and_b32_sdwa v3, v0, s96 dst_sel:DWORD dst_unused:UNUSED_PAD src0_sel:BYTE_3 src1_sel:DWORD
                                        ; implicit-def: $vgpr2
	s_and_saveexec_b64 s[28:29], vcc
	s_xor_b64 s[36:37], exec, s[28:29]
	s_cbranch_execz .LBB4_6295
; %bb.6282:                             ;   in Loop: Header=BB4_6234 Depth=4
	v_cmp_ne_u32_e32 vcc, 0, v0
	v_mov_b32_e32 v2, 0
	s_and_saveexec_b64 s[38:39], vcc
	s_cbranch_execz .LBB4_6294
; %bb.6283:                             ;   in Loop: Header=BB4_6234 Depth=4
	v_bfe_u32 v4, v0, 23, 8
	v_cmp_gt_u32_e64 s[28:29], s46, v4
	v_sub_u32_e32 v0, 0x71, v4
	v_cmp_eq_u32_e32 vcc, 0, v4
	v_cndmask_b32_e64 v0, 0, v0, s[28:29]
	v_mov_b32_e32 v2, 0x70
	v_cndmask_b32_e32 v5, v0, v2, vcc
	v_add_u32_e32 v2, 21, v5
	v_or_b32_e32 v1, 0x800000, v16
	v_lshlrev_b64 v[14:15], v2, -1
	v_cndmask_b32_e32 v0, v1, v16, vcc
	v_mov_b32_e32 v1, v17
	v_add_u32_e32 v2, 20, v5
	v_bfi_b32 v14, v14, 0, v0
	v_lshlrev_b64 v[18:19], v2, 1
	v_lshrrev_b64 v[0:1], v5, v[0:1]
	v_bfi_b32 v15, v15, 0, 0
	v_cmp_eq_u64_e64 s[28:29], v[14:15], v[18:19]
	v_mov_b32_e32 v2, v1
	v_mov_b32_e32 v1, v0
	s_and_saveexec_b64 s[48:49], s[28:29]
; %bb.6284:                             ;   in Loop: Header=BB4_6234 Depth=4
	v_bfe_u32 v1, v0, 21, 1
	v_add_co_u32_e64 v1, s[28:29], v0, v1
	v_add_co_u32_e64 v1, s[28:29], -1, v1
; %bb.6285:                             ;   in Loop: Header=BB4_6234 Depth=4
	s_or_b64 exec, exec, s[48:49]
	v_add_u32_e32 v2, 0xffffff81, v4
	v_mov_b32_e32 v4, 0xffffff82
	v_cndmask_b32_e32 v2, v2, v4, vcc
	v_lshrrev_b32_e32 v4, 23, v0
	v_add3_u32 v5, v5, v2, v4
	v_add_u32_e32 v2, 14, v5
	v_and_b32_e32 v1, 0x1fffff, v1
	v_add_u32_e32 v16, v1, v0
	v_cmp_ne_u32_e32 vcc, 0, v2
                                        ; implicit-def: $vgpr0_vgpr1
                                        ; implicit-def: $vgpr4
	s_and_saveexec_b64 s[28:29], vcc
	s_xor_b64 s[28:29], exec, s[28:29]
; %bb.6286:                             ;   in Loop: Header=BB4_6234 Depth=4
	v_cmp_lt_u64_e32 vcc, s[88:89], v[16:17]
	v_add_u32_e32 v0, 15, v5
	v_cndmask_b32_e32 v4, v2, v0, vcc
	v_cndmask_b32_e64 v0, 0, 1, vcc
	v_lshrrev_b64 v[0:1], v0, v[16:17]
; %bb.6287:                             ;   in Loop: Header=BB4_6234 Depth=4
	s_andn2_saveexec_b64 s[28:29], s[28:29]
; %bb.6288:                             ;   in Loop: Header=BB4_6234 Depth=4
	v_mov_b32_e32 v0, v16
	v_mov_b32_e32 v1, v17
	v_bfe_u32 v4, v16, 23, 1
; %bb.6289:                             ;   in Loop: Header=BB4_6234 Depth=4
	s_or_b64 exec, exec, s[28:29]
	v_lshrrev_b64 v[0:1], 21, v[0:1]
	v_cmp_gt_i32_e32 vcc, 32, v4
	v_cndmask_b32_e32 v1, 0, v1, vcc
	v_cndmask_b32_e32 v0, 3, v0, vcc
	v_cmp_ne_u64_e32 vcc, 0, v[0:1]
	v_cmp_ne_u32_e64 s[28:29], 0, v4
	s_or_b64 s[28:29], s[28:29], vcc
                                        ; implicit-def: $vgpr2
	s_and_saveexec_b64 vcc, s[28:29]
	s_xor_b64 s[28:29], exec, vcc
; %bb.6290:                             ;   in Loop: Header=BB4_6234 Depth=4
	v_min_i32_e32 v1, 31, v4
	v_lshl_or_b32 v1, v1, 2, v3
	v_and_or_b32 v2, v0, 3, v1
                                        ; implicit-def: $vgpr3
; %bb.6291:                             ;   in Loop: Header=BB4_6234 Depth=4
	s_andn2_saveexec_b64 s[28:29], s[28:29]
; %bb.6292:                             ;   in Loop: Header=BB4_6234 Depth=4
	v_mov_b32_e32 v2, v3
; %bb.6293:                             ;   in Loop: Header=BB4_6234 Depth=4
	s_or_b64 exec, exec, s[28:29]
.LBB4_6294:                             ;   in Loop: Header=BB4_6234 Depth=4
	s_or_b64 exec, exec, s[38:39]
                                        ; implicit-def: $vgpr3
.LBB4_6295:                             ;   in Loop: Header=BB4_6234 Depth=4
	s_andn2_saveexec_b64 s[28:29], s[36:37]
; %bb.6296:                             ;   in Loop: Header=BB4_6234 Depth=4
	v_or_b32_e32 v2, 0x7b, v3
; %bb.6297:                             ;   in Loop: Header=BB4_6234 Depth=4
	s_or_b64 exec, exec, s[28:29]
                                        ; implicit-def: $vgpr0
.LBB4_6298:                             ;   in Loop: Header=BB4_6234 Depth=4
	s_andn2_saveexec_b64 s[28:29], s[34:35]
	s_cbranch_execz .LBB4_6304
; %bb.6299:                             ;   in Loop: Header=BB4_6234 Depth=4
	v_cmp_ne_u64_e32 vcc, 0, v[16:17]
                                        ; implicit-def: $vgpr2
	s_and_saveexec_b64 s[34:35], vcc
	s_xor_b64 vcc, exec, s[34:35]
; %bb.6300:                             ;   in Loop: Header=BB4_6234 Depth=4
	v_or_b32_sdwa v2, v0, s47 dst_sel:DWORD dst_unused:UNUSED_PAD src0_sel:BYTE_3 src1_sel:DWORD
                                        ; implicit-def: $vgpr0
; %bb.6301:                             ;   in Loop: Header=BB4_6234 Depth=4
	s_andn2_saveexec_b64 s[34:35], vcc
; %bb.6302:                             ;   in Loop: Header=BB4_6234 Depth=4
	v_cmp_lt_i32_e32 vcc, -1, v0
	v_cndmask_b32_e32 v2, -4, v52, vcc
; %bb.6303:                             ;   in Loop: Header=BB4_6234 Depth=4
	s_or_b64 exec, exec, s[34:35]
.LBB4_6304:                             ;   in Loop: Header=BB4_6234 Depth=4
	s_or_b64 exec, exec, s[28:29]
	flat_load_sbyte v0, v[8:9] offset:128 glc slc
	v_mov_b32_e32 v1, 0
	s_waitcnt vmcnt(0) lgkmcnt(0)
	v_cmp_ne_u16_e32 vcc, 0, v0
	s_and_saveexec_b64 s[28:29], vcc
	s_cbranch_execz .LBB4_6312
; %bb.6305:                             ;   in Loop: Header=BB4_6234 Depth=4
	v_cmp_ne_u16_e32 vcc, s97, v0
	v_bfrev_b32_e32 v1, 1
	s_and_saveexec_b64 s[34:35], vcc
	s_cbranch_execz .LBB4_6311
; %bb.6306:                             ;   in Loop: Header=BB4_6234 Depth=4
	v_and_b32_e32 v1, 0x7c, v0
	v_and_b32_e32 v3, 3, v0
	v_cmp_ne_u32_e32 vcc, s85, v1
                                        ; implicit-def: $vgpr1
	s_and_saveexec_b64 s[36:37], vcc
	s_xor_b64 s[36:37], exec, s[36:37]
	s_cbranch_execz .LBB4_6308
; %bb.6307:                             ;   in Loop: Header=BB4_6234 Depth=4
	v_and_b32_e32 v4, 0xff, v0
	v_bfe_u32 v6, v4, 2, 5
	v_ffbh_u32_e32 v4, v3
	v_min_u32_e32 v14, 32, v4
	v_mov_b32_e32 v1, v17
	v_subrev_u32_e32 v4, 29, v14
	v_lshlrev_b64 v[4:5], v4, v[0:1]
	v_sub_u32_e32 v1, 30, v14
	v_cmp_eq_u32_e32 vcc, 0, v6
	v_and_b32_e32 v4, 3, v4
	v_cndmask_b32_e32 v1, v6, v1, vcc
	v_and_b32_sdwa v0, sext(v0), s86 dst_sel:DWORD dst_unused:UNUSED_PAD src0_sel:WORD_0 src1_sel:DWORD
	v_cndmask_b32_e32 v3, v3, v4, vcc
	v_lshl_add_u32 v0, v1, 23, v0
	v_lshl_or_b32 v0, v3, 21, v0
	v_add_u32_e32 v1, 0x38000000, v0
                                        ; implicit-def: $vgpr3
                                        ; implicit-def: $vgpr0
.LBB4_6308:                             ;   in Loop: Header=BB4_6234 Depth=4
	s_andn2_saveexec_b64 s[36:37], s[36:37]
; %bb.6309:                             ;   in Loop: Header=BB4_6234 Depth=4
	v_cmp_lt_i16_e32 vcc, -1, v0
	v_mov_b32_e32 v0, 0xff800000
	v_mov_b32_e32 v1, 0x7f800000
	v_cndmask_b32_e32 v0, v0, v1, vcc
	v_cmp_eq_u32_e32 vcc, 0, v3
	v_mov_b32_e32 v1, 0x7f800001
	v_cndmask_b32_e32 v1, v1, v0, vcc
; %bb.6310:                             ;   in Loop: Header=BB4_6234 Depth=4
	s_or_b64 exec, exec, s[36:37]
.LBB4_6311:                             ;   in Loop: Header=BB4_6234 Depth=4
	s_or_b64 exec, exec, s[34:35]
.LBB4_6312:                             ;   in Loop: Header=BB4_6234 Depth=4
	s_or_b64 exec, exec, s[28:29]
	v_mul_f32_e32 v0, v7, v1
	v_and_b32_e32 v3, 0x7f800000, v0
	v_mov_b32_e32 v4, v17
	v_cmp_ne_u64_e32 vcc, s[76:77], v[3:4]
	v_and_b32_e32 v16, 0x7fffff, v0
                                        ; implicit-def: $vgpr4
	s_and_saveexec_b64 s[28:29], vcc
	s_xor_b64 s[34:35], exec, s[28:29]
	s_cbranch_execz .LBB4_6330
; %bb.6313:                             ;   in Loop: Header=BB4_6234 Depth=4
	v_and_b32_e32 v3, 0x7fffffff, v0
	v_mov_b32_e32 v4, v17
	v_cmp_gt_u64_e32 vcc, s[78:79], v[3:4]
	v_and_b32_sdwa v5, v0, s96 dst_sel:DWORD dst_unused:UNUSED_PAD src0_sel:BYTE_3 src1_sel:DWORD
                                        ; implicit-def: $vgpr4
	s_and_saveexec_b64 s[28:29], vcc
	s_xor_b64 s[36:37], exec, s[28:29]
	s_cbranch_execz .LBB4_6327
; %bb.6314:                             ;   in Loop: Header=BB4_6234 Depth=4
	v_cmp_ne_u32_e32 vcc, 0, v0
	v_mov_b32_e32 v4, 0
	s_and_saveexec_b64 s[38:39], vcc
	s_cbranch_execz .LBB4_6326
; %bb.6315:                             ;   in Loop: Header=BB4_6234 Depth=4
	v_bfe_u32 v6, v0, 23, 8
	v_cmp_gt_u32_e64 s[28:29], s46, v6
	v_sub_u32_e32 v0, 0x71, v6
	v_cmp_eq_u32_e32 vcc, 0, v6
	v_cndmask_b32_e64 v0, 0, v0, s[28:29]
	v_mov_b32_e32 v3, 0x70
	v_cndmask_b32_e32 v14, v0, v3, vcc
	v_add_u32_e32 v3, 21, v14
	v_or_b32_e32 v1, 0x800000, v16
	v_lshlrev_b64 v[3:4], v3, -1
	v_cndmask_b32_e32 v0, v1, v16, vcc
	v_mov_b32_e32 v1, v17
	v_add_u32_e32 v15, 20, v14
	v_bfi_b32 v3, v3, 0, v0
	v_lshlrev_b64 v[15:16], v15, 1
	v_lshrrev_b64 v[0:1], v14, v[0:1]
	v_bfi_b32 v4, v4, 0, 0
	v_cmp_eq_u64_e64 s[28:29], v[3:4], v[15:16]
	v_mov_b32_e32 v4, v1
	v_mov_b32_e32 v3, v0
	s_and_saveexec_b64 s[48:49], s[28:29]
; %bb.6316:                             ;   in Loop: Header=BB4_6234 Depth=4
	v_bfe_u32 v1, v0, 21, 1
	v_add_co_u32_e64 v1, s[28:29], v0, v1
	v_add_co_u32_e64 v3, s[28:29], -1, v1
; %bb.6317:                             ;   in Loop: Header=BB4_6234 Depth=4
	s_or_b64 exec, exec, s[48:49]
	v_add_u32_e32 v1, 0xffffff81, v6
	v_mov_b32_e32 v4, 0xffffff82
	v_cndmask_b32_e32 v1, v1, v4, vcc
	v_lshrrev_b32_e32 v4, 23, v0
	v_add3_u32 v6, v14, v1, v4
	v_add_u32_e32 v4, 14, v6
	v_and_b32_e32 v1, 0x1fffff, v3
	v_add_u32_e32 v16, v1, v0
	v_cmp_ne_u32_e32 vcc, 0, v4
                                        ; implicit-def: $vgpr0_vgpr1
                                        ; implicit-def: $vgpr3
	s_and_saveexec_b64 s[28:29], vcc
	s_xor_b64 s[28:29], exec, s[28:29]
; %bb.6318:                             ;   in Loop: Header=BB4_6234 Depth=4
	v_cmp_lt_u64_e32 vcc, s[88:89], v[16:17]
	v_add_u32_e32 v0, 15, v6
	v_cndmask_b32_e32 v3, v4, v0, vcc
	v_cndmask_b32_e64 v0, 0, 1, vcc
	v_lshrrev_b64 v[0:1], v0, v[16:17]
; %bb.6319:                             ;   in Loop: Header=BB4_6234 Depth=4
	s_andn2_saveexec_b64 s[28:29], s[28:29]
; %bb.6320:                             ;   in Loop: Header=BB4_6234 Depth=4
	v_mov_b32_e32 v0, v16
	v_mov_b32_e32 v1, v17
	v_bfe_u32 v3, v16, 23, 1
; %bb.6321:                             ;   in Loop: Header=BB4_6234 Depth=4
	s_or_b64 exec, exec, s[28:29]
	v_lshrrev_b64 v[0:1], 21, v[0:1]
	v_cmp_gt_i32_e32 vcc, 32, v3
	v_cndmask_b32_e32 v1, 0, v1, vcc
	v_cndmask_b32_e32 v0, 3, v0, vcc
	v_cmp_ne_u64_e32 vcc, 0, v[0:1]
	v_cmp_ne_u32_e64 s[28:29], 0, v3
	s_or_b64 s[28:29], s[28:29], vcc
                                        ; implicit-def: $vgpr4
	s_and_saveexec_b64 vcc, s[28:29]
	s_xor_b64 s[28:29], exec, vcc
; %bb.6322:                             ;   in Loop: Header=BB4_6234 Depth=4
	v_min_i32_e32 v1, 31, v3
	v_lshl_or_b32 v1, v1, 2, v5
	v_and_or_b32 v4, v0, 3, v1
                                        ; implicit-def: $vgpr5
; %bb.6323:                             ;   in Loop: Header=BB4_6234 Depth=4
	s_andn2_saveexec_b64 s[28:29], s[28:29]
; %bb.6324:                             ;   in Loop: Header=BB4_6234 Depth=4
	v_mov_b32_e32 v4, v5
; %bb.6325:                             ;   in Loop: Header=BB4_6234 Depth=4
	s_or_b64 exec, exec, s[28:29]
.LBB4_6326:                             ;   in Loop: Header=BB4_6234 Depth=4
	s_or_b64 exec, exec, s[38:39]
                                        ; implicit-def: $vgpr5
.LBB4_6327:                             ;   in Loop: Header=BB4_6234 Depth=4
	s_andn2_saveexec_b64 s[28:29], s[36:37]
; %bb.6328:                             ;   in Loop: Header=BB4_6234 Depth=4
	v_or_b32_e32 v4, 0x7b, v5
; %bb.6329:                             ;   in Loop: Header=BB4_6234 Depth=4
	s_or_b64 exec, exec, s[28:29]
                                        ; implicit-def: $vgpr0
.LBB4_6330:                             ;   in Loop: Header=BB4_6234 Depth=4
	s_andn2_saveexec_b64 s[28:29], s[34:35]
	s_cbranch_execz .LBB4_6336
; %bb.6331:                             ;   in Loop: Header=BB4_6234 Depth=4
	v_cmp_ne_u64_e32 vcc, 0, v[16:17]
                                        ; implicit-def: $vgpr4
	s_and_saveexec_b64 s[34:35], vcc
	s_xor_b64 vcc, exec, s[34:35]
; %bb.6332:                             ;   in Loop: Header=BB4_6234 Depth=4
	v_or_b32_sdwa v4, v0, s47 dst_sel:DWORD dst_unused:UNUSED_PAD src0_sel:BYTE_3 src1_sel:DWORD
                                        ; implicit-def: $vgpr0
; %bb.6333:                             ;   in Loop: Header=BB4_6234 Depth=4
	s_andn2_saveexec_b64 s[34:35], vcc
; %bb.6334:                             ;   in Loop: Header=BB4_6234 Depth=4
	v_cmp_lt_i32_e32 vcc, -1, v0
	v_cndmask_b32_e32 v4, -4, v52, vcc
; %bb.6335:                             ;   in Loop: Header=BB4_6234 Depth=4
	s_or_b64 exec, exec, s[34:35]
.LBB4_6336:                             ;   in Loop: Header=BB4_6234 Depth=4
	s_or_b64 exec, exec, s[28:29]
	flat_load_sbyte v0, v[8:9] offset:192 glc slc
	v_mov_b32_e32 v1, 0
	s_waitcnt vmcnt(0) lgkmcnt(0)
	v_cmp_ne_u16_e32 vcc, 0, v0
	s_and_saveexec_b64 s[28:29], vcc
	s_cbranch_execz .LBB4_6344
; %bb.6337:                             ;   in Loop: Header=BB4_6234 Depth=4
	v_cmp_ne_u16_e32 vcc, s97, v0
	v_bfrev_b32_e32 v1, 1
	s_and_saveexec_b64 s[34:35], vcc
	s_cbranch_execz .LBB4_6343
; %bb.6338:                             ;   in Loop: Header=BB4_6234 Depth=4
	v_and_b32_e32 v1, 0x7c, v0
	v_and_b32_e32 v3, 3, v0
	v_cmp_ne_u32_e32 vcc, s85, v1
                                        ; implicit-def: $vgpr1
	s_and_saveexec_b64 s[36:37], vcc
	s_xor_b64 s[36:37], exec, s[36:37]
	s_cbranch_execz .LBB4_6340
; %bb.6339:                             ;   in Loop: Header=BB4_6234 Depth=4
	v_and_b32_e32 v5, 0xff, v0
	v_bfe_u32 v14, v5, 2, 5
	v_ffbh_u32_e32 v5, v3
	v_min_u32_e32 v15, 32, v5
	v_mov_b32_e32 v1, v17
	v_subrev_u32_e32 v5, 29, v15
	v_lshlrev_b64 v[5:6], v5, v[0:1]
	v_sub_u32_e32 v1, 30, v15
	v_cmp_eq_u32_e32 vcc, 0, v14
	v_and_b32_e32 v5, 3, v5
	v_cndmask_b32_e32 v1, v14, v1, vcc
	v_and_b32_sdwa v0, sext(v0), s86 dst_sel:DWORD dst_unused:UNUSED_PAD src0_sel:WORD_0 src1_sel:DWORD
	v_cndmask_b32_e32 v3, v3, v5, vcc
	v_lshl_add_u32 v0, v1, 23, v0
	v_lshl_or_b32 v0, v3, 21, v0
	v_add_u32_e32 v1, 0x38000000, v0
                                        ; implicit-def: $vgpr3
                                        ; implicit-def: $vgpr0
.LBB4_6340:                             ;   in Loop: Header=BB4_6234 Depth=4
	s_andn2_saveexec_b64 s[36:37], s[36:37]
; %bb.6341:                             ;   in Loop: Header=BB4_6234 Depth=4
	v_cmp_lt_i16_e32 vcc, -1, v0
	v_mov_b32_e32 v0, 0xff800000
	v_mov_b32_e32 v1, 0x7f800000
	v_cndmask_b32_e32 v0, v0, v1, vcc
	v_cmp_eq_u32_e32 vcc, 0, v3
	v_mov_b32_e32 v1, 0x7f800001
	v_cndmask_b32_e32 v1, v1, v0, vcc
; %bb.6342:                             ;   in Loop: Header=BB4_6234 Depth=4
	s_or_b64 exec, exec, s[36:37]
.LBB4_6343:                             ;   in Loop: Header=BB4_6234 Depth=4
	s_or_b64 exec, exec, s[34:35]
.LBB4_6344:                             ;   in Loop: Header=BB4_6234 Depth=4
	s_or_b64 exec, exec, s[28:29]
	v_mul_f32_e32 v0, v7, v1
	v_and_b32_e32 v5, 0x7f800000, v0
	v_mov_b32_e32 v6, v17
	v_cmp_ne_u64_e32 vcc, s[76:77], v[5:6]
	v_and_b32_e32 v16, 0x7fffff, v0
                                        ; implicit-def: $vgpr48
	s_and_saveexec_b64 s[28:29], vcc
	s_xor_b64 s[34:35], exec, s[28:29]
	s_cbranch_execz .LBB4_6362
; %bb.6345:                             ;   in Loop: Header=BB4_6234 Depth=4
	v_and_b32_e32 v5, 0x7fffffff, v0
	v_mov_b32_e32 v6, v17
	v_cmp_gt_u64_e32 vcc, s[78:79], v[5:6]
	v_and_b32_sdwa v3, v0, s96 dst_sel:DWORD dst_unused:UNUSED_PAD src0_sel:BYTE_3 src1_sel:DWORD
                                        ; implicit-def: $vgpr48
	s_and_saveexec_b64 s[28:29], vcc
	s_xor_b64 s[36:37], exec, s[28:29]
	s_cbranch_execz .LBB4_6359
; %bb.6346:                             ;   in Loop: Header=BB4_6234 Depth=4
	v_cmp_ne_u32_e32 vcc, 0, v0
	v_mov_b32_e32 v48, 0
	s_and_saveexec_b64 s[38:39], vcc
	s_cbranch_execz .LBB4_6358
; %bb.6347:                             ;   in Loop: Header=BB4_6234 Depth=4
	v_bfe_u32 v14, v0, 23, 8
	v_cmp_gt_u32_e64 s[28:29], s46, v14
	v_sub_u32_e32 v0, 0x71, v14
	v_cmp_eq_u32_e32 vcc, 0, v14
	v_cndmask_b32_e64 v0, 0, v0, s[28:29]
	v_mov_b32_e32 v5, 0x70
	v_cndmask_b32_e32 v15, v0, v5, vcc
	v_add_u32_e32 v5, 21, v15
	v_or_b32_e32 v1, 0x800000, v16
	v_lshlrev_b64 v[5:6], v5, -1
	v_cndmask_b32_e32 v0, v1, v16, vcc
	v_mov_b32_e32 v1, v17
	v_add_u32_e32 v16, 20, v15
	v_bfi_b32 v5, v5, 0, v0
	v_lshlrev_b64 v[18:19], v16, 1
	v_lshrrev_b64 v[0:1], v15, v[0:1]
	v_bfi_b32 v6, v6, 0, 0
	v_cmp_eq_u64_e64 s[28:29], v[5:6], v[18:19]
	v_mov_b32_e32 v6, v1
	v_mov_b32_e32 v5, v0
	s_and_saveexec_b64 s[48:49], s[28:29]
; %bb.6348:                             ;   in Loop: Header=BB4_6234 Depth=4
	v_bfe_u32 v1, v0, 21, 1
	v_add_co_u32_e64 v1, s[28:29], v0, v1
	v_add_co_u32_e64 v5, s[28:29], -1, v1
; %bb.6349:                             ;   in Loop: Header=BB4_6234 Depth=4
	s_or_b64 exec, exec, s[48:49]
	v_add_u32_e32 v1, 0xffffff81, v14
	v_mov_b32_e32 v6, 0xffffff82
	v_cndmask_b32_e32 v1, v1, v6, vcc
	v_lshrrev_b32_e32 v6, 23, v0
	v_add3_u32 v14, v15, v1, v6
	v_add_u32_e32 v6, 14, v14
	v_and_b32_e32 v1, 0x1fffff, v5
	v_add_u32_e32 v16, v1, v0
	v_cmp_ne_u32_e32 vcc, 0, v6
                                        ; implicit-def: $vgpr0_vgpr1
                                        ; implicit-def: $vgpr5
	s_and_saveexec_b64 s[28:29], vcc
	s_xor_b64 s[28:29], exec, s[28:29]
; %bb.6350:                             ;   in Loop: Header=BB4_6234 Depth=4
	v_cmp_lt_u64_e32 vcc, s[88:89], v[16:17]
	v_add_u32_e32 v0, 15, v14
	v_cndmask_b32_e32 v5, v6, v0, vcc
	v_cndmask_b32_e64 v0, 0, 1, vcc
	v_lshrrev_b64 v[0:1], v0, v[16:17]
; %bb.6351:                             ;   in Loop: Header=BB4_6234 Depth=4
	s_andn2_saveexec_b64 s[28:29], s[28:29]
; %bb.6352:                             ;   in Loop: Header=BB4_6234 Depth=4
	v_mov_b32_e32 v0, v16
	v_mov_b32_e32 v1, v17
	v_bfe_u32 v5, v16, 23, 1
; %bb.6353:                             ;   in Loop: Header=BB4_6234 Depth=4
	s_or_b64 exec, exec, s[28:29]
	v_lshrrev_b64 v[0:1], 21, v[0:1]
	v_cmp_gt_i32_e32 vcc, 32, v5
	v_cndmask_b32_e32 v1, 0, v1, vcc
	v_cndmask_b32_e32 v0, 3, v0, vcc
	v_cmp_ne_u64_e32 vcc, 0, v[0:1]
	v_cmp_ne_u32_e64 s[28:29], 0, v5
	s_or_b64 s[28:29], s[28:29], vcc
                                        ; implicit-def: $vgpr48
	s_and_saveexec_b64 vcc, s[28:29]
	s_xor_b64 s[28:29], exec, vcc
; %bb.6354:                             ;   in Loop: Header=BB4_6234 Depth=4
	v_min_i32_e32 v1, 31, v5
	v_lshl_or_b32 v1, v1, 2, v3
	v_and_or_b32 v48, v0, 3, v1
                                        ; implicit-def: $vgpr3
; %bb.6355:                             ;   in Loop: Header=BB4_6234 Depth=4
	s_andn2_saveexec_b64 s[28:29], s[28:29]
; %bb.6356:                             ;   in Loop: Header=BB4_6234 Depth=4
	v_mov_b32_e32 v48, v3
; %bb.6357:                             ;   in Loop: Header=BB4_6234 Depth=4
	s_or_b64 exec, exec, s[28:29]
.LBB4_6358:                             ;   in Loop: Header=BB4_6234 Depth=4
	s_or_b64 exec, exec, s[38:39]
                                        ; implicit-def: $vgpr3
.LBB4_6359:                             ;   in Loop: Header=BB4_6234 Depth=4
	s_andn2_saveexec_b64 s[28:29], s[36:37]
; %bb.6360:                             ;   in Loop: Header=BB4_6234 Depth=4
	v_or_b32_e32 v48, 0x7b, v3
; %bb.6361:                             ;   in Loop: Header=BB4_6234 Depth=4
	s_or_b64 exec, exec, s[28:29]
                                        ; implicit-def: $vgpr0
.LBB4_6362:                             ;   in Loop: Header=BB4_6234 Depth=4
	s_andn2_saveexec_b64 s[28:29], s[34:35]
	s_cbranch_execz .LBB4_6368
; %bb.6363:                             ;   in Loop: Header=BB4_6234 Depth=4
	v_cmp_ne_u64_e32 vcc, 0, v[16:17]
                                        ; implicit-def: $vgpr48
	s_and_saveexec_b64 s[34:35], vcc
	s_xor_b64 vcc, exec, s[34:35]
; %bb.6364:                             ;   in Loop: Header=BB4_6234 Depth=4
	v_or_b32_sdwa v48, v0, s47 dst_sel:DWORD dst_unused:UNUSED_PAD src0_sel:BYTE_3 src1_sel:DWORD
                                        ; implicit-def: $vgpr0
; %bb.6365:                             ;   in Loop: Header=BB4_6234 Depth=4
	s_andn2_saveexec_b64 s[34:35], vcc
; %bb.6366:                             ;   in Loop: Header=BB4_6234 Depth=4
	v_cmp_lt_i32_e32 vcc, -1, v0
	v_cndmask_b32_e32 v48, -4, v52, vcc
; %bb.6367:                             ;   in Loop: Header=BB4_6234 Depth=4
	s_or_b64 exec, exec, s[34:35]
.LBB4_6368:                             ;   in Loop: Header=BB4_6234 Depth=4
	s_or_b64 exec, exec, s[28:29]
	flat_load_sbyte v0, v[8:9] offset:256 glc slc
	v_mov_b32_e32 v1, 0
	s_waitcnt vmcnt(0) lgkmcnt(0)
	v_cmp_ne_u16_e32 vcc, 0, v0
	s_and_saveexec_b64 s[28:29], vcc
	s_cbranch_execz .LBB4_6376
; %bb.6369:                             ;   in Loop: Header=BB4_6234 Depth=4
	v_cmp_ne_u16_e32 vcc, s97, v0
	v_bfrev_b32_e32 v1, 1
	s_and_saveexec_b64 s[34:35], vcc
	s_cbranch_execz .LBB4_6375
; %bb.6370:                             ;   in Loop: Header=BB4_6234 Depth=4
	v_and_b32_e32 v1, 0x7c, v0
	v_and_b32_e32 v3, 3, v0
	v_cmp_ne_u32_e32 vcc, s85, v1
                                        ; implicit-def: $vgpr1
	s_and_saveexec_b64 s[36:37], vcc
	s_xor_b64 s[36:37], exec, s[36:37]
	s_cbranch_execz .LBB4_6372
; %bb.6371:                             ;   in Loop: Header=BB4_6234 Depth=4
	v_and_b32_e32 v5, 0xff, v0
	v_bfe_u32 v14, v5, 2, 5
	v_ffbh_u32_e32 v5, v3
	v_min_u32_e32 v15, 32, v5
	v_mov_b32_e32 v1, v17
	v_subrev_u32_e32 v5, 29, v15
	v_lshlrev_b64 v[5:6], v5, v[0:1]
	v_sub_u32_e32 v1, 30, v15
	v_cmp_eq_u32_e32 vcc, 0, v14
	v_and_b32_e32 v5, 3, v5
	v_cndmask_b32_e32 v1, v14, v1, vcc
	v_and_b32_sdwa v0, sext(v0), s86 dst_sel:DWORD dst_unused:UNUSED_PAD src0_sel:WORD_0 src1_sel:DWORD
	v_cndmask_b32_e32 v3, v3, v5, vcc
	v_lshl_add_u32 v0, v1, 23, v0
	v_lshl_or_b32 v0, v3, 21, v0
	v_add_u32_e32 v1, 0x38000000, v0
                                        ; implicit-def: $vgpr3
                                        ; implicit-def: $vgpr0
.LBB4_6372:                             ;   in Loop: Header=BB4_6234 Depth=4
	s_andn2_saveexec_b64 s[36:37], s[36:37]
; %bb.6373:                             ;   in Loop: Header=BB4_6234 Depth=4
	v_cmp_lt_i16_e32 vcc, -1, v0
	v_mov_b32_e32 v0, 0xff800000
	v_mov_b32_e32 v1, 0x7f800000
	v_cndmask_b32_e32 v0, v0, v1, vcc
	v_cmp_eq_u32_e32 vcc, 0, v3
	v_mov_b32_e32 v1, 0x7f800001
	v_cndmask_b32_e32 v1, v1, v0, vcc
; %bb.6374:                             ;   in Loop: Header=BB4_6234 Depth=4
	s_or_b64 exec, exec, s[36:37]
.LBB4_6375:                             ;   in Loop: Header=BB4_6234 Depth=4
	s_or_b64 exec, exec, s[34:35]
.LBB4_6376:                             ;   in Loop: Header=BB4_6234 Depth=4
	s_or_b64 exec, exec, s[28:29]
	v_mul_f32_e32 v0, v7, v1
	v_and_b32_e32 v5, 0x7f800000, v0
	v_mov_b32_e32 v6, v17
	v_cmp_ne_u64_e32 vcc, s[76:77], v[5:6]
	v_and_b32_e32 v16, 0x7fffff, v0
                                        ; implicit-def: $vgpr30
	s_and_saveexec_b64 s[28:29], vcc
	s_xor_b64 s[34:35], exec, s[28:29]
	s_cbranch_execz .LBB4_6394
; %bb.6377:                             ;   in Loop: Header=BB4_6234 Depth=4
	v_and_b32_e32 v5, 0x7fffffff, v0
	v_mov_b32_e32 v6, v17
	v_cmp_gt_u64_e32 vcc, s[78:79], v[5:6]
	v_and_b32_sdwa v3, v0, s96 dst_sel:DWORD dst_unused:UNUSED_PAD src0_sel:BYTE_3 src1_sel:DWORD
                                        ; implicit-def: $vgpr30
	s_and_saveexec_b64 s[28:29], vcc
	s_xor_b64 s[36:37], exec, s[28:29]
	s_cbranch_execz .LBB4_6391
; %bb.6378:                             ;   in Loop: Header=BB4_6234 Depth=4
	v_cmp_ne_u32_e32 vcc, 0, v0
	v_mov_b32_e32 v30, 0
	s_and_saveexec_b64 s[38:39], vcc
	s_cbranch_execz .LBB4_6390
; %bb.6379:                             ;   in Loop: Header=BB4_6234 Depth=4
	v_bfe_u32 v14, v0, 23, 8
	v_cmp_gt_u32_e64 s[28:29], s46, v14
	v_sub_u32_e32 v0, 0x71, v14
	v_cmp_eq_u32_e32 vcc, 0, v14
	v_cndmask_b32_e64 v0, 0, v0, s[28:29]
	v_mov_b32_e32 v5, 0x70
	v_cndmask_b32_e32 v15, v0, v5, vcc
	v_add_u32_e32 v5, 21, v15
	v_or_b32_e32 v1, 0x800000, v16
	v_lshlrev_b64 v[5:6], v5, -1
	v_cndmask_b32_e32 v0, v1, v16, vcc
	v_mov_b32_e32 v1, v17
	v_add_u32_e32 v16, 20, v15
	v_bfi_b32 v5, v5, 0, v0
	v_lshlrev_b64 v[18:19], v16, 1
	v_lshrrev_b64 v[0:1], v15, v[0:1]
	v_bfi_b32 v6, v6, 0, 0
	v_cmp_eq_u64_e64 s[28:29], v[5:6], v[18:19]
	v_mov_b32_e32 v6, v1
	v_mov_b32_e32 v5, v0
	s_and_saveexec_b64 s[48:49], s[28:29]
; %bb.6380:                             ;   in Loop: Header=BB4_6234 Depth=4
	v_bfe_u32 v1, v0, 21, 1
	v_add_co_u32_e64 v1, s[28:29], v0, v1
	v_add_co_u32_e64 v5, s[28:29], -1, v1
; %bb.6381:                             ;   in Loop: Header=BB4_6234 Depth=4
	s_or_b64 exec, exec, s[48:49]
	v_add_u32_e32 v1, 0xffffff81, v14
	v_mov_b32_e32 v6, 0xffffff82
	v_cndmask_b32_e32 v1, v1, v6, vcc
	v_lshrrev_b32_e32 v6, 23, v0
	v_add3_u32 v14, v15, v1, v6
	v_add_u32_e32 v6, 14, v14
	v_and_b32_e32 v1, 0x1fffff, v5
	v_add_u32_e32 v16, v1, v0
	v_cmp_ne_u32_e32 vcc, 0, v6
                                        ; implicit-def: $vgpr0_vgpr1
                                        ; implicit-def: $vgpr5
	s_and_saveexec_b64 s[28:29], vcc
	s_xor_b64 s[28:29], exec, s[28:29]
; %bb.6382:                             ;   in Loop: Header=BB4_6234 Depth=4
	v_cmp_lt_u64_e32 vcc, s[88:89], v[16:17]
	v_add_u32_e32 v0, 15, v14
	v_cndmask_b32_e32 v5, v6, v0, vcc
	v_cndmask_b32_e64 v0, 0, 1, vcc
	v_lshrrev_b64 v[0:1], v0, v[16:17]
; %bb.6383:                             ;   in Loop: Header=BB4_6234 Depth=4
	s_andn2_saveexec_b64 s[28:29], s[28:29]
; %bb.6384:                             ;   in Loop: Header=BB4_6234 Depth=4
	v_mov_b32_e32 v0, v16
	v_mov_b32_e32 v1, v17
	v_bfe_u32 v5, v16, 23, 1
; %bb.6385:                             ;   in Loop: Header=BB4_6234 Depth=4
	s_or_b64 exec, exec, s[28:29]
	v_lshrrev_b64 v[0:1], 21, v[0:1]
	v_cmp_gt_i32_e32 vcc, 32, v5
	v_cndmask_b32_e32 v1, 0, v1, vcc
	v_cndmask_b32_e32 v0, 3, v0, vcc
	v_cmp_ne_u64_e32 vcc, 0, v[0:1]
	v_cmp_ne_u32_e64 s[28:29], 0, v5
	s_or_b64 s[28:29], s[28:29], vcc
                                        ; implicit-def: $vgpr30
	s_and_saveexec_b64 vcc, s[28:29]
	s_xor_b64 s[28:29], exec, vcc
; %bb.6386:                             ;   in Loop: Header=BB4_6234 Depth=4
	v_min_i32_e32 v1, 31, v5
	v_lshl_or_b32 v1, v1, 2, v3
	v_and_or_b32 v30, v0, 3, v1
                                        ; implicit-def: $vgpr3
; %bb.6387:                             ;   in Loop: Header=BB4_6234 Depth=4
	s_andn2_saveexec_b64 s[28:29], s[28:29]
; %bb.6388:                             ;   in Loop: Header=BB4_6234 Depth=4
	v_mov_b32_e32 v30, v3
; %bb.6389:                             ;   in Loop: Header=BB4_6234 Depth=4
	s_or_b64 exec, exec, s[28:29]
.LBB4_6390:                             ;   in Loop: Header=BB4_6234 Depth=4
	s_or_b64 exec, exec, s[38:39]
                                        ; implicit-def: $vgpr3
.LBB4_6391:                             ;   in Loop: Header=BB4_6234 Depth=4
	s_andn2_saveexec_b64 s[28:29], s[36:37]
; %bb.6392:                             ;   in Loop: Header=BB4_6234 Depth=4
	v_or_b32_e32 v30, 0x7b, v3
; %bb.6393:                             ;   in Loop: Header=BB4_6234 Depth=4
	s_or_b64 exec, exec, s[28:29]
                                        ; implicit-def: $vgpr0
.LBB4_6394:                             ;   in Loop: Header=BB4_6234 Depth=4
	s_andn2_saveexec_b64 s[28:29], s[34:35]
	s_cbranch_execz .LBB4_6400
; %bb.6395:                             ;   in Loop: Header=BB4_6234 Depth=4
	v_cmp_ne_u64_e32 vcc, 0, v[16:17]
                                        ; implicit-def: $vgpr30
	s_and_saveexec_b64 s[34:35], vcc
	s_xor_b64 vcc, exec, s[34:35]
; %bb.6396:                             ;   in Loop: Header=BB4_6234 Depth=4
	v_or_b32_sdwa v30, v0, s47 dst_sel:DWORD dst_unused:UNUSED_PAD src0_sel:BYTE_3 src1_sel:DWORD
                                        ; implicit-def: $vgpr0
; %bb.6397:                             ;   in Loop: Header=BB4_6234 Depth=4
	s_andn2_saveexec_b64 s[34:35], vcc
; %bb.6398:                             ;   in Loop: Header=BB4_6234 Depth=4
	v_cmp_lt_i32_e32 vcc, -1, v0
	v_cndmask_b32_e32 v30, -4, v52, vcc
; %bb.6399:                             ;   in Loop: Header=BB4_6234 Depth=4
	s_or_b64 exec, exec, s[34:35]
.LBB4_6400:                             ;   in Loop: Header=BB4_6234 Depth=4
	s_or_b64 exec, exec, s[28:29]
	flat_load_sbyte v0, v[8:9] offset:320 glc slc
	v_mov_b32_e32 v1, 0
	s_waitcnt vmcnt(0) lgkmcnt(0)
	v_cmp_ne_u16_e32 vcc, 0, v0
	s_and_saveexec_b64 s[28:29], vcc
	s_cbranch_execz .LBB4_6408
; %bb.6401:                             ;   in Loop: Header=BB4_6234 Depth=4
	v_cmp_ne_u16_e32 vcc, s97, v0
	v_bfrev_b32_e32 v1, 1
	s_and_saveexec_b64 s[34:35], vcc
	s_cbranch_execz .LBB4_6407
; %bb.6402:                             ;   in Loop: Header=BB4_6234 Depth=4
	v_and_b32_e32 v1, 0x7c, v0
	v_and_b32_e32 v3, 3, v0
	v_cmp_ne_u32_e32 vcc, s85, v1
                                        ; implicit-def: $vgpr1
	s_and_saveexec_b64 s[36:37], vcc
	s_xor_b64 s[36:37], exec, s[36:37]
	s_cbranch_execz .LBB4_6404
; %bb.6403:                             ;   in Loop: Header=BB4_6234 Depth=4
	v_and_b32_e32 v5, 0xff, v0
	v_bfe_u32 v14, v5, 2, 5
	v_ffbh_u32_e32 v5, v3
	v_min_u32_e32 v15, 32, v5
	v_mov_b32_e32 v1, v17
	v_subrev_u32_e32 v5, 29, v15
	v_lshlrev_b64 v[5:6], v5, v[0:1]
	v_sub_u32_e32 v1, 30, v15
	v_cmp_eq_u32_e32 vcc, 0, v14
	v_and_b32_e32 v5, 3, v5
	v_cndmask_b32_e32 v1, v14, v1, vcc
	v_and_b32_sdwa v0, sext(v0), s86 dst_sel:DWORD dst_unused:UNUSED_PAD src0_sel:WORD_0 src1_sel:DWORD
	v_cndmask_b32_e32 v3, v3, v5, vcc
	v_lshl_add_u32 v0, v1, 23, v0
	v_lshl_or_b32 v0, v3, 21, v0
	v_add_u32_e32 v1, 0x38000000, v0
                                        ; implicit-def: $vgpr3
                                        ; implicit-def: $vgpr0
.LBB4_6404:                             ;   in Loop: Header=BB4_6234 Depth=4
	s_andn2_saveexec_b64 s[36:37], s[36:37]
; %bb.6405:                             ;   in Loop: Header=BB4_6234 Depth=4
	v_cmp_lt_i16_e32 vcc, -1, v0
	v_mov_b32_e32 v0, 0xff800000
	v_mov_b32_e32 v1, 0x7f800000
	v_cndmask_b32_e32 v0, v0, v1, vcc
	v_cmp_eq_u32_e32 vcc, 0, v3
	v_mov_b32_e32 v1, 0x7f800001
	v_cndmask_b32_e32 v1, v1, v0, vcc
; %bb.6406:                             ;   in Loop: Header=BB4_6234 Depth=4
	s_or_b64 exec, exec, s[36:37]
.LBB4_6407:                             ;   in Loop: Header=BB4_6234 Depth=4
	s_or_b64 exec, exec, s[34:35]
.LBB4_6408:                             ;   in Loop: Header=BB4_6234 Depth=4
	s_or_b64 exec, exec, s[28:29]
	v_mul_f32_e32 v0, v7, v1
	v_and_b32_e32 v5, 0x7f800000, v0
	v_mov_b32_e32 v6, v17
	v_cmp_ne_u64_e32 vcc, s[76:77], v[5:6]
	v_and_b32_e32 v16, 0x7fffff, v0
                                        ; implicit-def: $vgpr20
	s_and_saveexec_b64 s[28:29], vcc
	s_xor_b64 s[34:35], exec, s[28:29]
	s_cbranch_execz .LBB4_6426
; %bb.6409:                             ;   in Loop: Header=BB4_6234 Depth=4
	v_and_b32_e32 v5, 0x7fffffff, v0
	v_mov_b32_e32 v6, v17
	v_cmp_gt_u64_e32 vcc, s[78:79], v[5:6]
	v_and_b32_sdwa v3, v0, s96 dst_sel:DWORD dst_unused:UNUSED_PAD src0_sel:BYTE_3 src1_sel:DWORD
                                        ; implicit-def: $vgpr20
	s_and_saveexec_b64 s[28:29], vcc
	s_xor_b64 s[36:37], exec, s[28:29]
	s_cbranch_execz .LBB4_6423
; %bb.6410:                             ;   in Loop: Header=BB4_6234 Depth=4
	v_cmp_ne_u32_e32 vcc, 0, v0
	v_mov_b32_e32 v20, 0
	s_and_saveexec_b64 s[38:39], vcc
	s_cbranch_execz .LBB4_6422
; %bb.6411:                             ;   in Loop: Header=BB4_6234 Depth=4
	v_bfe_u32 v14, v0, 23, 8
	v_cmp_gt_u32_e64 s[28:29], s46, v14
	v_sub_u32_e32 v0, 0x71, v14
	v_cmp_eq_u32_e32 vcc, 0, v14
	v_cndmask_b32_e64 v0, 0, v0, s[28:29]
	v_mov_b32_e32 v5, 0x70
	v_cndmask_b32_e32 v15, v0, v5, vcc
	v_add_u32_e32 v5, 21, v15
	v_or_b32_e32 v1, 0x800000, v16
	v_lshlrev_b64 v[5:6], v5, -1
	v_cndmask_b32_e32 v0, v1, v16, vcc
	v_mov_b32_e32 v1, v17
	v_add_u32_e32 v16, 20, v15
	v_bfi_b32 v5, v5, 0, v0
	v_lshlrev_b64 v[18:19], v16, 1
	v_lshrrev_b64 v[0:1], v15, v[0:1]
	v_bfi_b32 v6, v6, 0, 0
	v_cmp_eq_u64_e64 s[28:29], v[5:6], v[18:19]
	v_mov_b32_e32 v6, v1
	v_mov_b32_e32 v5, v0
	s_and_saveexec_b64 s[48:49], s[28:29]
; %bb.6412:                             ;   in Loop: Header=BB4_6234 Depth=4
	v_bfe_u32 v1, v0, 21, 1
	v_add_co_u32_e64 v1, s[28:29], v0, v1
	v_add_co_u32_e64 v5, s[28:29], -1, v1
; %bb.6413:                             ;   in Loop: Header=BB4_6234 Depth=4
	s_or_b64 exec, exec, s[48:49]
	v_add_u32_e32 v1, 0xffffff81, v14
	v_mov_b32_e32 v6, 0xffffff82
	v_cndmask_b32_e32 v1, v1, v6, vcc
	v_lshrrev_b32_e32 v6, 23, v0
	v_add3_u32 v14, v15, v1, v6
	v_add_u32_e32 v6, 14, v14
	v_and_b32_e32 v1, 0x1fffff, v5
	v_add_u32_e32 v16, v1, v0
	v_cmp_ne_u32_e32 vcc, 0, v6
                                        ; implicit-def: $vgpr0_vgpr1
                                        ; implicit-def: $vgpr5
	s_and_saveexec_b64 s[28:29], vcc
	s_xor_b64 s[28:29], exec, s[28:29]
; %bb.6414:                             ;   in Loop: Header=BB4_6234 Depth=4
	v_cmp_lt_u64_e32 vcc, s[88:89], v[16:17]
	v_add_u32_e32 v0, 15, v14
	v_cndmask_b32_e32 v5, v6, v0, vcc
	v_cndmask_b32_e64 v0, 0, 1, vcc
	v_lshrrev_b64 v[0:1], v0, v[16:17]
; %bb.6415:                             ;   in Loop: Header=BB4_6234 Depth=4
	s_andn2_saveexec_b64 s[28:29], s[28:29]
; %bb.6416:                             ;   in Loop: Header=BB4_6234 Depth=4
	v_mov_b32_e32 v0, v16
	v_mov_b32_e32 v1, v17
	v_bfe_u32 v5, v16, 23, 1
; %bb.6417:                             ;   in Loop: Header=BB4_6234 Depth=4
	s_or_b64 exec, exec, s[28:29]
	v_lshrrev_b64 v[0:1], 21, v[0:1]
	v_cmp_gt_i32_e32 vcc, 32, v5
	v_cndmask_b32_e32 v1, 0, v1, vcc
	v_cndmask_b32_e32 v0, 3, v0, vcc
	v_cmp_ne_u64_e32 vcc, 0, v[0:1]
	v_cmp_ne_u32_e64 s[28:29], 0, v5
	s_or_b64 s[28:29], s[28:29], vcc
                                        ; implicit-def: $vgpr20
	s_and_saveexec_b64 vcc, s[28:29]
	s_xor_b64 s[28:29], exec, vcc
; %bb.6418:                             ;   in Loop: Header=BB4_6234 Depth=4
	v_min_i32_e32 v1, 31, v5
	v_lshl_or_b32 v1, v1, 2, v3
	v_and_or_b32 v20, v0, 3, v1
                                        ; implicit-def: $vgpr3
; %bb.6419:                             ;   in Loop: Header=BB4_6234 Depth=4
	s_andn2_saveexec_b64 s[28:29], s[28:29]
; %bb.6420:                             ;   in Loop: Header=BB4_6234 Depth=4
	v_mov_b32_e32 v20, v3
; %bb.6421:                             ;   in Loop: Header=BB4_6234 Depth=4
	s_or_b64 exec, exec, s[28:29]
.LBB4_6422:                             ;   in Loop: Header=BB4_6234 Depth=4
	s_or_b64 exec, exec, s[38:39]
                                        ; implicit-def: $vgpr3
.LBB4_6423:                             ;   in Loop: Header=BB4_6234 Depth=4
	s_andn2_saveexec_b64 s[28:29], s[36:37]
; %bb.6424:                             ;   in Loop: Header=BB4_6234 Depth=4
	v_or_b32_e32 v20, 0x7b, v3
; %bb.6425:                             ;   in Loop: Header=BB4_6234 Depth=4
	s_or_b64 exec, exec, s[28:29]
                                        ; implicit-def: $vgpr0
.LBB4_6426:                             ;   in Loop: Header=BB4_6234 Depth=4
	s_andn2_saveexec_b64 s[28:29], s[34:35]
	s_cbranch_execz .LBB4_6432
; %bb.6427:                             ;   in Loop: Header=BB4_6234 Depth=4
	v_cmp_ne_u64_e32 vcc, 0, v[16:17]
                                        ; implicit-def: $vgpr20
	s_and_saveexec_b64 s[34:35], vcc
	s_xor_b64 vcc, exec, s[34:35]
; %bb.6428:                             ;   in Loop: Header=BB4_6234 Depth=4
	v_or_b32_sdwa v20, v0, s47 dst_sel:DWORD dst_unused:UNUSED_PAD src0_sel:BYTE_3 src1_sel:DWORD
                                        ; implicit-def: $vgpr0
; %bb.6429:                             ;   in Loop: Header=BB4_6234 Depth=4
	s_andn2_saveexec_b64 s[34:35], vcc
; %bb.6430:                             ;   in Loop: Header=BB4_6234 Depth=4
	v_cmp_lt_i32_e32 vcc, -1, v0
	v_cndmask_b32_e32 v20, -4, v52, vcc
; %bb.6431:                             ;   in Loop: Header=BB4_6234 Depth=4
	s_or_b64 exec, exec, s[34:35]
.LBB4_6432:                             ;   in Loop: Header=BB4_6234 Depth=4
	s_or_b64 exec, exec, s[28:29]
	flat_load_sbyte v0, v[8:9] offset:384 glc slc
	v_mov_b32_e32 v1, 0
	s_waitcnt vmcnt(0) lgkmcnt(0)
	v_cmp_ne_u16_e32 vcc, 0, v0
	s_and_saveexec_b64 s[28:29], vcc
	s_cbranch_execz .LBB4_6440
; %bb.6433:                             ;   in Loop: Header=BB4_6234 Depth=4
	v_cmp_ne_u16_e32 vcc, s97, v0
	v_bfrev_b32_e32 v1, 1
	s_and_saveexec_b64 s[34:35], vcc
	s_cbranch_execz .LBB4_6439
; %bb.6434:                             ;   in Loop: Header=BB4_6234 Depth=4
	v_and_b32_e32 v1, 0x7c, v0
	v_and_b32_e32 v3, 3, v0
	v_cmp_ne_u32_e32 vcc, s85, v1
                                        ; implicit-def: $vgpr1
	s_and_saveexec_b64 s[36:37], vcc
	s_xor_b64 s[36:37], exec, s[36:37]
	s_cbranch_execz .LBB4_6436
; %bb.6435:                             ;   in Loop: Header=BB4_6234 Depth=4
	v_and_b32_e32 v5, 0xff, v0
	v_bfe_u32 v14, v5, 2, 5
	v_ffbh_u32_e32 v5, v3
	v_min_u32_e32 v15, 32, v5
	v_mov_b32_e32 v1, v17
	v_subrev_u32_e32 v5, 29, v15
	v_lshlrev_b64 v[5:6], v5, v[0:1]
	v_sub_u32_e32 v1, 30, v15
	v_cmp_eq_u32_e32 vcc, 0, v14
	v_and_b32_e32 v5, 3, v5
	v_cndmask_b32_e32 v1, v14, v1, vcc
	v_and_b32_sdwa v0, sext(v0), s86 dst_sel:DWORD dst_unused:UNUSED_PAD src0_sel:WORD_0 src1_sel:DWORD
	v_cndmask_b32_e32 v3, v3, v5, vcc
	v_lshl_add_u32 v0, v1, 23, v0
	v_lshl_or_b32 v0, v3, 21, v0
	v_add_u32_e32 v1, 0x38000000, v0
                                        ; implicit-def: $vgpr3
                                        ; implicit-def: $vgpr0
.LBB4_6436:                             ;   in Loop: Header=BB4_6234 Depth=4
	s_andn2_saveexec_b64 s[36:37], s[36:37]
; %bb.6437:                             ;   in Loop: Header=BB4_6234 Depth=4
	v_cmp_lt_i16_e32 vcc, -1, v0
	v_mov_b32_e32 v0, 0xff800000
	v_mov_b32_e32 v1, 0x7f800000
	v_cndmask_b32_e32 v0, v0, v1, vcc
	v_cmp_eq_u32_e32 vcc, 0, v3
	v_mov_b32_e32 v1, 0x7f800001
	v_cndmask_b32_e32 v1, v1, v0, vcc
; %bb.6438:                             ;   in Loop: Header=BB4_6234 Depth=4
	s_or_b64 exec, exec, s[36:37]
.LBB4_6439:                             ;   in Loop: Header=BB4_6234 Depth=4
	s_or_b64 exec, exec, s[34:35]
.LBB4_6440:                             ;   in Loop: Header=BB4_6234 Depth=4
	s_or_b64 exec, exec, s[28:29]
	v_mul_f32_e32 v0, v7, v1
	v_and_b32_e32 v5, 0x7f800000, v0
	v_mov_b32_e32 v6, v17
	v_cmp_ne_u64_e32 vcc, s[76:77], v[5:6]
	v_and_b32_e32 v16, 0x7fffff, v0
                                        ; implicit-def: $vgpr19
	s_and_saveexec_b64 s[28:29], vcc
	s_xor_b64 s[34:35], exec, s[28:29]
	s_cbranch_execz .LBB4_6458
; %bb.6441:                             ;   in Loop: Header=BB4_6234 Depth=4
	v_and_b32_e32 v5, 0x7fffffff, v0
	v_mov_b32_e32 v6, v17
	v_cmp_gt_u64_e32 vcc, s[78:79], v[5:6]
	v_and_b32_sdwa v3, v0, s96 dst_sel:DWORD dst_unused:UNUSED_PAD src0_sel:BYTE_3 src1_sel:DWORD
                                        ; implicit-def: $vgpr19
	s_and_saveexec_b64 s[28:29], vcc
	s_xor_b64 s[36:37], exec, s[28:29]
	s_cbranch_execz .LBB4_6455
; %bb.6442:                             ;   in Loop: Header=BB4_6234 Depth=4
	v_cmp_ne_u32_e32 vcc, 0, v0
	v_mov_b32_e32 v19, 0
	s_and_saveexec_b64 s[38:39], vcc
	s_cbranch_execz .LBB4_6454
; %bb.6443:                             ;   in Loop: Header=BB4_6234 Depth=4
	v_bfe_u32 v14, v0, 23, 8
	v_cmp_gt_u32_e64 s[28:29], s46, v14
	v_sub_u32_e32 v0, 0x71, v14
	v_cmp_eq_u32_e32 vcc, 0, v14
	v_cndmask_b32_e64 v0, 0, v0, s[28:29]
	v_mov_b32_e32 v5, 0x70
	v_cndmask_b32_e32 v15, v0, v5, vcc
	v_add_u32_e32 v5, 21, v15
	v_or_b32_e32 v1, 0x800000, v16
	v_lshlrev_b64 v[5:6], v5, -1
	v_cndmask_b32_e32 v0, v1, v16, vcc
	v_mov_b32_e32 v1, v17
	v_add_u32_e32 v16, 20, v15
	v_bfi_b32 v5, v5, 0, v0
	v_lshlrev_b64 v[18:19], v16, 1
	v_lshrrev_b64 v[0:1], v15, v[0:1]
	v_bfi_b32 v6, v6, 0, 0
	v_cmp_eq_u64_e64 s[28:29], v[5:6], v[18:19]
	v_mov_b32_e32 v6, v1
	v_mov_b32_e32 v5, v0
	s_and_saveexec_b64 s[48:49], s[28:29]
; %bb.6444:                             ;   in Loop: Header=BB4_6234 Depth=4
	v_bfe_u32 v1, v0, 21, 1
	v_add_co_u32_e64 v1, s[28:29], v0, v1
	v_add_co_u32_e64 v5, s[28:29], -1, v1
; %bb.6445:                             ;   in Loop: Header=BB4_6234 Depth=4
	s_or_b64 exec, exec, s[48:49]
	v_add_u32_e32 v1, 0xffffff81, v14
	v_mov_b32_e32 v6, 0xffffff82
	v_cndmask_b32_e32 v1, v1, v6, vcc
	v_lshrrev_b32_e32 v6, 23, v0
	v_add3_u32 v14, v15, v1, v6
	v_add_u32_e32 v6, 14, v14
	v_and_b32_e32 v1, 0x1fffff, v5
	v_add_u32_e32 v16, v1, v0
	v_cmp_ne_u32_e32 vcc, 0, v6
                                        ; implicit-def: $vgpr0_vgpr1
                                        ; implicit-def: $vgpr5
	s_and_saveexec_b64 s[28:29], vcc
	s_xor_b64 s[28:29], exec, s[28:29]
; %bb.6446:                             ;   in Loop: Header=BB4_6234 Depth=4
	v_cmp_lt_u64_e32 vcc, s[88:89], v[16:17]
	v_add_u32_e32 v0, 15, v14
	v_cndmask_b32_e32 v5, v6, v0, vcc
	v_cndmask_b32_e64 v0, 0, 1, vcc
	v_lshrrev_b64 v[0:1], v0, v[16:17]
; %bb.6447:                             ;   in Loop: Header=BB4_6234 Depth=4
	s_andn2_saveexec_b64 s[28:29], s[28:29]
; %bb.6448:                             ;   in Loop: Header=BB4_6234 Depth=4
	v_mov_b32_e32 v0, v16
	v_mov_b32_e32 v1, v17
	v_bfe_u32 v5, v16, 23, 1
; %bb.6449:                             ;   in Loop: Header=BB4_6234 Depth=4
	s_or_b64 exec, exec, s[28:29]
	v_lshrrev_b64 v[0:1], 21, v[0:1]
	v_cmp_gt_i32_e32 vcc, 32, v5
	v_cndmask_b32_e32 v1, 0, v1, vcc
	v_cndmask_b32_e32 v0, 3, v0, vcc
	v_cmp_ne_u64_e32 vcc, 0, v[0:1]
	v_cmp_ne_u32_e64 s[28:29], 0, v5
	s_or_b64 s[28:29], s[28:29], vcc
                                        ; implicit-def: $vgpr19
	s_and_saveexec_b64 vcc, s[28:29]
	s_xor_b64 s[28:29], exec, vcc
; %bb.6450:                             ;   in Loop: Header=BB4_6234 Depth=4
	v_min_i32_e32 v1, 31, v5
	v_lshl_or_b32 v1, v1, 2, v3
	v_and_or_b32 v19, v0, 3, v1
                                        ; implicit-def: $vgpr3
; %bb.6451:                             ;   in Loop: Header=BB4_6234 Depth=4
	s_andn2_saveexec_b64 s[28:29], s[28:29]
; %bb.6452:                             ;   in Loop: Header=BB4_6234 Depth=4
	v_mov_b32_e32 v19, v3
; %bb.6453:                             ;   in Loop: Header=BB4_6234 Depth=4
	s_or_b64 exec, exec, s[28:29]
.LBB4_6454:                             ;   in Loop: Header=BB4_6234 Depth=4
	s_or_b64 exec, exec, s[38:39]
                                        ; implicit-def: $vgpr3
.LBB4_6455:                             ;   in Loop: Header=BB4_6234 Depth=4
	s_andn2_saveexec_b64 s[28:29], s[36:37]
; %bb.6456:                             ;   in Loop: Header=BB4_6234 Depth=4
	v_or_b32_e32 v19, 0x7b, v3
; %bb.6457:                             ;   in Loop: Header=BB4_6234 Depth=4
	s_or_b64 exec, exec, s[28:29]
                                        ; implicit-def: $vgpr0
.LBB4_6458:                             ;   in Loop: Header=BB4_6234 Depth=4
	s_andn2_saveexec_b64 s[28:29], s[34:35]
	s_cbranch_execz .LBB4_6464
; %bb.6459:                             ;   in Loop: Header=BB4_6234 Depth=4
	v_cmp_ne_u64_e32 vcc, 0, v[16:17]
                                        ; implicit-def: $vgpr19
	s_and_saveexec_b64 s[34:35], vcc
	s_xor_b64 vcc, exec, s[34:35]
; %bb.6460:                             ;   in Loop: Header=BB4_6234 Depth=4
	v_or_b32_sdwa v19, v0, s47 dst_sel:DWORD dst_unused:UNUSED_PAD src0_sel:BYTE_3 src1_sel:DWORD
                                        ; implicit-def: $vgpr0
; %bb.6461:                             ;   in Loop: Header=BB4_6234 Depth=4
	s_andn2_saveexec_b64 s[34:35], vcc
; %bb.6462:                             ;   in Loop: Header=BB4_6234 Depth=4
	v_cmp_lt_i32_e32 vcc, -1, v0
	v_cndmask_b32_e32 v19, -4, v52, vcc
; %bb.6463:                             ;   in Loop: Header=BB4_6234 Depth=4
	s_or_b64 exec, exec, s[34:35]
.LBB4_6464:                             ;   in Loop: Header=BB4_6234 Depth=4
	s_or_b64 exec, exec, s[28:29]
	flat_load_sbyte v0, v[8:9] offset:448 glc slc
	v_mov_b32_e32 v1, 0
	s_waitcnt vmcnt(0) lgkmcnt(0)
	v_cmp_ne_u16_e32 vcc, 0, v0
	s_and_saveexec_b64 s[28:29], vcc
	s_cbranch_execz .LBB4_6472
; %bb.6465:                             ;   in Loop: Header=BB4_6234 Depth=4
	v_cmp_ne_u16_e32 vcc, s97, v0
	v_bfrev_b32_e32 v1, 1
	s_and_saveexec_b64 s[34:35], vcc
	s_cbranch_execz .LBB4_6471
; %bb.6466:                             ;   in Loop: Header=BB4_6234 Depth=4
	v_and_b32_e32 v1, 0x7c, v0
	v_and_b32_e32 v3, 3, v0
	v_cmp_ne_u32_e32 vcc, s85, v1
                                        ; implicit-def: $vgpr1
	s_and_saveexec_b64 s[36:37], vcc
	s_xor_b64 s[36:37], exec, s[36:37]
	s_cbranch_execz .LBB4_6468
; %bb.6467:                             ;   in Loop: Header=BB4_6234 Depth=4
	v_and_b32_e32 v5, 0xff, v0
	v_bfe_u32 v14, v5, 2, 5
	v_ffbh_u32_e32 v5, v3
	v_min_u32_e32 v15, 32, v5
	v_mov_b32_e32 v1, v17
	v_subrev_u32_e32 v5, 29, v15
	v_lshlrev_b64 v[5:6], v5, v[0:1]
	v_sub_u32_e32 v1, 30, v15
	v_cmp_eq_u32_e32 vcc, 0, v14
	v_and_b32_e32 v5, 3, v5
	v_cndmask_b32_e32 v1, v14, v1, vcc
	v_and_b32_sdwa v0, sext(v0), s86 dst_sel:DWORD dst_unused:UNUSED_PAD src0_sel:WORD_0 src1_sel:DWORD
	v_cndmask_b32_e32 v3, v3, v5, vcc
	v_lshl_add_u32 v0, v1, 23, v0
	v_lshl_or_b32 v0, v3, 21, v0
	v_add_u32_e32 v1, 0x38000000, v0
                                        ; implicit-def: $vgpr3
                                        ; implicit-def: $vgpr0
.LBB4_6468:                             ;   in Loop: Header=BB4_6234 Depth=4
	s_andn2_saveexec_b64 s[36:37], s[36:37]
; %bb.6469:                             ;   in Loop: Header=BB4_6234 Depth=4
	v_cmp_lt_i16_e32 vcc, -1, v0
	v_mov_b32_e32 v0, 0xff800000
	v_mov_b32_e32 v1, 0x7f800000
	v_cndmask_b32_e32 v0, v0, v1, vcc
	v_cmp_eq_u32_e32 vcc, 0, v3
	v_mov_b32_e32 v1, 0x7f800001
	v_cndmask_b32_e32 v1, v1, v0, vcc
; %bb.6470:                             ;   in Loop: Header=BB4_6234 Depth=4
	s_or_b64 exec, exec, s[36:37]
.LBB4_6471:                             ;   in Loop: Header=BB4_6234 Depth=4
	s_or_b64 exec, exec, s[34:35]
.LBB4_6472:                             ;   in Loop: Header=BB4_6234 Depth=4
	s_or_b64 exec, exec, s[28:29]
	v_mul_f32_e32 v0, v7, v1
	v_and_b32_e32 v5, 0x7f800000, v0
	v_mov_b32_e32 v6, v17
	v_cmp_ne_u64_e32 vcc, s[76:77], v[5:6]
	v_and_b32_e32 v16, 0x7fffff, v0
                                        ; implicit-def: $vgpr18
	s_and_saveexec_b64 s[28:29], vcc
	s_xor_b64 s[34:35], exec, s[28:29]
	s_cbranch_execz .LBB4_6490
; %bb.6473:                             ;   in Loop: Header=BB4_6234 Depth=4
	v_and_b32_e32 v5, 0x7fffffff, v0
	v_mov_b32_e32 v6, v17
	v_cmp_gt_u64_e32 vcc, s[78:79], v[5:6]
	v_and_b32_sdwa v3, v0, s96 dst_sel:DWORD dst_unused:UNUSED_PAD src0_sel:BYTE_3 src1_sel:DWORD
                                        ; implicit-def: $vgpr18
	s_and_saveexec_b64 s[28:29], vcc
	s_xor_b64 s[36:37], exec, s[28:29]
	s_cbranch_execz .LBB4_6487
; %bb.6474:                             ;   in Loop: Header=BB4_6234 Depth=4
	v_cmp_ne_u32_e32 vcc, 0, v0
	v_mov_b32_e32 v18, 0
	s_and_saveexec_b64 s[38:39], vcc
	s_cbranch_execz .LBB4_6486
; %bb.6475:                             ;   in Loop: Header=BB4_6234 Depth=4
	v_bfe_u32 v14, v0, 23, 8
	v_cmp_gt_u32_e64 s[28:29], s46, v14
	v_sub_u32_e32 v0, 0x71, v14
	v_cmp_eq_u32_e32 vcc, 0, v14
	v_cndmask_b32_e64 v0, 0, v0, s[28:29]
	v_mov_b32_e32 v5, 0x70
	v_cndmask_b32_e32 v15, v0, v5, vcc
	v_add_u32_e32 v5, 21, v15
	v_or_b32_e32 v1, 0x800000, v16
	v_lshlrev_b64 v[5:6], v5, -1
	v_cndmask_b32_e32 v0, v1, v16, vcc
	v_mov_b32_e32 v1, v17
	v_add_u32_e32 v16, 20, v15
	v_bfi_b32 v5, v5, 0, v0
	v_lshlrev_b64 v[24:25], v16, 1
	v_lshrrev_b64 v[0:1], v15, v[0:1]
	v_bfi_b32 v6, v6, 0, 0
	v_cmp_eq_u64_e64 s[28:29], v[5:6], v[24:25]
	v_mov_b32_e32 v6, v1
	v_mov_b32_e32 v5, v0
	s_and_saveexec_b64 s[48:49], s[28:29]
; %bb.6476:                             ;   in Loop: Header=BB4_6234 Depth=4
	v_bfe_u32 v1, v0, 21, 1
	v_add_co_u32_e64 v1, s[28:29], v0, v1
	v_add_co_u32_e64 v5, s[28:29], -1, v1
; %bb.6477:                             ;   in Loop: Header=BB4_6234 Depth=4
	s_or_b64 exec, exec, s[48:49]
	v_add_u32_e32 v1, 0xffffff81, v14
	v_mov_b32_e32 v6, 0xffffff82
	v_cndmask_b32_e32 v1, v1, v6, vcc
	v_lshrrev_b32_e32 v6, 23, v0
	v_add3_u32 v14, v15, v1, v6
	v_add_u32_e32 v6, 14, v14
	v_and_b32_e32 v1, 0x1fffff, v5
	v_add_u32_e32 v16, v1, v0
	v_cmp_ne_u32_e32 vcc, 0, v6
                                        ; implicit-def: $vgpr0_vgpr1
                                        ; implicit-def: $vgpr5
	s_and_saveexec_b64 s[28:29], vcc
	s_xor_b64 s[28:29], exec, s[28:29]
; %bb.6478:                             ;   in Loop: Header=BB4_6234 Depth=4
	v_cmp_lt_u64_e32 vcc, s[88:89], v[16:17]
	v_add_u32_e32 v0, 15, v14
	v_cndmask_b32_e32 v5, v6, v0, vcc
	v_cndmask_b32_e64 v0, 0, 1, vcc
	v_lshrrev_b64 v[0:1], v0, v[16:17]
; %bb.6479:                             ;   in Loop: Header=BB4_6234 Depth=4
	s_andn2_saveexec_b64 s[28:29], s[28:29]
; %bb.6480:                             ;   in Loop: Header=BB4_6234 Depth=4
	v_mov_b32_e32 v0, v16
	v_mov_b32_e32 v1, v17
	v_bfe_u32 v5, v16, 23, 1
; %bb.6481:                             ;   in Loop: Header=BB4_6234 Depth=4
	s_or_b64 exec, exec, s[28:29]
	v_lshrrev_b64 v[0:1], 21, v[0:1]
	v_cmp_gt_i32_e32 vcc, 32, v5
	v_cndmask_b32_e32 v1, 0, v1, vcc
	v_cndmask_b32_e32 v0, 3, v0, vcc
	v_cmp_ne_u64_e32 vcc, 0, v[0:1]
	v_cmp_ne_u32_e64 s[28:29], 0, v5
	s_or_b64 s[28:29], s[28:29], vcc
                                        ; implicit-def: $vgpr18
	s_and_saveexec_b64 vcc, s[28:29]
	s_xor_b64 s[28:29], exec, vcc
; %bb.6482:                             ;   in Loop: Header=BB4_6234 Depth=4
	v_min_i32_e32 v1, 31, v5
	v_lshl_or_b32 v1, v1, 2, v3
	v_and_or_b32 v18, v0, 3, v1
                                        ; implicit-def: $vgpr3
; %bb.6483:                             ;   in Loop: Header=BB4_6234 Depth=4
	s_andn2_saveexec_b64 s[28:29], s[28:29]
; %bb.6484:                             ;   in Loop: Header=BB4_6234 Depth=4
	v_mov_b32_e32 v18, v3
; %bb.6485:                             ;   in Loop: Header=BB4_6234 Depth=4
	s_or_b64 exec, exec, s[28:29]
.LBB4_6486:                             ;   in Loop: Header=BB4_6234 Depth=4
	s_or_b64 exec, exec, s[38:39]
                                        ; implicit-def: $vgpr3
.LBB4_6487:                             ;   in Loop: Header=BB4_6234 Depth=4
	s_andn2_saveexec_b64 s[28:29], s[36:37]
; %bb.6488:                             ;   in Loop: Header=BB4_6234 Depth=4
	v_or_b32_e32 v18, 0x7b, v3
; %bb.6489:                             ;   in Loop: Header=BB4_6234 Depth=4
	s_or_b64 exec, exec, s[28:29]
                                        ; implicit-def: $vgpr0
.LBB4_6490:                             ;   in Loop: Header=BB4_6234 Depth=4
	s_andn2_saveexec_b64 s[28:29], s[34:35]
	s_cbranch_execz .LBB4_6496
; %bb.6491:                             ;   in Loop: Header=BB4_6234 Depth=4
	v_cmp_ne_u64_e32 vcc, 0, v[16:17]
                                        ; implicit-def: $vgpr18
	s_and_saveexec_b64 s[34:35], vcc
	s_xor_b64 vcc, exec, s[34:35]
; %bb.6492:                             ;   in Loop: Header=BB4_6234 Depth=4
	v_or_b32_sdwa v18, v0, s47 dst_sel:DWORD dst_unused:UNUSED_PAD src0_sel:BYTE_3 src1_sel:DWORD
                                        ; implicit-def: $vgpr0
; %bb.6493:                             ;   in Loop: Header=BB4_6234 Depth=4
	s_andn2_saveexec_b64 s[34:35], vcc
; %bb.6494:                             ;   in Loop: Header=BB4_6234 Depth=4
	v_cmp_lt_i32_e32 vcc, -1, v0
	v_cndmask_b32_e32 v18, -4, v52, vcc
; %bb.6495:                             ;   in Loop: Header=BB4_6234 Depth=4
	s_or_b64 exec, exec, s[34:35]
.LBB4_6496:                             ;   in Loop: Header=BB4_6234 Depth=4
	s_or_b64 exec, exec, s[28:29]
	flat_load_sbyte v0, v[8:9] offset:512 glc slc
	v_mov_b32_e32 v1, 0
	s_waitcnt vmcnt(0) lgkmcnt(0)
	v_cmp_ne_u16_e32 vcc, 0, v0
	s_and_saveexec_b64 s[28:29], vcc
	s_cbranch_execz .LBB4_6504
; %bb.6497:                             ;   in Loop: Header=BB4_6234 Depth=4
	v_cmp_ne_u16_e32 vcc, s97, v0
	v_bfrev_b32_e32 v1, 1
	s_and_saveexec_b64 s[34:35], vcc
	s_cbranch_execz .LBB4_6503
; %bb.6498:                             ;   in Loop: Header=BB4_6234 Depth=4
	v_and_b32_e32 v1, 0x7c, v0
	v_and_b32_e32 v3, 3, v0
	v_cmp_ne_u32_e32 vcc, s85, v1
                                        ; implicit-def: $vgpr1
	s_and_saveexec_b64 s[36:37], vcc
	s_xor_b64 s[36:37], exec, s[36:37]
	s_cbranch_execz .LBB4_6500
; %bb.6499:                             ;   in Loop: Header=BB4_6234 Depth=4
	v_and_b32_e32 v5, 0xff, v0
	v_bfe_u32 v14, v5, 2, 5
	v_ffbh_u32_e32 v5, v3
	v_min_u32_e32 v15, 32, v5
	v_mov_b32_e32 v1, v17
	v_subrev_u32_e32 v5, 29, v15
	v_lshlrev_b64 v[5:6], v5, v[0:1]
	v_sub_u32_e32 v1, 30, v15
	v_cmp_eq_u32_e32 vcc, 0, v14
	v_and_b32_e32 v5, 3, v5
	v_cndmask_b32_e32 v1, v14, v1, vcc
	v_and_b32_sdwa v0, sext(v0), s86 dst_sel:DWORD dst_unused:UNUSED_PAD src0_sel:WORD_0 src1_sel:DWORD
	v_cndmask_b32_e32 v3, v3, v5, vcc
	v_lshl_add_u32 v0, v1, 23, v0
	v_lshl_or_b32 v0, v3, 21, v0
	v_add_u32_e32 v1, 0x38000000, v0
                                        ; implicit-def: $vgpr3
                                        ; implicit-def: $vgpr0
.LBB4_6500:                             ;   in Loop: Header=BB4_6234 Depth=4
	s_andn2_saveexec_b64 s[36:37], s[36:37]
; %bb.6501:                             ;   in Loop: Header=BB4_6234 Depth=4
	v_cmp_lt_i16_e32 vcc, -1, v0
	v_mov_b32_e32 v0, 0xff800000
	v_mov_b32_e32 v1, 0x7f800000
	v_cndmask_b32_e32 v0, v0, v1, vcc
	v_cmp_eq_u32_e32 vcc, 0, v3
	v_mov_b32_e32 v1, 0x7f800001
	v_cndmask_b32_e32 v1, v1, v0, vcc
; %bb.6502:                             ;   in Loop: Header=BB4_6234 Depth=4
	s_or_b64 exec, exec, s[36:37]
.LBB4_6503:                             ;   in Loop: Header=BB4_6234 Depth=4
	s_or_b64 exec, exec, s[34:35]
.LBB4_6504:                             ;   in Loop: Header=BB4_6234 Depth=4
	s_or_b64 exec, exec, s[28:29]
	v_mul_f32_e32 v0, v7, v1
	v_and_b32_e32 v5, 0x7f800000, v0
	v_mov_b32_e32 v6, v17
	v_cmp_ne_u64_e32 vcc, s[76:77], v[5:6]
	v_and_b32_e32 v16, 0x7fffff, v0
                                        ; implicit-def: $vgpr57
	s_and_saveexec_b64 s[28:29], vcc
	s_xor_b64 s[34:35], exec, s[28:29]
	s_cbranch_execz .LBB4_6522
; %bb.6505:                             ;   in Loop: Header=BB4_6234 Depth=4
	v_and_b32_e32 v5, 0x7fffffff, v0
	v_mov_b32_e32 v6, v17
	v_cmp_gt_u64_e32 vcc, s[78:79], v[5:6]
	v_and_b32_sdwa v3, v0, s96 dst_sel:DWORD dst_unused:UNUSED_PAD src0_sel:BYTE_3 src1_sel:DWORD
                                        ; implicit-def: $vgpr57
	s_and_saveexec_b64 s[28:29], vcc
	s_xor_b64 s[36:37], exec, s[28:29]
	s_cbranch_execz .LBB4_6519
; %bb.6506:                             ;   in Loop: Header=BB4_6234 Depth=4
	v_cmp_ne_u32_e32 vcc, 0, v0
	v_mov_b32_e32 v57, 0
	s_and_saveexec_b64 s[38:39], vcc
	s_cbranch_execz .LBB4_6518
; %bb.6507:                             ;   in Loop: Header=BB4_6234 Depth=4
	v_bfe_u32 v14, v0, 23, 8
	v_cmp_gt_u32_e64 s[28:29], s46, v14
	v_sub_u32_e32 v0, 0x71, v14
	v_cmp_eq_u32_e32 vcc, 0, v14
	v_cndmask_b32_e64 v0, 0, v0, s[28:29]
	v_mov_b32_e32 v5, 0x70
	v_cndmask_b32_e32 v15, v0, v5, vcc
	v_add_u32_e32 v5, 21, v15
	v_or_b32_e32 v1, 0x800000, v16
	v_lshlrev_b64 v[5:6], v5, -1
	v_cndmask_b32_e32 v0, v1, v16, vcc
	v_mov_b32_e32 v1, v17
	v_add_u32_e32 v16, 20, v15
	v_bfi_b32 v5, v5, 0, v0
	v_lshlrev_b64 v[24:25], v16, 1
	v_lshrrev_b64 v[0:1], v15, v[0:1]
	v_bfi_b32 v6, v6, 0, 0
	v_cmp_eq_u64_e64 s[28:29], v[5:6], v[24:25]
	v_mov_b32_e32 v6, v1
	v_mov_b32_e32 v5, v0
	s_and_saveexec_b64 s[48:49], s[28:29]
; %bb.6508:                             ;   in Loop: Header=BB4_6234 Depth=4
	v_bfe_u32 v1, v0, 21, 1
	v_add_co_u32_e64 v1, s[28:29], v0, v1
	v_add_co_u32_e64 v5, s[28:29], -1, v1
; %bb.6509:                             ;   in Loop: Header=BB4_6234 Depth=4
	s_or_b64 exec, exec, s[48:49]
	v_add_u32_e32 v1, 0xffffff81, v14
	v_mov_b32_e32 v6, 0xffffff82
	v_cndmask_b32_e32 v1, v1, v6, vcc
	v_lshrrev_b32_e32 v6, 23, v0
	v_add3_u32 v14, v15, v1, v6
	v_add_u32_e32 v6, 14, v14
	v_and_b32_e32 v1, 0x1fffff, v5
	v_add_u32_e32 v16, v1, v0
	v_cmp_ne_u32_e32 vcc, 0, v6
                                        ; implicit-def: $vgpr0_vgpr1
                                        ; implicit-def: $vgpr5
	s_and_saveexec_b64 s[28:29], vcc
	s_xor_b64 s[28:29], exec, s[28:29]
; %bb.6510:                             ;   in Loop: Header=BB4_6234 Depth=4
	v_cmp_lt_u64_e32 vcc, s[88:89], v[16:17]
	v_add_u32_e32 v0, 15, v14
	v_cndmask_b32_e32 v5, v6, v0, vcc
	v_cndmask_b32_e64 v0, 0, 1, vcc
	v_lshrrev_b64 v[0:1], v0, v[16:17]
; %bb.6511:                             ;   in Loop: Header=BB4_6234 Depth=4
	s_andn2_saveexec_b64 s[28:29], s[28:29]
; %bb.6512:                             ;   in Loop: Header=BB4_6234 Depth=4
	v_mov_b32_e32 v0, v16
	v_mov_b32_e32 v1, v17
	v_bfe_u32 v5, v16, 23, 1
; %bb.6513:                             ;   in Loop: Header=BB4_6234 Depth=4
	s_or_b64 exec, exec, s[28:29]
	v_lshrrev_b64 v[0:1], 21, v[0:1]
	v_cmp_gt_i32_e32 vcc, 32, v5
	v_cndmask_b32_e32 v1, 0, v1, vcc
	v_cndmask_b32_e32 v0, 3, v0, vcc
	v_cmp_ne_u64_e32 vcc, 0, v[0:1]
	v_cmp_ne_u32_e64 s[28:29], 0, v5
	s_or_b64 s[28:29], s[28:29], vcc
                                        ; implicit-def: $vgpr57
	s_and_saveexec_b64 vcc, s[28:29]
	s_xor_b64 s[28:29], exec, vcc
; %bb.6514:                             ;   in Loop: Header=BB4_6234 Depth=4
	v_min_i32_e32 v1, 31, v5
	v_lshl_or_b32 v1, v1, 2, v3
	v_and_or_b32 v57, v0, 3, v1
                                        ; implicit-def: $vgpr3
; %bb.6515:                             ;   in Loop: Header=BB4_6234 Depth=4
	s_andn2_saveexec_b64 s[28:29], s[28:29]
; %bb.6516:                             ;   in Loop: Header=BB4_6234 Depth=4
	v_mov_b32_e32 v57, v3
; %bb.6517:                             ;   in Loop: Header=BB4_6234 Depth=4
	s_or_b64 exec, exec, s[28:29]
.LBB4_6518:                             ;   in Loop: Header=BB4_6234 Depth=4
	s_or_b64 exec, exec, s[38:39]
                                        ; implicit-def: $vgpr3
.LBB4_6519:                             ;   in Loop: Header=BB4_6234 Depth=4
	s_andn2_saveexec_b64 s[28:29], s[36:37]
; %bb.6520:                             ;   in Loop: Header=BB4_6234 Depth=4
	v_or_b32_e32 v57, 0x7b, v3
; %bb.6521:                             ;   in Loop: Header=BB4_6234 Depth=4
	s_or_b64 exec, exec, s[28:29]
                                        ; implicit-def: $vgpr0
.LBB4_6522:                             ;   in Loop: Header=BB4_6234 Depth=4
	s_andn2_saveexec_b64 s[28:29], s[34:35]
	s_cbranch_execz .LBB4_6528
; %bb.6523:                             ;   in Loop: Header=BB4_6234 Depth=4
	v_cmp_ne_u64_e32 vcc, 0, v[16:17]
                                        ; implicit-def: $vgpr57
	s_and_saveexec_b64 s[34:35], vcc
	s_xor_b64 vcc, exec, s[34:35]
; %bb.6524:                             ;   in Loop: Header=BB4_6234 Depth=4
	v_or_b32_sdwa v57, v0, s47 dst_sel:DWORD dst_unused:UNUSED_PAD src0_sel:BYTE_3 src1_sel:DWORD
                                        ; implicit-def: $vgpr0
; %bb.6525:                             ;   in Loop: Header=BB4_6234 Depth=4
	s_andn2_saveexec_b64 s[34:35], vcc
; %bb.6526:                             ;   in Loop: Header=BB4_6234 Depth=4
	v_cmp_lt_i32_e32 vcc, -1, v0
	v_cndmask_b32_e32 v57, -4, v52, vcc
; %bb.6527:                             ;   in Loop: Header=BB4_6234 Depth=4
	s_or_b64 exec, exec, s[34:35]
.LBB4_6528:                             ;   in Loop: Header=BB4_6234 Depth=4
	s_or_b64 exec, exec, s[28:29]
	flat_load_sbyte v0, v[8:9] offset:576 glc slc
	v_mov_b32_e32 v1, 0
	s_waitcnt vmcnt(0) lgkmcnt(0)
	v_cmp_ne_u16_e32 vcc, 0, v0
	s_and_saveexec_b64 s[28:29], vcc
	s_cbranch_execz .LBB4_6536
; %bb.6529:                             ;   in Loop: Header=BB4_6234 Depth=4
	v_cmp_ne_u16_e32 vcc, s97, v0
	v_bfrev_b32_e32 v1, 1
	s_and_saveexec_b64 s[34:35], vcc
	s_cbranch_execz .LBB4_6535
; %bb.6530:                             ;   in Loop: Header=BB4_6234 Depth=4
	v_and_b32_e32 v1, 0x7c, v0
	v_and_b32_e32 v3, 3, v0
	v_cmp_ne_u32_e32 vcc, s85, v1
                                        ; implicit-def: $vgpr1
	s_and_saveexec_b64 s[36:37], vcc
	s_xor_b64 s[36:37], exec, s[36:37]
	s_cbranch_execz .LBB4_6532
; %bb.6531:                             ;   in Loop: Header=BB4_6234 Depth=4
	v_and_b32_e32 v5, 0xff, v0
	v_bfe_u32 v14, v5, 2, 5
	v_ffbh_u32_e32 v5, v3
	v_min_u32_e32 v15, 32, v5
	v_mov_b32_e32 v1, v17
	v_subrev_u32_e32 v5, 29, v15
	v_lshlrev_b64 v[5:6], v5, v[0:1]
	v_sub_u32_e32 v1, 30, v15
	v_cmp_eq_u32_e32 vcc, 0, v14
	v_and_b32_e32 v5, 3, v5
	v_cndmask_b32_e32 v1, v14, v1, vcc
	v_and_b32_sdwa v0, sext(v0), s86 dst_sel:DWORD dst_unused:UNUSED_PAD src0_sel:WORD_0 src1_sel:DWORD
	v_cndmask_b32_e32 v3, v3, v5, vcc
	v_lshl_add_u32 v0, v1, 23, v0
	v_lshl_or_b32 v0, v3, 21, v0
	v_add_u32_e32 v1, 0x38000000, v0
                                        ; implicit-def: $vgpr3
                                        ; implicit-def: $vgpr0
.LBB4_6532:                             ;   in Loop: Header=BB4_6234 Depth=4
	s_andn2_saveexec_b64 s[36:37], s[36:37]
; %bb.6533:                             ;   in Loop: Header=BB4_6234 Depth=4
	v_cmp_lt_i16_e32 vcc, -1, v0
	v_mov_b32_e32 v0, 0xff800000
	v_mov_b32_e32 v1, 0x7f800000
	v_cndmask_b32_e32 v0, v0, v1, vcc
	v_cmp_eq_u32_e32 vcc, 0, v3
	v_mov_b32_e32 v1, 0x7f800001
	v_cndmask_b32_e32 v1, v1, v0, vcc
; %bb.6534:                             ;   in Loop: Header=BB4_6234 Depth=4
	s_or_b64 exec, exec, s[36:37]
.LBB4_6535:                             ;   in Loop: Header=BB4_6234 Depth=4
	s_or_b64 exec, exec, s[34:35]
.LBB4_6536:                             ;   in Loop: Header=BB4_6234 Depth=4
	s_or_b64 exec, exec, s[28:29]
	v_mul_f32_e32 v0, v7, v1
	v_and_b32_e32 v5, 0x7f800000, v0
	v_mov_b32_e32 v6, v17
	v_cmp_ne_u64_e32 vcc, s[76:77], v[5:6]
	v_and_b32_e32 v16, 0x7fffff, v0
                                        ; implicit-def: $vgpr46
	s_and_saveexec_b64 s[28:29], vcc
	s_xor_b64 s[34:35], exec, s[28:29]
	s_cbranch_execz .LBB4_6554
; %bb.6537:                             ;   in Loop: Header=BB4_6234 Depth=4
	v_and_b32_e32 v5, 0x7fffffff, v0
	v_mov_b32_e32 v6, v17
	v_cmp_gt_u64_e32 vcc, s[78:79], v[5:6]
	v_and_b32_sdwa v3, v0, s96 dst_sel:DWORD dst_unused:UNUSED_PAD src0_sel:BYTE_3 src1_sel:DWORD
                                        ; implicit-def: $vgpr46
	s_and_saveexec_b64 s[28:29], vcc
	s_xor_b64 s[36:37], exec, s[28:29]
	s_cbranch_execz .LBB4_6551
; %bb.6538:                             ;   in Loop: Header=BB4_6234 Depth=4
	v_cmp_ne_u32_e32 vcc, 0, v0
	v_mov_b32_e32 v46, 0
	s_and_saveexec_b64 s[38:39], vcc
	s_cbranch_execz .LBB4_6550
; %bb.6539:                             ;   in Loop: Header=BB4_6234 Depth=4
	v_bfe_u32 v14, v0, 23, 8
	v_cmp_gt_u32_e64 s[28:29], s46, v14
	v_sub_u32_e32 v0, 0x71, v14
	v_cmp_eq_u32_e32 vcc, 0, v14
	v_cndmask_b32_e64 v0, 0, v0, s[28:29]
	v_mov_b32_e32 v5, 0x70
	v_cndmask_b32_e32 v15, v0, v5, vcc
	v_add_u32_e32 v5, 21, v15
	v_or_b32_e32 v1, 0x800000, v16
	v_lshlrev_b64 v[5:6], v5, -1
	v_cndmask_b32_e32 v0, v1, v16, vcc
	v_mov_b32_e32 v1, v17
	v_add_u32_e32 v16, 20, v15
	v_bfi_b32 v5, v5, 0, v0
	v_lshlrev_b64 v[24:25], v16, 1
	v_lshrrev_b64 v[0:1], v15, v[0:1]
	v_bfi_b32 v6, v6, 0, 0
	v_cmp_eq_u64_e64 s[28:29], v[5:6], v[24:25]
	v_mov_b32_e32 v6, v1
	v_mov_b32_e32 v5, v0
	s_and_saveexec_b64 s[48:49], s[28:29]
; %bb.6540:                             ;   in Loop: Header=BB4_6234 Depth=4
	v_bfe_u32 v1, v0, 21, 1
	v_add_co_u32_e64 v1, s[28:29], v0, v1
	v_add_co_u32_e64 v5, s[28:29], -1, v1
; %bb.6541:                             ;   in Loop: Header=BB4_6234 Depth=4
	s_or_b64 exec, exec, s[48:49]
	v_add_u32_e32 v1, 0xffffff81, v14
	v_mov_b32_e32 v6, 0xffffff82
	v_cndmask_b32_e32 v1, v1, v6, vcc
	v_lshrrev_b32_e32 v6, 23, v0
	v_add3_u32 v14, v15, v1, v6
	v_add_u32_e32 v6, 14, v14
	v_and_b32_e32 v1, 0x1fffff, v5
	v_add_u32_e32 v16, v1, v0
	v_cmp_ne_u32_e32 vcc, 0, v6
                                        ; implicit-def: $vgpr0_vgpr1
                                        ; implicit-def: $vgpr5
	s_and_saveexec_b64 s[28:29], vcc
	s_xor_b64 s[28:29], exec, s[28:29]
; %bb.6542:                             ;   in Loop: Header=BB4_6234 Depth=4
	v_cmp_lt_u64_e32 vcc, s[88:89], v[16:17]
	v_add_u32_e32 v0, 15, v14
	v_cndmask_b32_e32 v5, v6, v0, vcc
	v_cndmask_b32_e64 v0, 0, 1, vcc
	v_lshrrev_b64 v[0:1], v0, v[16:17]
; %bb.6543:                             ;   in Loop: Header=BB4_6234 Depth=4
	s_andn2_saveexec_b64 s[28:29], s[28:29]
; %bb.6544:                             ;   in Loop: Header=BB4_6234 Depth=4
	v_mov_b32_e32 v0, v16
	v_mov_b32_e32 v1, v17
	v_bfe_u32 v5, v16, 23, 1
; %bb.6545:                             ;   in Loop: Header=BB4_6234 Depth=4
	s_or_b64 exec, exec, s[28:29]
	v_lshrrev_b64 v[0:1], 21, v[0:1]
	v_cmp_gt_i32_e32 vcc, 32, v5
	v_cndmask_b32_e32 v1, 0, v1, vcc
	v_cndmask_b32_e32 v0, 3, v0, vcc
	v_cmp_ne_u64_e32 vcc, 0, v[0:1]
	v_cmp_ne_u32_e64 s[28:29], 0, v5
	s_or_b64 s[28:29], s[28:29], vcc
                                        ; implicit-def: $vgpr46
	s_and_saveexec_b64 vcc, s[28:29]
	s_xor_b64 s[28:29], exec, vcc
; %bb.6546:                             ;   in Loop: Header=BB4_6234 Depth=4
	v_min_i32_e32 v1, 31, v5
	v_lshl_or_b32 v1, v1, 2, v3
	v_and_or_b32 v46, v0, 3, v1
                                        ; implicit-def: $vgpr3
; %bb.6547:                             ;   in Loop: Header=BB4_6234 Depth=4
	s_andn2_saveexec_b64 s[28:29], s[28:29]
; %bb.6548:                             ;   in Loop: Header=BB4_6234 Depth=4
	v_mov_b32_e32 v46, v3
; %bb.6549:                             ;   in Loop: Header=BB4_6234 Depth=4
	s_or_b64 exec, exec, s[28:29]
.LBB4_6550:                             ;   in Loop: Header=BB4_6234 Depth=4
	s_or_b64 exec, exec, s[38:39]
                                        ; implicit-def: $vgpr3
.LBB4_6551:                             ;   in Loop: Header=BB4_6234 Depth=4
	s_andn2_saveexec_b64 s[28:29], s[36:37]
; %bb.6552:                             ;   in Loop: Header=BB4_6234 Depth=4
	v_or_b32_e32 v46, 0x7b, v3
; %bb.6553:                             ;   in Loop: Header=BB4_6234 Depth=4
	s_or_b64 exec, exec, s[28:29]
                                        ; implicit-def: $vgpr0
.LBB4_6554:                             ;   in Loop: Header=BB4_6234 Depth=4
	s_andn2_saveexec_b64 s[28:29], s[34:35]
	s_cbranch_execz .LBB4_6560
; %bb.6555:                             ;   in Loop: Header=BB4_6234 Depth=4
	v_cmp_ne_u64_e32 vcc, 0, v[16:17]
                                        ; implicit-def: $vgpr46
	s_and_saveexec_b64 s[34:35], vcc
	s_xor_b64 vcc, exec, s[34:35]
; %bb.6556:                             ;   in Loop: Header=BB4_6234 Depth=4
	v_or_b32_sdwa v46, v0, s47 dst_sel:DWORD dst_unused:UNUSED_PAD src0_sel:BYTE_3 src1_sel:DWORD
                                        ; implicit-def: $vgpr0
; %bb.6557:                             ;   in Loop: Header=BB4_6234 Depth=4
	s_andn2_saveexec_b64 s[34:35], vcc
; %bb.6558:                             ;   in Loop: Header=BB4_6234 Depth=4
	v_cmp_lt_i32_e32 vcc, -1, v0
	v_cndmask_b32_e32 v46, -4, v52, vcc
; %bb.6559:                             ;   in Loop: Header=BB4_6234 Depth=4
	s_or_b64 exec, exec, s[34:35]
.LBB4_6560:                             ;   in Loop: Header=BB4_6234 Depth=4
	s_or_b64 exec, exec, s[28:29]
	flat_load_sbyte v0, v[8:9] offset:640 glc slc
	v_mov_b32_e32 v1, 0
	s_waitcnt vmcnt(0) lgkmcnt(0)
	v_cmp_ne_u16_e32 vcc, 0, v0
	s_and_saveexec_b64 s[28:29], vcc
	s_cbranch_execz .LBB4_6568
; %bb.6561:                             ;   in Loop: Header=BB4_6234 Depth=4
	v_cmp_ne_u16_e32 vcc, s97, v0
	v_bfrev_b32_e32 v1, 1
	s_and_saveexec_b64 s[34:35], vcc
	s_cbranch_execz .LBB4_6567
; %bb.6562:                             ;   in Loop: Header=BB4_6234 Depth=4
	v_and_b32_e32 v1, 0x7c, v0
	v_and_b32_e32 v3, 3, v0
	v_cmp_ne_u32_e32 vcc, s85, v1
                                        ; implicit-def: $vgpr1
	s_and_saveexec_b64 s[36:37], vcc
	s_xor_b64 s[36:37], exec, s[36:37]
	s_cbranch_execz .LBB4_6564
; %bb.6563:                             ;   in Loop: Header=BB4_6234 Depth=4
	v_and_b32_e32 v5, 0xff, v0
	v_bfe_u32 v14, v5, 2, 5
	v_ffbh_u32_e32 v5, v3
	v_min_u32_e32 v15, 32, v5
	v_mov_b32_e32 v1, v17
	v_subrev_u32_e32 v5, 29, v15
	v_lshlrev_b64 v[5:6], v5, v[0:1]
	v_sub_u32_e32 v1, 30, v15
	v_cmp_eq_u32_e32 vcc, 0, v14
	v_and_b32_e32 v5, 3, v5
	v_cndmask_b32_e32 v1, v14, v1, vcc
	v_and_b32_sdwa v0, sext(v0), s86 dst_sel:DWORD dst_unused:UNUSED_PAD src0_sel:WORD_0 src1_sel:DWORD
	v_cndmask_b32_e32 v3, v3, v5, vcc
	v_lshl_add_u32 v0, v1, 23, v0
	v_lshl_or_b32 v0, v3, 21, v0
	v_add_u32_e32 v1, 0x38000000, v0
                                        ; implicit-def: $vgpr3
                                        ; implicit-def: $vgpr0
.LBB4_6564:                             ;   in Loop: Header=BB4_6234 Depth=4
	s_andn2_saveexec_b64 s[36:37], s[36:37]
; %bb.6565:                             ;   in Loop: Header=BB4_6234 Depth=4
	v_cmp_lt_i16_e32 vcc, -1, v0
	v_mov_b32_e32 v0, 0xff800000
	v_mov_b32_e32 v1, 0x7f800000
	v_cndmask_b32_e32 v0, v0, v1, vcc
	v_cmp_eq_u32_e32 vcc, 0, v3
	v_mov_b32_e32 v1, 0x7f800001
	v_cndmask_b32_e32 v1, v1, v0, vcc
; %bb.6566:                             ;   in Loop: Header=BB4_6234 Depth=4
	s_or_b64 exec, exec, s[36:37]
.LBB4_6567:                             ;   in Loop: Header=BB4_6234 Depth=4
	s_or_b64 exec, exec, s[34:35]
.LBB4_6568:                             ;   in Loop: Header=BB4_6234 Depth=4
	s_or_b64 exec, exec, s[28:29]
	v_mul_f32_e32 v0, v7, v1
	v_and_b32_e32 v5, 0x7f800000, v0
	v_mov_b32_e32 v6, v17
	v_cmp_ne_u64_e32 vcc, s[76:77], v[5:6]
	v_and_b32_e32 v16, 0x7fffff, v0
                                        ; implicit-def: $vgpr45
	s_and_saveexec_b64 s[28:29], vcc
	s_xor_b64 s[34:35], exec, s[28:29]
	s_cbranch_execz .LBB4_6586
; %bb.6569:                             ;   in Loop: Header=BB4_6234 Depth=4
	v_and_b32_e32 v5, 0x7fffffff, v0
	v_mov_b32_e32 v6, v17
	v_cmp_gt_u64_e32 vcc, s[78:79], v[5:6]
	v_and_b32_sdwa v3, v0, s96 dst_sel:DWORD dst_unused:UNUSED_PAD src0_sel:BYTE_3 src1_sel:DWORD
                                        ; implicit-def: $vgpr45
	s_and_saveexec_b64 s[28:29], vcc
	s_xor_b64 s[36:37], exec, s[28:29]
	s_cbranch_execz .LBB4_6583
; %bb.6570:                             ;   in Loop: Header=BB4_6234 Depth=4
	v_cmp_ne_u32_e32 vcc, 0, v0
	v_mov_b32_e32 v45, 0
	s_and_saveexec_b64 s[38:39], vcc
	s_cbranch_execz .LBB4_6582
; %bb.6571:                             ;   in Loop: Header=BB4_6234 Depth=4
	v_bfe_u32 v14, v0, 23, 8
	v_cmp_gt_u32_e64 s[28:29], s46, v14
	v_sub_u32_e32 v0, 0x71, v14
	v_cmp_eq_u32_e32 vcc, 0, v14
	v_cndmask_b32_e64 v0, 0, v0, s[28:29]
	v_mov_b32_e32 v5, 0x70
	v_cndmask_b32_e32 v15, v0, v5, vcc
	v_add_u32_e32 v5, 21, v15
	v_or_b32_e32 v1, 0x800000, v16
	v_lshlrev_b64 v[5:6], v5, -1
	v_cndmask_b32_e32 v0, v1, v16, vcc
	v_mov_b32_e32 v1, v17
	v_add_u32_e32 v16, 20, v15
	v_bfi_b32 v5, v5, 0, v0
	v_lshlrev_b64 v[24:25], v16, 1
	v_lshrrev_b64 v[0:1], v15, v[0:1]
	v_bfi_b32 v6, v6, 0, 0
	v_cmp_eq_u64_e64 s[28:29], v[5:6], v[24:25]
	v_mov_b32_e32 v6, v1
	v_mov_b32_e32 v5, v0
	s_and_saveexec_b64 s[48:49], s[28:29]
; %bb.6572:                             ;   in Loop: Header=BB4_6234 Depth=4
	v_bfe_u32 v1, v0, 21, 1
	v_add_co_u32_e64 v1, s[28:29], v0, v1
	v_add_co_u32_e64 v5, s[28:29], -1, v1
; %bb.6573:                             ;   in Loop: Header=BB4_6234 Depth=4
	s_or_b64 exec, exec, s[48:49]
	v_add_u32_e32 v1, 0xffffff81, v14
	v_mov_b32_e32 v6, 0xffffff82
	v_cndmask_b32_e32 v1, v1, v6, vcc
	v_lshrrev_b32_e32 v6, 23, v0
	v_add3_u32 v14, v15, v1, v6
	v_add_u32_e32 v6, 14, v14
	v_and_b32_e32 v1, 0x1fffff, v5
	v_add_u32_e32 v16, v1, v0
	v_cmp_ne_u32_e32 vcc, 0, v6
                                        ; implicit-def: $vgpr0_vgpr1
                                        ; implicit-def: $vgpr5
	s_and_saveexec_b64 s[28:29], vcc
	s_xor_b64 s[28:29], exec, s[28:29]
; %bb.6574:                             ;   in Loop: Header=BB4_6234 Depth=4
	v_cmp_lt_u64_e32 vcc, s[88:89], v[16:17]
	v_add_u32_e32 v0, 15, v14
	v_cndmask_b32_e32 v5, v6, v0, vcc
	v_cndmask_b32_e64 v0, 0, 1, vcc
	v_lshrrev_b64 v[0:1], v0, v[16:17]
; %bb.6575:                             ;   in Loop: Header=BB4_6234 Depth=4
	s_andn2_saveexec_b64 s[28:29], s[28:29]
; %bb.6576:                             ;   in Loop: Header=BB4_6234 Depth=4
	v_mov_b32_e32 v0, v16
	v_mov_b32_e32 v1, v17
	v_bfe_u32 v5, v16, 23, 1
; %bb.6577:                             ;   in Loop: Header=BB4_6234 Depth=4
	s_or_b64 exec, exec, s[28:29]
	v_lshrrev_b64 v[0:1], 21, v[0:1]
	v_cmp_gt_i32_e32 vcc, 32, v5
	v_cndmask_b32_e32 v1, 0, v1, vcc
	v_cndmask_b32_e32 v0, 3, v0, vcc
	v_cmp_ne_u64_e32 vcc, 0, v[0:1]
	v_cmp_ne_u32_e64 s[28:29], 0, v5
	s_or_b64 s[28:29], s[28:29], vcc
                                        ; implicit-def: $vgpr45
	s_and_saveexec_b64 vcc, s[28:29]
	s_xor_b64 s[28:29], exec, vcc
; %bb.6578:                             ;   in Loop: Header=BB4_6234 Depth=4
	v_min_i32_e32 v1, 31, v5
	v_lshl_or_b32 v1, v1, 2, v3
	v_and_or_b32 v45, v0, 3, v1
                                        ; implicit-def: $vgpr3
; %bb.6579:                             ;   in Loop: Header=BB4_6234 Depth=4
	s_andn2_saveexec_b64 s[28:29], s[28:29]
; %bb.6580:                             ;   in Loop: Header=BB4_6234 Depth=4
	v_mov_b32_e32 v45, v3
; %bb.6581:                             ;   in Loop: Header=BB4_6234 Depth=4
	s_or_b64 exec, exec, s[28:29]
.LBB4_6582:                             ;   in Loop: Header=BB4_6234 Depth=4
	s_or_b64 exec, exec, s[38:39]
                                        ; implicit-def: $vgpr3
.LBB4_6583:                             ;   in Loop: Header=BB4_6234 Depth=4
	s_andn2_saveexec_b64 s[28:29], s[36:37]
; %bb.6584:                             ;   in Loop: Header=BB4_6234 Depth=4
	v_or_b32_e32 v45, 0x7b, v3
; %bb.6585:                             ;   in Loop: Header=BB4_6234 Depth=4
	s_or_b64 exec, exec, s[28:29]
                                        ; implicit-def: $vgpr0
.LBB4_6586:                             ;   in Loop: Header=BB4_6234 Depth=4
	s_andn2_saveexec_b64 s[28:29], s[34:35]
	s_cbranch_execz .LBB4_6592
; %bb.6587:                             ;   in Loop: Header=BB4_6234 Depth=4
	v_cmp_ne_u64_e32 vcc, 0, v[16:17]
                                        ; implicit-def: $vgpr45
	s_and_saveexec_b64 s[34:35], vcc
	s_xor_b64 vcc, exec, s[34:35]
; %bb.6588:                             ;   in Loop: Header=BB4_6234 Depth=4
	v_or_b32_sdwa v45, v0, s47 dst_sel:DWORD dst_unused:UNUSED_PAD src0_sel:BYTE_3 src1_sel:DWORD
                                        ; implicit-def: $vgpr0
; %bb.6589:                             ;   in Loop: Header=BB4_6234 Depth=4
	s_andn2_saveexec_b64 s[34:35], vcc
; %bb.6590:                             ;   in Loop: Header=BB4_6234 Depth=4
	v_cmp_lt_i32_e32 vcc, -1, v0
	v_cndmask_b32_e32 v45, -4, v52, vcc
; %bb.6591:                             ;   in Loop: Header=BB4_6234 Depth=4
	s_or_b64 exec, exec, s[34:35]
.LBB4_6592:                             ;   in Loop: Header=BB4_6234 Depth=4
	s_or_b64 exec, exec, s[28:29]
	flat_load_sbyte v0, v[8:9] offset:704 glc slc
	v_mov_b32_e32 v1, 0
	s_waitcnt vmcnt(0) lgkmcnt(0)
	v_cmp_ne_u16_e32 vcc, 0, v0
	s_and_saveexec_b64 s[28:29], vcc
	s_cbranch_execz .LBB4_6600
; %bb.6593:                             ;   in Loop: Header=BB4_6234 Depth=4
	v_cmp_ne_u16_e32 vcc, s97, v0
	v_bfrev_b32_e32 v1, 1
	s_and_saveexec_b64 s[34:35], vcc
	s_cbranch_execz .LBB4_6599
; %bb.6594:                             ;   in Loop: Header=BB4_6234 Depth=4
	v_and_b32_e32 v1, 0x7c, v0
	v_and_b32_e32 v3, 3, v0
	v_cmp_ne_u32_e32 vcc, s85, v1
                                        ; implicit-def: $vgpr1
	s_and_saveexec_b64 s[36:37], vcc
	s_xor_b64 s[36:37], exec, s[36:37]
	s_cbranch_execz .LBB4_6596
; %bb.6595:                             ;   in Loop: Header=BB4_6234 Depth=4
	v_and_b32_e32 v5, 0xff, v0
	v_bfe_u32 v14, v5, 2, 5
	v_ffbh_u32_e32 v5, v3
	v_min_u32_e32 v15, 32, v5
	v_mov_b32_e32 v1, v17
	v_subrev_u32_e32 v5, 29, v15
	v_lshlrev_b64 v[5:6], v5, v[0:1]
	v_sub_u32_e32 v1, 30, v15
	v_cmp_eq_u32_e32 vcc, 0, v14
	v_and_b32_e32 v5, 3, v5
	v_cndmask_b32_e32 v1, v14, v1, vcc
	v_and_b32_sdwa v0, sext(v0), s86 dst_sel:DWORD dst_unused:UNUSED_PAD src0_sel:WORD_0 src1_sel:DWORD
	v_cndmask_b32_e32 v3, v3, v5, vcc
	v_lshl_add_u32 v0, v1, 23, v0
	v_lshl_or_b32 v0, v3, 21, v0
	v_add_u32_e32 v1, 0x38000000, v0
                                        ; implicit-def: $vgpr3
                                        ; implicit-def: $vgpr0
.LBB4_6596:                             ;   in Loop: Header=BB4_6234 Depth=4
	s_andn2_saveexec_b64 s[36:37], s[36:37]
; %bb.6597:                             ;   in Loop: Header=BB4_6234 Depth=4
	v_cmp_lt_i16_e32 vcc, -1, v0
	v_mov_b32_e32 v0, 0xff800000
	v_mov_b32_e32 v1, 0x7f800000
	v_cndmask_b32_e32 v0, v0, v1, vcc
	v_cmp_eq_u32_e32 vcc, 0, v3
	v_mov_b32_e32 v1, 0x7f800001
	v_cndmask_b32_e32 v1, v1, v0, vcc
; %bb.6598:                             ;   in Loop: Header=BB4_6234 Depth=4
	s_or_b64 exec, exec, s[36:37]
.LBB4_6599:                             ;   in Loop: Header=BB4_6234 Depth=4
	s_or_b64 exec, exec, s[34:35]
.LBB4_6600:                             ;   in Loop: Header=BB4_6234 Depth=4
	s_or_b64 exec, exec, s[28:29]
	v_mul_f32_e32 v0, v7, v1
	v_and_b32_e32 v5, 0x7f800000, v0
	v_mov_b32_e32 v6, v17
	v_cmp_ne_u64_e32 vcc, s[76:77], v[5:6]
	v_and_b32_e32 v16, 0x7fffff, v0
                                        ; implicit-def: $vgpr44
	s_and_saveexec_b64 s[28:29], vcc
	s_xor_b64 s[34:35], exec, s[28:29]
	s_cbranch_execz .LBB4_6618
; %bb.6601:                             ;   in Loop: Header=BB4_6234 Depth=4
	v_and_b32_e32 v5, 0x7fffffff, v0
	v_mov_b32_e32 v6, v17
	v_cmp_gt_u64_e32 vcc, s[78:79], v[5:6]
	v_and_b32_sdwa v3, v0, s96 dst_sel:DWORD dst_unused:UNUSED_PAD src0_sel:BYTE_3 src1_sel:DWORD
                                        ; implicit-def: $vgpr44
	s_and_saveexec_b64 s[28:29], vcc
	s_xor_b64 s[36:37], exec, s[28:29]
	s_cbranch_execz .LBB4_6615
; %bb.6602:                             ;   in Loop: Header=BB4_6234 Depth=4
	v_cmp_ne_u32_e32 vcc, 0, v0
	v_mov_b32_e32 v44, 0
	s_and_saveexec_b64 s[38:39], vcc
	s_cbranch_execz .LBB4_6614
; %bb.6603:                             ;   in Loop: Header=BB4_6234 Depth=4
	v_bfe_u32 v14, v0, 23, 8
	v_cmp_gt_u32_e64 s[28:29], s46, v14
	v_sub_u32_e32 v0, 0x71, v14
	v_cmp_eq_u32_e32 vcc, 0, v14
	v_cndmask_b32_e64 v0, 0, v0, s[28:29]
	v_mov_b32_e32 v5, 0x70
	v_cndmask_b32_e32 v15, v0, v5, vcc
	v_add_u32_e32 v5, 21, v15
	v_or_b32_e32 v1, 0x800000, v16
	v_lshlrev_b64 v[5:6], v5, -1
	v_cndmask_b32_e32 v0, v1, v16, vcc
	v_mov_b32_e32 v1, v17
	v_add_u32_e32 v16, 20, v15
	v_bfi_b32 v5, v5, 0, v0
	v_lshlrev_b64 v[24:25], v16, 1
	v_lshrrev_b64 v[0:1], v15, v[0:1]
	v_bfi_b32 v6, v6, 0, 0
	v_cmp_eq_u64_e64 s[28:29], v[5:6], v[24:25]
	v_mov_b32_e32 v6, v1
	v_mov_b32_e32 v5, v0
	s_and_saveexec_b64 s[48:49], s[28:29]
; %bb.6604:                             ;   in Loop: Header=BB4_6234 Depth=4
	v_bfe_u32 v1, v0, 21, 1
	v_add_co_u32_e64 v1, s[28:29], v0, v1
	v_add_co_u32_e64 v5, s[28:29], -1, v1
; %bb.6605:                             ;   in Loop: Header=BB4_6234 Depth=4
	s_or_b64 exec, exec, s[48:49]
	v_add_u32_e32 v1, 0xffffff81, v14
	v_mov_b32_e32 v6, 0xffffff82
	v_cndmask_b32_e32 v1, v1, v6, vcc
	v_lshrrev_b32_e32 v6, 23, v0
	v_add3_u32 v14, v15, v1, v6
	v_add_u32_e32 v6, 14, v14
	v_and_b32_e32 v1, 0x1fffff, v5
	v_add_u32_e32 v16, v1, v0
	v_cmp_ne_u32_e32 vcc, 0, v6
                                        ; implicit-def: $vgpr0_vgpr1
                                        ; implicit-def: $vgpr5
	s_and_saveexec_b64 s[28:29], vcc
	s_xor_b64 s[28:29], exec, s[28:29]
; %bb.6606:                             ;   in Loop: Header=BB4_6234 Depth=4
	v_cmp_lt_u64_e32 vcc, s[88:89], v[16:17]
	v_add_u32_e32 v0, 15, v14
	v_cndmask_b32_e32 v5, v6, v0, vcc
	v_cndmask_b32_e64 v0, 0, 1, vcc
	v_lshrrev_b64 v[0:1], v0, v[16:17]
; %bb.6607:                             ;   in Loop: Header=BB4_6234 Depth=4
	s_andn2_saveexec_b64 s[28:29], s[28:29]
; %bb.6608:                             ;   in Loop: Header=BB4_6234 Depth=4
	v_mov_b32_e32 v0, v16
	v_mov_b32_e32 v1, v17
	v_bfe_u32 v5, v16, 23, 1
; %bb.6609:                             ;   in Loop: Header=BB4_6234 Depth=4
	s_or_b64 exec, exec, s[28:29]
	v_lshrrev_b64 v[0:1], 21, v[0:1]
	v_cmp_gt_i32_e32 vcc, 32, v5
	v_cndmask_b32_e32 v1, 0, v1, vcc
	v_cndmask_b32_e32 v0, 3, v0, vcc
	v_cmp_ne_u64_e32 vcc, 0, v[0:1]
	v_cmp_ne_u32_e64 s[28:29], 0, v5
	s_or_b64 s[28:29], s[28:29], vcc
                                        ; implicit-def: $vgpr44
	s_and_saveexec_b64 vcc, s[28:29]
	s_xor_b64 s[28:29], exec, vcc
; %bb.6610:                             ;   in Loop: Header=BB4_6234 Depth=4
	v_min_i32_e32 v1, 31, v5
	v_lshl_or_b32 v1, v1, 2, v3
	v_and_or_b32 v44, v0, 3, v1
                                        ; implicit-def: $vgpr3
; %bb.6611:                             ;   in Loop: Header=BB4_6234 Depth=4
	s_andn2_saveexec_b64 s[28:29], s[28:29]
; %bb.6612:                             ;   in Loop: Header=BB4_6234 Depth=4
	v_mov_b32_e32 v44, v3
; %bb.6613:                             ;   in Loop: Header=BB4_6234 Depth=4
	s_or_b64 exec, exec, s[28:29]
.LBB4_6614:                             ;   in Loop: Header=BB4_6234 Depth=4
	s_or_b64 exec, exec, s[38:39]
                                        ; implicit-def: $vgpr3
.LBB4_6615:                             ;   in Loop: Header=BB4_6234 Depth=4
	s_andn2_saveexec_b64 s[28:29], s[36:37]
; %bb.6616:                             ;   in Loop: Header=BB4_6234 Depth=4
	v_or_b32_e32 v44, 0x7b, v3
; %bb.6617:                             ;   in Loop: Header=BB4_6234 Depth=4
	s_or_b64 exec, exec, s[28:29]
                                        ; implicit-def: $vgpr0
.LBB4_6618:                             ;   in Loop: Header=BB4_6234 Depth=4
	s_andn2_saveexec_b64 s[28:29], s[34:35]
	s_cbranch_execz .LBB4_6624
; %bb.6619:                             ;   in Loop: Header=BB4_6234 Depth=4
	v_cmp_ne_u64_e32 vcc, 0, v[16:17]
                                        ; implicit-def: $vgpr44
	s_and_saveexec_b64 s[34:35], vcc
	s_xor_b64 vcc, exec, s[34:35]
; %bb.6620:                             ;   in Loop: Header=BB4_6234 Depth=4
	v_or_b32_sdwa v44, v0, s47 dst_sel:DWORD dst_unused:UNUSED_PAD src0_sel:BYTE_3 src1_sel:DWORD
                                        ; implicit-def: $vgpr0
; %bb.6621:                             ;   in Loop: Header=BB4_6234 Depth=4
	s_andn2_saveexec_b64 s[34:35], vcc
; %bb.6622:                             ;   in Loop: Header=BB4_6234 Depth=4
	v_cmp_lt_i32_e32 vcc, -1, v0
	v_cndmask_b32_e32 v44, -4, v52, vcc
; %bb.6623:                             ;   in Loop: Header=BB4_6234 Depth=4
	s_or_b64 exec, exec, s[34:35]
.LBB4_6624:                             ;   in Loop: Header=BB4_6234 Depth=4
	s_or_b64 exec, exec, s[28:29]
	flat_load_sbyte v0, v[8:9] offset:768 glc slc
	v_mov_b32_e32 v1, 0
	s_waitcnt vmcnt(0) lgkmcnt(0)
	v_cmp_ne_u16_e32 vcc, 0, v0
	s_and_saveexec_b64 s[28:29], vcc
	s_cbranch_execz .LBB4_6632
; %bb.6625:                             ;   in Loop: Header=BB4_6234 Depth=4
	v_cmp_ne_u16_e32 vcc, s97, v0
	v_bfrev_b32_e32 v1, 1
	s_and_saveexec_b64 s[34:35], vcc
	s_cbranch_execz .LBB4_6631
; %bb.6626:                             ;   in Loop: Header=BB4_6234 Depth=4
	v_and_b32_e32 v1, 0x7c, v0
	v_and_b32_e32 v3, 3, v0
	v_cmp_ne_u32_e32 vcc, s85, v1
                                        ; implicit-def: $vgpr1
	s_and_saveexec_b64 s[36:37], vcc
	s_xor_b64 s[36:37], exec, s[36:37]
	s_cbranch_execz .LBB4_6628
; %bb.6627:                             ;   in Loop: Header=BB4_6234 Depth=4
	v_and_b32_e32 v5, 0xff, v0
	v_bfe_u32 v14, v5, 2, 5
	v_ffbh_u32_e32 v5, v3
	v_min_u32_e32 v15, 32, v5
	v_mov_b32_e32 v1, v17
	v_subrev_u32_e32 v5, 29, v15
	v_lshlrev_b64 v[5:6], v5, v[0:1]
	v_sub_u32_e32 v1, 30, v15
	v_cmp_eq_u32_e32 vcc, 0, v14
	v_and_b32_e32 v5, 3, v5
	v_cndmask_b32_e32 v1, v14, v1, vcc
	v_and_b32_sdwa v0, sext(v0), s86 dst_sel:DWORD dst_unused:UNUSED_PAD src0_sel:WORD_0 src1_sel:DWORD
	v_cndmask_b32_e32 v3, v3, v5, vcc
	v_lshl_add_u32 v0, v1, 23, v0
	v_lshl_or_b32 v0, v3, 21, v0
	v_add_u32_e32 v1, 0x38000000, v0
                                        ; implicit-def: $vgpr3
                                        ; implicit-def: $vgpr0
.LBB4_6628:                             ;   in Loop: Header=BB4_6234 Depth=4
	s_andn2_saveexec_b64 s[36:37], s[36:37]
; %bb.6629:                             ;   in Loop: Header=BB4_6234 Depth=4
	v_cmp_lt_i16_e32 vcc, -1, v0
	v_mov_b32_e32 v0, 0xff800000
	v_mov_b32_e32 v1, 0x7f800000
	v_cndmask_b32_e32 v0, v0, v1, vcc
	v_cmp_eq_u32_e32 vcc, 0, v3
	v_mov_b32_e32 v1, 0x7f800001
	v_cndmask_b32_e32 v1, v1, v0, vcc
; %bb.6630:                             ;   in Loop: Header=BB4_6234 Depth=4
	s_or_b64 exec, exec, s[36:37]
.LBB4_6631:                             ;   in Loop: Header=BB4_6234 Depth=4
	s_or_b64 exec, exec, s[34:35]
.LBB4_6632:                             ;   in Loop: Header=BB4_6234 Depth=4
	s_or_b64 exec, exec, s[28:29]
	v_mul_f32_e32 v0, v7, v1
	v_and_b32_e32 v5, 0x7f800000, v0
	v_mov_b32_e32 v6, v17
	v_cmp_ne_u64_e32 vcc, s[76:77], v[5:6]
	v_and_b32_e32 v16, 0x7fffff, v0
                                        ; implicit-def: $vgpr43
	s_and_saveexec_b64 s[28:29], vcc
	s_xor_b64 s[34:35], exec, s[28:29]
	s_cbranch_execz .LBB4_6650
; %bb.6633:                             ;   in Loop: Header=BB4_6234 Depth=4
	v_and_b32_e32 v5, 0x7fffffff, v0
	v_mov_b32_e32 v6, v17
	v_cmp_gt_u64_e32 vcc, s[78:79], v[5:6]
	v_and_b32_sdwa v3, v0, s96 dst_sel:DWORD dst_unused:UNUSED_PAD src0_sel:BYTE_3 src1_sel:DWORD
                                        ; implicit-def: $vgpr43
	s_and_saveexec_b64 s[28:29], vcc
	s_xor_b64 s[36:37], exec, s[28:29]
	s_cbranch_execz .LBB4_6647
; %bb.6634:                             ;   in Loop: Header=BB4_6234 Depth=4
	v_cmp_ne_u32_e32 vcc, 0, v0
	v_mov_b32_e32 v43, 0
	s_and_saveexec_b64 s[38:39], vcc
	s_cbranch_execz .LBB4_6646
; %bb.6635:                             ;   in Loop: Header=BB4_6234 Depth=4
	v_bfe_u32 v14, v0, 23, 8
	v_cmp_gt_u32_e64 s[28:29], s46, v14
	v_sub_u32_e32 v0, 0x71, v14
	v_cmp_eq_u32_e32 vcc, 0, v14
	v_cndmask_b32_e64 v0, 0, v0, s[28:29]
	v_mov_b32_e32 v5, 0x70
	v_cndmask_b32_e32 v15, v0, v5, vcc
	v_add_u32_e32 v5, 21, v15
	v_or_b32_e32 v1, 0x800000, v16
	v_lshlrev_b64 v[5:6], v5, -1
	v_cndmask_b32_e32 v0, v1, v16, vcc
	v_mov_b32_e32 v1, v17
	v_add_u32_e32 v16, 20, v15
	v_bfi_b32 v5, v5, 0, v0
	v_lshlrev_b64 v[24:25], v16, 1
	v_lshrrev_b64 v[0:1], v15, v[0:1]
	v_bfi_b32 v6, v6, 0, 0
	v_cmp_eq_u64_e64 s[28:29], v[5:6], v[24:25]
	v_mov_b32_e32 v6, v1
	v_mov_b32_e32 v5, v0
	s_and_saveexec_b64 s[48:49], s[28:29]
; %bb.6636:                             ;   in Loop: Header=BB4_6234 Depth=4
	v_bfe_u32 v1, v0, 21, 1
	v_add_co_u32_e64 v1, s[28:29], v0, v1
	v_add_co_u32_e64 v5, s[28:29], -1, v1
; %bb.6637:                             ;   in Loop: Header=BB4_6234 Depth=4
	s_or_b64 exec, exec, s[48:49]
	v_add_u32_e32 v1, 0xffffff81, v14
	v_mov_b32_e32 v6, 0xffffff82
	v_cndmask_b32_e32 v1, v1, v6, vcc
	v_lshrrev_b32_e32 v6, 23, v0
	v_add3_u32 v14, v15, v1, v6
	v_add_u32_e32 v6, 14, v14
	v_and_b32_e32 v1, 0x1fffff, v5
	v_add_u32_e32 v16, v1, v0
	v_cmp_ne_u32_e32 vcc, 0, v6
                                        ; implicit-def: $vgpr0_vgpr1
                                        ; implicit-def: $vgpr5
	s_and_saveexec_b64 s[28:29], vcc
	s_xor_b64 s[28:29], exec, s[28:29]
; %bb.6638:                             ;   in Loop: Header=BB4_6234 Depth=4
	v_cmp_lt_u64_e32 vcc, s[88:89], v[16:17]
	v_add_u32_e32 v0, 15, v14
	v_cndmask_b32_e32 v5, v6, v0, vcc
	v_cndmask_b32_e64 v0, 0, 1, vcc
	v_lshrrev_b64 v[0:1], v0, v[16:17]
; %bb.6639:                             ;   in Loop: Header=BB4_6234 Depth=4
	s_andn2_saveexec_b64 s[28:29], s[28:29]
; %bb.6640:                             ;   in Loop: Header=BB4_6234 Depth=4
	v_mov_b32_e32 v0, v16
	v_mov_b32_e32 v1, v17
	v_bfe_u32 v5, v16, 23, 1
; %bb.6641:                             ;   in Loop: Header=BB4_6234 Depth=4
	s_or_b64 exec, exec, s[28:29]
	v_lshrrev_b64 v[0:1], 21, v[0:1]
	v_cmp_gt_i32_e32 vcc, 32, v5
	v_cndmask_b32_e32 v1, 0, v1, vcc
	v_cndmask_b32_e32 v0, 3, v0, vcc
	v_cmp_ne_u64_e32 vcc, 0, v[0:1]
	v_cmp_ne_u32_e64 s[28:29], 0, v5
	s_or_b64 s[28:29], s[28:29], vcc
                                        ; implicit-def: $vgpr43
	s_and_saveexec_b64 vcc, s[28:29]
	s_xor_b64 s[28:29], exec, vcc
; %bb.6642:                             ;   in Loop: Header=BB4_6234 Depth=4
	v_min_i32_e32 v1, 31, v5
	v_lshl_or_b32 v1, v1, 2, v3
	v_and_or_b32 v43, v0, 3, v1
                                        ; implicit-def: $vgpr3
; %bb.6643:                             ;   in Loop: Header=BB4_6234 Depth=4
	s_andn2_saveexec_b64 s[28:29], s[28:29]
; %bb.6644:                             ;   in Loop: Header=BB4_6234 Depth=4
	v_mov_b32_e32 v43, v3
; %bb.6645:                             ;   in Loop: Header=BB4_6234 Depth=4
	s_or_b64 exec, exec, s[28:29]
.LBB4_6646:                             ;   in Loop: Header=BB4_6234 Depth=4
	s_or_b64 exec, exec, s[38:39]
                                        ; implicit-def: $vgpr3
.LBB4_6647:                             ;   in Loop: Header=BB4_6234 Depth=4
	s_andn2_saveexec_b64 s[28:29], s[36:37]
; %bb.6648:                             ;   in Loop: Header=BB4_6234 Depth=4
	v_or_b32_e32 v43, 0x7b, v3
; %bb.6649:                             ;   in Loop: Header=BB4_6234 Depth=4
	s_or_b64 exec, exec, s[28:29]
                                        ; implicit-def: $vgpr0
.LBB4_6650:                             ;   in Loop: Header=BB4_6234 Depth=4
	s_andn2_saveexec_b64 s[28:29], s[34:35]
	s_cbranch_execz .LBB4_6656
; %bb.6651:                             ;   in Loop: Header=BB4_6234 Depth=4
	v_cmp_ne_u64_e32 vcc, 0, v[16:17]
                                        ; implicit-def: $vgpr43
	s_and_saveexec_b64 s[34:35], vcc
	s_xor_b64 vcc, exec, s[34:35]
; %bb.6652:                             ;   in Loop: Header=BB4_6234 Depth=4
	v_or_b32_sdwa v43, v0, s47 dst_sel:DWORD dst_unused:UNUSED_PAD src0_sel:BYTE_3 src1_sel:DWORD
                                        ; implicit-def: $vgpr0
; %bb.6653:                             ;   in Loop: Header=BB4_6234 Depth=4
	s_andn2_saveexec_b64 s[34:35], vcc
; %bb.6654:                             ;   in Loop: Header=BB4_6234 Depth=4
	v_cmp_lt_i32_e32 vcc, -1, v0
	v_cndmask_b32_e32 v43, -4, v52, vcc
; %bb.6655:                             ;   in Loop: Header=BB4_6234 Depth=4
	s_or_b64 exec, exec, s[34:35]
.LBB4_6656:                             ;   in Loop: Header=BB4_6234 Depth=4
	s_or_b64 exec, exec, s[28:29]
	flat_load_sbyte v0, v[8:9] offset:832 glc slc
	v_mov_b32_e32 v1, 0
	s_waitcnt vmcnt(0) lgkmcnt(0)
	v_cmp_ne_u16_e32 vcc, 0, v0
	s_and_saveexec_b64 s[28:29], vcc
	s_cbranch_execz .LBB4_6664
; %bb.6657:                             ;   in Loop: Header=BB4_6234 Depth=4
	v_cmp_ne_u16_e32 vcc, s97, v0
	v_bfrev_b32_e32 v1, 1
	s_and_saveexec_b64 s[34:35], vcc
	s_cbranch_execz .LBB4_6663
; %bb.6658:                             ;   in Loop: Header=BB4_6234 Depth=4
	v_and_b32_e32 v1, 0x7c, v0
	v_and_b32_e32 v3, 3, v0
	v_cmp_ne_u32_e32 vcc, s85, v1
                                        ; implicit-def: $vgpr1
	s_and_saveexec_b64 s[36:37], vcc
	s_xor_b64 s[36:37], exec, s[36:37]
	s_cbranch_execz .LBB4_6660
; %bb.6659:                             ;   in Loop: Header=BB4_6234 Depth=4
	v_and_b32_e32 v5, 0xff, v0
	v_bfe_u32 v14, v5, 2, 5
	v_ffbh_u32_e32 v5, v3
	v_min_u32_e32 v15, 32, v5
	v_mov_b32_e32 v1, v17
	v_subrev_u32_e32 v5, 29, v15
	v_lshlrev_b64 v[5:6], v5, v[0:1]
	v_sub_u32_e32 v1, 30, v15
	v_cmp_eq_u32_e32 vcc, 0, v14
	v_and_b32_e32 v5, 3, v5
	v_cndmask_b32_e32 v1, v14, v1, vcc
	v_and_b32_sdwa v0, sext(v0), s86 dst_sel:DWORD dst_unused:UNUSED_PAD src0_sel:WORD_0 src1_sel:DWORD
	v_cndmask_b32_e32 v3, v3, v5, vcc
	v_lshl_add_u32 v0, v1, 23, v0
	v_lshl_or_b32 v0, v3, 21, v0
	v_add_u32_e32 v1, 0x38000000, v0
                                        ; implicit-def: $vgpr3
                                        ; implicit-def: $vgpr0
.LBB4_6660:                             ;   in Loop: Header=BB4_6234 Depth=4
	s_andn2_saveexec_b64 s[36:37], s[36:37]
; %bb.6661:                             ;   in Loop: Header=BB4_6234 Depth=4
	v_cmp_lt_i16_e32 vcc, -1, v0
	v_mov_b32_e32 v0, 0xff800000
	v_mov_b32_e32 v1, 0x7f800000
	v_cndmask_b32_e32 v0, v0, v1, vcc
	v_cmp_eq_u32_e32 vcc, 0, v3
	v_mov_b32_e32 v1, 0x7f800001
	v_cndmask_b32_e32 v1, v1, v0, vcc
; %bb.6662:                             ;   in Loop: Header=BB4_6234 Depth=4
	s_or_b64 exec, exec, s[36:37]
.LBB4_6663:                             ;   in Loop: Header=BB4_6234 Depth=4
	s_or_b64 exec, exec, s[34:35]
.LBB4_6664:                             ;   in Loop: Header=BB4_6234 Depth=4
	s_or_b64 exec, exec, s[28:29]
	v_mul_f32_e32 v0, v7, v1
	v_and_b32_e32 v5, 0x7f800000, v0
	v_mov_b32_e32 v6, v17
	v_cmp_ne_u64_e32 vcc, s[76:77], v[5:6]
	v_and_b32_e32 v16, 0x7fffff, v0
                                        ; implicit-def: $vgpr42
	s_and_saveexec_b64 s[28:29], vcc
	s_xor_b64 s[34:35], exec, s[28:29]
	s_cbranch_execz .LBB4_6682
; %bb.6665:                             ;   in Loop: Header=BB4_6234 Depth=4
	v_and_b32_e32 v5, 0x7fffffff, v0
	v_mov_b32_e32 v6, v17
	v_cmp_gt_u64_e32 vcc, s[78:79], v[5:6]
	v_and_b32_sdwa v3, v0, s96 dst_sel:DWORD dst_unused:UNUSED_PAD src0_sel:BYTE_3 src1_sel:DWORD
                                        ; implicit-def: $vgpr42
	s_and_saveexec_b64 s[28:29], vcc
	s_xor_b64 s[36:37], exec, s[28:29]
	s_cbranch_execz .LBB4_6679
; %bb.6666:                             ;   in Loop: Header=BB4_6234 Depth=4
	v_cmp_ne_u32_e32 vcc, 0, v0
	v_mov_b32_e32 v42, 0
	s_and_saveexec_b64 s[38:39], vcc
	s_cbranch_execz .LBB4_6678
; %bb.6667:                             ;   in Loop: Header=BB4_6234 Depth=4
	v_bfe_u32 v14, v0, 23, 8
	v_cmp_gt_u32_e64 s[28:29], s46, v14
	v_sub_u32_e32 v0, 0x71, v14
	v_cmp_eq_u32_e32 vcc, 0, v14
	v_cndmask_b32_e64 v0, 0, v0, s[28:29]
	v_mov_b32_e32 v5, 0x70
	v_cndmask_b32_e32 v15, v0, v5, vcc
	v_add_u32_e32 v5, 21, v15
	v_or_b32_e32 v1, 0x800000, v16
	v_lshlrev_b64 v[5:6], v5, -1
	v_cndmask_b32_e32 v0, v1, v16, vcc
	v_mov_b32_e32 v1, v17
	v_add_u32_e32 v16, 20, v15
	v_bfi_b32 v5, v5, 0, v0
	v_lshlrev_b64 v[24:25], v16, 1
	v_lshrrev_b64 v[0:1], v15, v[0:1]
	v_bfi_b32 v6, v6, 0, 0
	v_cmp_eq_u64_e64 s[28:29], v[5:6], v[24:25]
	v_mov_b32_e32 v6, v1
	v_mov_b32_e32 v5, v0
	s_and_saveexec_b64 s[48:49], s[28:29]
; %bb.6668:                             ;   in Loop: Header=BB4_6234 Depth=4
	v_bfe_u32 v1, v0, 21, 1
	v_add_co_u32_e64 v1, s[28:29], v0, v1
	v_add_co_u32_e64 v5, s[28:29], -1, v1
; %bb.6669:                             ;   in Loop: Header=BB4_6234 Depth=4
	s_or_b64 exec, exec, s[48:49]
	v_add_u32_e32 v1, 0xffffff81, v14
	v_mov_b32_e32 v6, 0xffffff82
	v_cndmask_b32_e32 v1, v1, v6, vcc
	v_lshrrev_b32_e32 v6, 23, v0
	v_add3_u32 v14, v15, v1, v6
	v_add_u32_e32 v6, 14, v14
	v_and_b32_e32 v1, 0x1fffff, v5
	v_add_u32_e32 v16, v1, v0
	v_cmp_ne_u32_e32 vcc, 0, v6
                                        ; implicit-def: $vgpr0_vgpr1
                                        ; implicit-def: $vgpr5
	s_and_saveexec_b64 s[28:29], vcc
	s_xor_b64 s[28:29], exec, s[28:29]
; %bb.6670:                             ;   in Loop: Header=BB4_6234 Depth=4
	v_cmp_lt_u64_e32 vcc, s[88:89], v[16:17]
	v_add_u32_e32 v0, 15, v14
	v_cndmask_b32_e32 v5, v6, v0, vcc
	v_cndmask_b32_e64 v0, 0, 1, vcc
	v_lshrrev_b64 v[0:1], v0, v[16:17]
; %bb.6671:                             ;   in Loop: Header=BB4_6234 Depth=4
	s_andn2_saveexec_b64 s[28:29], s[28:29]
; %bb.6672:                             ;   in Loop: Header=BB4_6234 Depth=4
	v_mov_b32_e32 v0, v16
	v_mov_b32_e32 v1, v17
	v_bfe_u32 v5, v16, 23, 1
; %bb.6673:                             ;   in Loop: Header=BB4_6234 Depth=4
	s_or_b64 exec, exec, s[28:29]
	v_lshrrev_b64 v[0:1], 21, v[0:1]
	v_cmp_gt_i32_e32 vcc, 32, v5
	v_cndmask_b32_e32 v1, 0, v1, vcc
	v_cndmask_b32_e32 v0, 3, v0, vcc
	v_cmp_ne_u64_e32 vcc, 0, v[0:1]
	v_cmp_ne_u32_e64 s[28:29], 0, v5
	s_or_b64 s[28:29], s[28:29], vcc
                                        ; implicit-def: $vgpr42
	s_and_saveexec_b64 vcc, s[28:29]
	s_xor_b64 s[28:29], exec, vcc
; %bb.6674:                             ;   in Loop: Header=BB4_6234 Depth=4
	v_min_i32_e32 v1, 31, v5
	v_lshl_or_b32 v1, v1, 2, v3
	v_and_or_b32 v42, v0, 3, v1
                                        ; implicit-def: $vgpr3
; %bb.6675:                             ;   in Loop: Header=BB4_6234 Depth=4
	s_andn2_saveexec_b64 s[28:29], s[28:29]
; %bb.6676:                             ;   in Loop: Header=BB4_6234 Depth=4
	v_mov_b32_e32 v42, v3
; %bb.6677:                             ;   in Loop: Header=BB4_6234 Depth=4
	s_or_b64 exec, exec, s[28:29]
.LBB4_6678:                             ;   in Loop: Header=BB4_6234 Depth=4
	s_or_b64 exec, exec, s[38:39]
                                        ; implicit-def: $vgpr3
.LBB4_6679:                             ;   in Loop: Header=BB4_6234 Depth=4
	s_andn2_saveexec_b64 s[28:29], s[36:37]
; %bb.6680:                             ;   in Loop: Header=BB4_6234 Depth=4
	v_or_b32_e32 v42, 0x7b, v3
; %bb.6681:                             ;   in Loop: Header=BB4_6234 Depth=4
	s_or_b64 exec, exec, s[28:29]
                                        ; implicit-def: $vgpr0
.LBB4_6682:                             ;   in Loop: Header=BB4_6234 Depth=4
	s_andn2_saveexec_b64 s[28:29], s[34:35]
	s_cbranch_execz .LBB4_6688
; %bb.6683:                             ;   in Loop: Header=BB4_6234 Depth=4
	v_cmp_ne_u64_e32 vcc, 0, v[16:17]
                                        ; implicit-def: $vgpr42
	s_and_saveexec_b64 s[34:35], vcc
	s_xor_b64 vcc, exec, s[34:35]
; %bb.6684:                             ;   in Loop: Header=BB4_6234 Depth=4
	v_or_b32_sdwa v42, v0, s47 dst_sel:DWORD dst_unused:UNUSED_PAD src0_sel:BYTE_3 src1_sel:DWORD
                                        ; implicit-def: $vgpr0
; %bb.6685:                             ;   in Loop: Header=BB4_6234 Depth=4
	s_andn2_saveexec_b64 s[34:35], vcc
; %bb.6686:                             ;   in Loop: Header=BB4_6234 Depth=4
	v_cmp_lt_i32_e32 vcc, -1, v0
	v_cndmask_b32_e32 v42, -4, v52, vcc
; %bb.6687:                             ;   in Loop: Header=BB4_6234 Depth=4
	s_or_b64 exec, exec, s[34:35]
.LBB4_6688:                             ;   in Loop: Header=BB4_6234 Depth=4
	s_or_b64 exec, exec, s[28:29]
	flat_load_sbyte v0, v[8:9] offset:896 glc slc
	v_mov_b32_e32 v1, 0
	s_waitcnt vmcnt(0) lgkmcnt(0)
	v_cmp_ne_u16_e32 vcc, 0, v0
	s_and_saveexec_b64 s[28:29], vcc
	s_cbranch_execz .LBB4_6696
; %bb.6689:                             ;   in Loop: Header=BB4_6234 Depth=4
	v_cmp_ne_u16_e32 vcc, s97, v0
	v_bfrev_b32_e32 v1, 1
	s_and_saveexec_b64 s[34:35], vcc
	s_cbranch_execz .LBB4_6695
; %bb.6690:                             ;   in Loop: Header=BB4_6234 Depth=4
	v_and_b32_e32 v1, 0x7c, v0
	v_and_b32_e32 v3, 3, v0
	v_cmp_ne_u32_e32 vcc, s85, v1
                                        ; implicit-def: $vgpr1
	s_and_saveexec_b64 s[36:37], vcc
	s_xor_b64 s[36:37], exec, s[36:37]
	s_cbranch_execz .LBB4_6692
; %bb.6691:                             ;   in Loop: Header=BB4_6234 Depth=4
	v_and_b32_e32 v5, 0xff, v0
	v_bfe_u32 v14, v5, 2, 5
	v_ffbh_u32_e32 v5, v3
	v_min_u32_e32 v15, 32, v5
	v_mov_b32_e32 v1, v17
	v_subrev_u32_e32 v5, 29, v15
	v_lshlrev_b64 v[5:6], v5, v[0:1]
	v_sub_u32_e32 v1, 30, v15
	v_cmp_eq_u32_e32 vcc, 0, v14
	v_and_b32_e32 v5, 3, v5
	v_cndmask_b32_e32 v1, v14, v1, vcc
	v_and_b32_sdwa v0, sext(v0), s86 dst_sel:DWORD dst_unused:UNUSED_PAD src0_sel:WORD_0 src1_sel:DWORD
	v_cndmask_b32_e32 v3, v3, v5, vcc
	v_lshl_add_u32 v0, v1, 23, v0
	v_lshl_or_b32 v0, v3, 21, v0
	v_add_u32_e32 v1, 0x38000000, v0
                                        ; implicit-def: $vgpr3
                                        ; implicit-def: $vgpr0
.LBB4_6692:                             ;   in Loop: Header=BB4_6234 Depth=4
	s_andn2_saveexec_b64 s[36:37], s[36:37]
; %bb.6693:                             ;   in Loop: Header=BB4_6234 Depth=4
	v_cmp_lt_i16_e32 vcc, -1, v0
	v_mov_b32_e32 v0, 0xff800000
	v_mov_b32_e32 v1, 0x7f800000
	v_cndmask_b32_e32 v0, v0, v1, vcc
	v_cmp_eq_u32_e32 vcc, 0, v3
	v_mov_b32_e32 v1, 0x7f800001
	v_cndmask_b32_e32 v1, v1, v0, vcc
; %bb.6694:                             ;   in Loop: Header=BB4_6234 Depth=4
	s_or_b64 exec, exec, s[36:37]
.LBB4_6695:                             ;   in Loop: Header=BB4_6234 Depth=4
	s_or_b64 exec, exec, s[34:35]
.LBB4_6696:                             ;   in Loop: Header=BB4_6234 Depth=4
	s_or_b64 exec, exec, s[28:29]
	v_mul_f32_e32 v0, v7, v1
	v_and_b32_e32 v5, 0x7f800000, v0
	v_mov_b32_e32 v6, v17
	v_cmp_ne_u64_e32 vcc, s[76:77], v[5:6]
	v_and_b32_e32 v16, 0x7fffff, v0
                                        ; implicit-def: $vgpr41
	s_and_saveexec_b64 s[28:29], vcc
	s_xor_b64 s[34:35], exec, s[28:29]
	s_cbranch_execz .LBB4_6714
; %bb.6697:                             ;   in Loop: Header=BB4_6234 Depth=4
	v_and_b32_e32 v5, 0x7fffffff, v0
	v_mov_b32_e32 v6, v17
	v_cmp_gt_u64_e32 vcc, s[78:79], v[5:6]
	v_and_b32_sdwa v3, v0, s96 dst_sel:DWORD dst_unused:UNUSED_PAD src0_sel:BYTE_3 src1_sel:DWORD
                                        ; implicit-def: $vgpr41
	s_and_saveexec_b64 s[28:29], vcc
	s_xor_b64 s[36:37], exec, s[28:29]
	s_cbranch_execz .LBB4_6711
; %bb.6698:                             ;   in Loop: Header=BB4_6234 Depth=4
	v_cmp_ne_u32_e32 vcc, 0, v0
	v_mov_b32_e32 v41, 0
	s_and_saveexec_b64 s[38:39], vcc
	s_cbranch_execz .LBB4_6710
; %bb.6699:                             ;   in Loop: Header=BB4_6234 Depth=4
	v_bfe_u32 v14, v0, 23, 8
	v_cmp_gt_u32_e64 s[28:29], s46, v14
	v_sub_u32_e32 v0, 0x71, v14
	v_cmp_eq_u32_e32 vcc, 0, v14
	v_cndmask_b32_e64 v0, 0, v0, s[28:29]
	v_mov_b32_e32 v5, 0x70
	v_cndmask_b32_e32 v15, v0, v5, vcc
	v_add_u32_e32 v5, 21, v15
	v_or_b32_e32 v1, 0x800000, v16
	v_lshlrev_b64 v[5:6], v5, -1
	v_cndmask_b32_e32 v0, v1, v16, vcc
	v_mov_b32_e32 v1, v17
	v_add_u32_e32 v16, 20, v15
	v_bfi_b32 v5, v5, 0, v0
	v_lshlrev_b64 v[24:25], v16, 1
	v_lshrrev_b64 v[0:1], v15, v[0:1]
	v_bfi_b32 v6, v6, 0, 0
	v_cmp_eq_u64_e64 s[28:29], v[5:6], v[24:25]
	v_mov_b32_e32 v6, v1
	v_mov_b32_e32 v5, v0
	s_and_saveexec_b64 s[48:49], s[28:29]
; %bb.6700:                             ;   in Loop: Header=BB4_6234 Depth=4
	v_bfe_u32 v1, v0, 21, 1
	v_add_co_u32_e64 v1, s[28:29], v0, v1
	v_add_co_u32_e64 v5, s[28:29], -1, v1
; %bb.6701:                             ;   in Loop: Header=BB4_6234 Depth=4
	s_or_b64 exec, exec, s[48:49]
	v_add_u32_e32 v1, 0xffffff81, v14
	v_mov_b32_e32 v6, 0xffffff82
	v_cndmask_b32_e32 v1, v1, v6, vcc
	v_lshrrev_b32_e32 v6, 23, v0
	v_add3_u32 v14, v15, v1, v6
	v_add_u32_e32 v6, 14, v14
	v_and_b32_e32 v1, 0x1fffff, v5
	v_add_u32_e32 v16, v1, v0
	v_cmp_ne_u32_e32 vcc, 0, v6
                                        ; implicit-def: $vgpr0_vgpr1
                                        ; implicit-def: $vgpr5
	s_and_saveexec_b64 s[28:29], vcc
	s_xor_b64 s[28:29], exec, s[28:29]
; %bb.6702:                             ;   in Loop: Header=BB4_6234 Depth=4
	v_cmp_lt_u64_e32 vcc, s[88:89], v[16:17]
	v_add_u32_e32 v0, 15, v14
	v_cndmask_b32_e32 v5, v6, v0, vcc
	v_cndmask_b32_e64 v0, 0, 1, vcc
	v_lshrrev_b64 v[0:1], v0, v[16:17]
; %bb.6703:                             ;   in Loop: Header=BB4_6234 Depth=4
	s_andn2_saveexec_b64 s[28:29], s[28:29]
; %bb.6704:                             ;   in Loop: Header=BB4_6234 Depth=4
	v_mov_b32_e32 v0, v16
	v_mov_b32_e32 v1, v17
	v_bfe_u32 v5, v16, 23, 1
; %bb.6705:                             ;   in Loop: Header=BB4_6234 Depth=4
	s_or_b64 exec, exec, s[28:29]
	v_lshrrev_b64 v[0:1], 21, v[0:1]
	v_cmp_gt_i32_e32 vcc, 32, v5
	v_cndmask_b32_e32 v1, 0, v1, vcc
	v_cndmask_b32_e32 v0, 3, v0, vcc
	v_cmp_ne_u64_e32 vcc, 0, v[0:1]
	v_cmp_ne_u32_e64 s[28:29], 0, v5
	s_or_b64 s[28:29], s[28:29], vcc
                                        ; implicit-def: $vgpr41
	s_and_saveexec_b64 vcc, s[28:29]
	s_xor_b64 s[28:29], exec, vcc
; %bb.6706:                             ;   in Loop: Header=BB4_6234 Depth=4
	v_min_i32_e32 v1, 31, v5
	v_lshl_or_b32 v1, v1, 2, v3
	v_and_or_b32 v41, v0, 3, v1
                                        ; implicit-def: $vgpr3
; %bb.6707:                             ;   in Loop: Header=BB4_6234 Depth=4
	s_andn2_saveexec_b64 s[28:29], s[28:29]
; %bb.6708:                             ;   in Loop: Header=BB4_6234 Depth=4
	v_mov_b32_e32 v41, v3
; %bb.6709:                             ;   in Loop: Header=BB4_6234 Depth=4
	s_or_b64 exec, exec, s[28:29]
.LBB4_6710:                             ;   in Loop: Header=BB4_6234 Depth=4
	s_or_b64 exec, exec, s[38:39]
                                        ; implicit-def: $vgpr3
.LBB4_6711:                             ;   in Loop: Header=BB4_6234 Depth=4
	s_andn2_saveexec_b64 s[28:29], s[36:37]
; %bb.6712:                             ;   in Loop: Header=BB4_6234 Depth=4
	v_or_b32_e32 v41, 0x7b, v3
; %bb.6713:                             ;   in Loop: Header=BB4_6234 Depth=4
	s_or_b64 exec, exec, s[28:29]
                                        ; implicit-def: $vgpr0
.LBB4_6714:                             ;   in Loop: Header=BB4_6234 Depth=4
	s_andn2_saveexec_b64 s[28:29], s[34:35]
	s_cbranch_execz .LBB4_6720
; %bb.6715:                             ;   in Loop: Header=BB4_6234 Depth=4
	v_cmp_ne_u64_e32 vcc, 0, v[16:17]
                                        ; implicit-def: $vgpr41
	s_and_saveexec_b64 s[34:35], vcc
	s_xor_b64 vcc, exec, s[34:35]
; %bb.6716:                             ;   in Loop: Header=BB4_6234 Depth=4
	v_or_b32_sdwa v41, v0, s47 dst_sel:DWORD dst_unused:UNUSED_PAD src0_sel:BYTE_3 src1_sel:DWORD
                                        ; implicit-def: $vgpr0
; %bb.6717:                             ;   in Loop: Header=BB4_6234 Depth=4
	s_andn2_saveexec_b64 s[34:35], vcc
; %bb.6718:                             ;   in Loop: Header=BB4_6234 Depth=4
	v_cmp_lt_i32_e32 vcc, -1, v0
	v_cndmask_b32_e32 v41, -4, v52, vcc
; %bb.6719:                             ;   in Loop: Header=BB4_6234 Depth=4
	s_or_b64 exec, exec, s[34:35]
.LBB4_6720:                             ;   in Loop: Header=BB4_6234 Depth=4
	s_or_b64 exec, exec, s[28:29]
	flat_load_sbyte v0, v[8:9] offset:960 glc slc
	v_mov_b32_e32 v1, 0
	s_waitcnt vmcnt(0) lgkmcnt(0)
	v_cmp_ne_u16_e32 vcc, 0, v0
	s_and_saveexec_b64 s[28:29], vcc
	s_cbranch_execz .LBB4_6728
; %bb.6721:                             ;   in Loop: Header=BB4_6234 Depth=4
	v_cmp_ne_u16_e32 vcc, s97, v0
	v_bfrev_b32_e32 v1, 1
	s_and_saveexec_b64 s[34:35], vcc
	s_cbranch_execz .LBB4_6727
; %bb.6722:                             ;   in Loop: Header=BB4_6234 Depth=4
	v_and_b32_e32 v1, 0x7c, v0
	v_and_b32_e32 v3, 3, v0
	v_cmp_ne_u32_e32 vcc, s85, v1
                                        ; implicit-def: $vgpr1
	s_and_saveexec_b64 s[36:37], vcc
	s_xor_b64 s[36:37], exec, s[36:37]
	s_cbranch_execz .LBB4_6724
; %bb.6723:                             ;   in Loop: Header=BB4_6234 Depth=4
	v_and_b32_e32 v5, 0xff, v0
	v_bfe_u32 v14, v5, 2, 5
	v_ffbh_u32_e32 v5, v3
	v_min_u32_e32 v15, 32, v5
	v_mov_b32_e32 v1, v17
	v_subrev_u32_e32 v5, 29, v15
	v_lshlrev_b64 v[5:6], v5, v[0:1]
	v_sub_u32_e32 v1, 30, v15
	v_cmp_eq_u32_e32 vcc, 0, v14
	v_and_b32_e32 v5, 3, v5
	v_cndmask_b32_e32 v1, v14, v1, vcc
	v_and_b32_sdwa v0, sext(v0), s86 dst_sel:DWORD dst_unused:UNUSED_PAD src0_sel:WORD_0 src1_sel:DWORD
	v_cndmask_b32_e32 v3, v3, v5, vcc
	v_lshl_add_u32 v0, v1, 23, v0
	v_lshl_or_b32 v0, v3, 21, v0
	v_add_u32_e32 v1, 0x38000000, v0
                                        ; implicit-def: $vgpr3
                                        ; implicit-def: $vgpr0
.LBB4_6724:                             ;   in Loop: Header=BB4_6234 Depth=4
	s_andn2_saveexec_b64 s[36:37], s[36:37]
; %bb.6725:                             ;   in Loop: Header=BB4_6234 Depth=4
	v_cmp_lt_i16_e32 vcc, -1, v0
	v_mov_b32_e32 v0, 0xff800000
	v_mov_b32_e32 v1, 0x7f800000
	v_cndmask_b32_e32 v0, v0, v1, vcc
	v_cmp_eq_u32_e32 vcc, 0, v3
	v_mov_b32_e32 v1, 0x7f800001
	v_cndmask_b32_e32 v1, v1, v0, vcc
; %bb.6726:                             ;   in Loop: Header=BB4_6234 Depth=4
	s_or_b64 exec, exec, s[36:37]
.LBB4_6727:                             ;   in Loop: Header=BB4_6234 Depth=4
	s_or_b64 exec, exec, s[34:35]
.LBB4_6728:                             ;   in Loop: Header=BB4_6234 Depth=4
	s_or_b64 exec, exec, s[28:29]
	v_mul_f32_e32 v0, v7, v1
	v_and_b32_e32 v5, 0x7f800000, v0
	v_mov_b32_e32 v6, v17
	v_cmp_ne_u64_e32 vcc, s[76:77], v[5:6]
	v_and_b32_e32 v16, 0x7fffff, v0
                                        ; implicit-def: $vgpr14
	s_and_saveexec_b64 s[28:29], vcc
	s_xor_b64 s[34:35], exec, s[28:29]
	s_cbranch_execz .LBB4_6746
; %bb.6729:                             ;   in Loop: Header=BB4_6234 Depth=4
	v_and_b32_e32 v5, 0x7fffffff, v0
	v_mov_b32_e32 v6, v17
	v_cmp_gt_u64_e32 vcc, s[78:79], v[5:6]
	v_and_b32_sdwa v3, v0, s96 dst_sel:DWORD dst_unused:UNUSED_PAD src0_sel:BYTE_3 src1_sel:DWORD
                                        ; implicit-def: $vgpr14
	s_and_saveexec_b64 s[28:29], vcc
	s_xor_b64 s[36:37], exec, s[28:29]
	s_cbranch_execz .LBB4_6743
; %bb.6730:                             ;   in Loop: Header=BB4_6234 Depth=4
	v_cmp_ne_u32_e32 vcc, 0, v0
	v_mov_b32_e32 v14, 0
	s_and_saveexec_b64 s[38:39], vcc
	s_cbranch_execz .LBB4_6742
; %bb.6731:                             ;   in Loop: Header=BB4_6234 Depth=4
	v_bfe_u32 v7, v0, 23, 8
	v_cmp_gt_u32_e64 s[28:29], s46, v7
	v_sub_u32_e32 v0, 0x71, v7
	v_cmp_eq_u32_e32 vcc, 0, v7
	v_cndmask_b32_e64 v0, 0, v0, s[28:29]
	v_mov_b32_e32 v5, 0x70
	v_cndmask_b32_e32 v14, v0, v5, vcc
	v_add_u32_e32 v5, 21, v14
	v_or_b32_e32 v1, 0x800000, v16
	v_lshlrev_b64 v[5:6], v5, -1
	v_cndmask_b32_e32 v0, v1, v16, vcc
	v_mov_b32_e32 v1, v17
	v_add_u32_e32 v15, 20, v14
	v_bfi_b32 v5, v5, 0, v0
	v_lshlrev_b64 v[15:16], v15, 1
	v_lshrrev_b64 v[0:1], v14, v[0:1]
	v_bfi_b32 v6, v6, 0, 0
	v_cmp_eq_u64_e64 s[28:29], v[5:6], v[15:16]
	v_mov_b32_e32 v6, v1
	v_mov_b32_e32 v5, v0
	s_and_saveexec_b64 s[48:49], s[28:29]
; %bb.6732:                             ;   in Loop: Header=BB4_6234 Depth=4
	v_bfe_u32 v1, v0, 21, 1
	v_add_co_u32_e64 v1, s[28:29], v0, v1
	v_add_co_u32_e64 v5, s[28:29], -1, v1
; %bb.6733:                             ;   in Loop: Header=BB4_6234 Depth=4
	s_or_b64 exec, exec, s[48:49]
	v_add_u32_e32 v1, 0xffffff81, v7
	v_mov_b32_e32 v6, 0xffffff82
	v_cndmask_b32_e32 v1, v1, v6, vcc
	v_lshrrev_b32_e32 v6, 23, v0
	v_add3_u32 v7, v14, v1, v6
	v_add_u32_e32 v6, 14, v7
	v_and_b32_e32 v1, 0x1fffff, v5
	v_add_u32_e32 v16, v1, v0
	v_cmp_ne_u32_e32 vcc, 0, v6
                                        ; implicit-def: $vgpr0_vgpr1
                                        ; implicit-def: $vgpr5
	s_and_saveexec_b64 s[28:29], vcc
	s_xor_b64 s[28:29], exec, s[28:29]
; %bb.6734:                             ;   in Loop: Header=BB4_6234 Depth=4
	v_cmp_lt_u64_e32 vcc, s[88:89], v[16:17]
	v_add_u32_e32 v0, 15, v7
	v_cndmask_b32_e32 v5, v6, v0, vcc
	v_cndmask_b32_e64 v0, 0, 1, vcc
	v_lshrrev_b64 v[0:1], v0, v[16:17]
; %bb.6735:                             ;   in Loop: Header=BB4_6234 Depth=4
	s_andn2_saveexec_b64 s[28:29], s[28:29]
; %bb.6736:                             ;   in Loop: Header=BB4_6234 Depth=4
	v_mov_b32_e32 v0, v16
	v_mov_b32_e32 v1, v17
	v_bfe_u32 v5, v16, 23, 1
; %bb.6737:                             ;   in Loop: Header=BB4_6234 Depth=4
	s_or_b64 exec, exec, s[28:29]
	v_lshrrev_b64 v[0:1], 21, v[0:1]
	v_cmp_gt_i32_e32 vcc, 32, v5
	v_cndmask_b32_e32 v1, 0, v1, vcc
	v_cndmask_b32_e32 v0, 3, v0, vcc
	v_cmp_ne_u64_e32 vcc, 0, v[0:1]
	v_cmp_ne_u32_e64 s[28:29], 0, v5
	s_or_b64 s[28:29], s[28:29], vcc
                                        ; implicit-def: $vgpr14
	s_and_saveexec_b64 vcc, s[28:29]
	s_xor_b64 s[28:29], exec, vcc
; %bb.6738:                             ;   in Loop: Header=BB4_6234 Depth=4
	v_min_i32_e32 v1, 31, v5
	v_lshl_or_b32 v1, v1, 2, v3
	v_and_or_b32 v14, v0, 3, v1
                                        ; implicit-def: $vgpr3
; %bb.6739:                             ;   in Loop: Header=BB4_6234 Depth=4
	s_andn2_saveexec_b64 s[28:29], s[28:29]
; %bb.6740:                             ;   in Loop: Header=BB4_6234 Depth=4
	v_mov_b32_e32 v14, v3
; %bb.6741:                             ;   in Loop: Header=BB4_6234 Depth=4
	s_or_b64 exec, exec, s[28:29]
.LBB4_6742:                             ;   in Loop: Header=BB4_6234 Depth=4
	s_or_b64 exec, exec, s[38:39]
                                        ; implicit-def: $vgpr3
.LBB4_6743:                             ;   in Loop: Header=BB4_6234 Depth=4
	s_andn2_saveexec_b64 s[28:29], s[36:37]
; %bb.6744:                             ;   in Loop: Header=BB4_6234 Depth=4
	v_or_b32_e32 v14, 0x7b, v3
; %bb.6745:                             ;   in Loop: Header=BB4_6234 Depth=4
	s_or_b64 exec, exec, s[28:29]
                                        ; implicit-def: $vgpr0
.LBB4_6746:                             ;   in Loop: Header=BB4_6234 Depth=4
	s_andn2_saveexec_b64 s[28:29], s[34:35]
	s_cbranch_execz .LBB4_6752
; %bb.6747:                             ;   in Loop: Header=BB4_6234 Depth=4
	v_cmp_ne_u64_e32 vcc, 0, v[16:17]
                                        ; implicit-def: $vgpr14
	s_and_saveexec_b64 s[34:35], vcc
	s_xor_b64 vcc, exec, s[34:35]
; %bb.6748:                             ;   in Loop: Header=BB4_6234 Depth=4
	v_or_b32_sdwa v14, v0, s47 dst_sel:DWORD dst_unused:UNUSED_PAD src0_sel:BYTE_3 src1_sel:DWORD
                                        ; implicit-def: $vgpr0
; %bb.6749:                             ;   in Loop: Header=BB4_6234 Depth=4
	s_andn2_saveexec_b64 s[34:35], vcc
; %bb.6750:                             ;   in Loop: Header=BB4_6234 Depth=4
	v_cmp_lt_i32_e32 vcc, -1, v0
	v_cndmask_b32_e32 v14, -4, v52, vcc
; %bb.6751:                             ;   in Loop: Header=BB4_6234 Depth=4
	s_or_b64 exec, exec, s[34:35]
.LBB4_6752:                             ;   in Loop: Header=BB4_6234 Depth=4
	s_or_b64 exec, exec, s[28:29]
	flat_load_sbyte v36, v[10:11] glc slc
	flat_load_sbyte v34, v[10:11] offset:64 glc slc
	flat_load_sbyte v54, v[10:11] offset:128 glc slc
	;; [unrolled: 1-line block ×15, first 2 shown]
	v_and_b32_e32 v16, 0xff, v31
	v_cmp_ne_u16_e32 vcc, 0, v16
	v_mov_b32_e32 v3, 0
	v_mov_b32_e32 v5, 0
	s_and_saveexec_b64 s[28:29], vcc
	s_cbranch_execz .LBB4_6760
; %bb.6753:                             ;   in Loop: Header=BB4_6234 Depth=4
	v_cmp_ne_u16_e32 vcc, s96, v16
	v_bfrev_b32_e32 v5, 1
	s_and_saveexec_b64 s[34:35], vcc
	s_cbranch_execz .LBB4_6759
; %bb.6754:                             ;   in Loop: Header=BB4_6234 Depth=4
	v_and_b32_e32 v5, 0x7c, v31
	v_and_b32_e32 v7, 3, v31
	v_cmp_ne_u32_e32 vcc, s85, v5
                                        ; implicit-def: $vgpr5
	s_and_saveexec_b64 s[36:37], vcc
	s_xor_b64 s[36:37], exec, s[36:37]
	s_cbranch_execz .LBB4_6756
; %bb.6755:                             ;   in Loop: Header=BB4_6234 Depth=4
	v_bfe_u32 v5, v16, 2, 5
	v_ffbh_u32_e32 v16, v7
	v_min_u32_e32 v16, 32, v16
	v_mov_b32_e32 v32, v17
	v_subrev_u32_e32 v21, 29, v16
	v_lshlrev_b64 v[27:28], v21, v[31:32]
	v_sub_u32_e32 v16, 30, v16
	v_cmp_eq_u32_e32 vcc, 0, v5
	v_cndmask_b32_e32 v5, v5, v16, vcc
	v_lshlrev_b32_e32 v16, 24, v31
	v_and_b32_e32 v21, 3, v27
	v_and_b32_e32 v16, 0x80000000, v16
	v_cndmask_b32_e32 v7, v7, v21, vcc
	v_lshl_add_u32 v5, v5, 23, v16
	v_lshl_or_b32 v5, v7, 21, v5
	v_add_u32_e32 v5, 0x38000000, v5
                                        ; implicit-def: $vgpr7
                                        ; implicit-def: $vgpr31
.LBB4_6756:                             ;   in Loop: Header=BB4_6234 Depth=4
	s_andn2_saveexec_b64 s[36:37], s[36:37]
; %bb.6757:                             ;   in Loop: Header=BB4_6234 Depth=4
	v_mov_b32_e32 v5, -1
	v_cmp_gt_i16_sdwa vcc, sext(v31), v5 src0_sel:BYTE_0 src1_sel:DWORD
	v_mov_b32_e32 v5, 0xff800000
	v_mov_b32_e32 v16, 0x7f800000
	v_cndmask_b32_e32 v5, v5, v16, vcc
	v_cmp_eq_u32_e32 vcc, 0, v7
	v_mov_b32_e32 v7, 0x7f800001
	v_cndmask_b32_e32 v5, v7, v5, vcc
; %bb.6758:                             ;   in Loop: Header=BB4_6234 Depth=4
	s_or_b64 exec, exec, s[36:37]
.LBB4_6759:                             ;   in Loop: Header=BB4_6234 Depth=4
	s_or_b64 exec, exec, s[34:35]
.LBB4_6760:                             ;   in Loop: Header=BB4_6234 Depth=4
	s_or_b64 exec, exec, s[28:29]
	s_waitcnt vmcnt(0) lgkmcnt(0)
	v_cmp_ne_u16_e32 vcc, 0, v36
	s_and_saveexec_b64 s[28:29], vcc
	s_cbranch_execz .LBB4_6768
; %bb.6761:                             ;   in Loop: Header=BB4_6234 Depth=4
	v_cmp_ne_u16_e32 vcc, s97, v36
	v_bfrev_b32_e32 v3, 1
	s_and_saveexec_b64 s[34:35], vcc
	s_cbranch_execz .LBB4_6767
; %bb.6762:                             ;   in Loop: Header=BB4_6234 Depth=4
	v_and_b32_e32 v3, 0x7c, v36
	v_and_b32_e32 v7, 3, v36
	v_cmp_ne_u32_e32 vcc, s85, v3
                                        ; implicit-def: $vgpr3
	s_and_saveexec_b64 s[36:37], vcc
	s_xor_b64 s[36:37], exec, s[36:37]
	s_cbranch_execz .LBB4_6764
; %bb.6763:                             ;   in Loop: Header=BB4_6234 Depth=4
	v_ffbh_u32_e32 v16, v7
	v_min_u32_e32 v16, 32, v16
	v_and_b32_e32 v3, 0xff, v36
	v_mov_b32_e32 v37, v17
	v_subrev_u32_e32 v21, 29, v16
	v_bfe_u32 v3, v3, 2, 5
	v_lshlrev_b64 v[27:28], v21, v[36:37]
	v_sub_u32_e32 v16, 30, v16
	v_cmp_eq_u32_e32 vcc, 0, v3
	v_and_b32_e32 v21, 3, v27
	v_cndmask_b32_e32 v3, v3, v16, vcc
	v_and_b32_sdwa v16, sext(v36), s86 dst_sel:DWORD dst_unused:UNUSED_PAD src0_sel:WORD_0 src1_sel:DWORD
	v_cndmask_b32_e32 v7, v7, v21, vcc
	v_lshl_add_u32 v3, v3, 23, v16
	v_lshl_or_b32 v3, v7, 21, v3
	v_add_u32_e32 v3, 0x38000000, v3
                                        ; implicit-def: $vgpr7
                                        ; implicit-def: $vgpr36
.LBB4_6764:                             ;   in Loop: Header=BB4_6234 Depth=4
	s_andn2_saveexec_b64 s[36:37], s[36:37]
; %bb.6765:                             ;   in Loop: Header=BB4_6234 Depth=4
	v_cmp_lt_i16_e32 vcc, -1, v36
	v_mov_b32_e32 v3, 0xff800000
	v_mov_b32_e32 v16, 0x7f800000
	v_cndmask_b32_e32 v3, v3, v16, vcc
	v_cmp_eq_u32_e32 vcc, 0, v7
	v_mov_b32_e32 v7, 0x7f800001
	v_cndmask_b32_e32 v3, v7, v3, vcc
; %bb.6766:                             ;   in Loop: Header=BB4_6234 Depth=4
	s_or_b64 exec, exec, s[36:37]
.LBB4_6767:                             ;   in Loop: Header=BB4_6234 Depth=4
	s_or_b64 exec, exec, s[34:35]
.LBB4_6768:                             ;   in Loop: Header=BB4_6234 Depth=4
	s_or_b64 exec, exec, s[28:29]
	v_add_f32_e32 v5, v5, v3
	v_and_b32_e32 v27, 0x7f800000, v5
	v_mov_b32_e32 v28, v17
	v_cmp_ne_u64_e32 vcc, s[76:77], v[27:28]
	v_and_b32_e32 v16, 0x7fffff, v5
                                        ; implicit-def: $vgpr33
	s_and_saveexec_b64 s[28:29], vcc
	s_xor_b64 s[34:35], exec, s[28:29]
	s_cbranch_execz .LBB4_6786
; %bb.6769:                             ;   in Loop: Header=BB4_6234 Depth=4
	v_and_b32_e32 v27, 0x7fffffff, v5
	v_mov_b32_e32 v28, v17
	v_cmp_gt_u64_e32 vcc, s[78:79], v[27:28]
	v_and_b32_sdwa v3, v5, s96 dst_sel:DWORD dst_unused:UNUSED_PAD src0_sel:BYTE_3 src1_sel:DWORD
                                        ; implicit-def: $vgpr33
	s_and_saveexec_b64 s[28:29], vcc
	s_xor_b64 s[36:37], exec, s[28:29]
	s_cbranch_execz .LBB4_6783
; %bb.6770:                             ;   in Loop: Header=BB4_6234 Depth=4
	v_cmp_ne_u32_e32 vcc, 0, v5
	v_mov_b32_e32 v33, 0
	s_and_saveexec_b64 s[38:39], vcc
	s_cbranch_execz .LBB4_6782
; %bb.6771:                             ;   in Loop: Header=BB4_6234 Depth=4
	v_bfe_u32 v5, v5, 23, 8
	v_cmp_gt_u32_e64 s[28:29], s46, v5
	v_sub_u32_e32 v7, 0x71, v5
	v_cmp_eq_u32_e32 vcc, 0, v5
	v_cndmask_b32_e64 v7, 0, v7, s[28:29]
	v_mov_b32_e32 v25, 0x70
	v_or_b32_e32 v21, 0x800000, v16
	v_cndmask_b32_e32 v7, v7, v25, vcc
	v_cndmask_b32_e32 v27, v21, v16, vcc
	v_add_u32_e32 v16, 21, v7
	v_lshlrev_b64 v[31:32], v16, -1
	v_add_u32_e32 v16, 20, v7
	v_lshlrev_b64 v[35:36], v16, 1
	v_mov_b32_e32 v28, v17
	v_bfi_b32 v32, v32, 0, 0
	v_bfi_b32 v31, v31, 0, v27
	v_cmp_eq_u64_e64 s[28:29], v[31:32], v[35:36]
	v_lshrrev_b64 v[31:32], v7, v[27:28]
	v_mov_b32_e32 v33, v32
	v_mov_b32_e32 v32, v31
	s_and_saveexec_b64 s[48:49], s[28:29]
; %bb.6772:                             ;   in Loop: Header=BB4_6234 Depth=4
	v_bfe_u32 v16, v31, 21, 1
	v_add_co_u32_e64 v16, s[28:29], v31, v16
	v_add_co_u32_e64 v32, s[28:29], -1, v16
; %bb.6773:                             ;   in Loop: Header=BB4_6234 Depth=4
	s_or_b64 exec, exec, s[48:49]
	v_add_u32_e32 v5, 0xffffff81, v5
	v_mov_b32_e32 v16, 0xffffff82
	v_cndmask_b32_e32 v5, v5, v16, vcc
	v_lshrrev_b32_e32 v16, 23, v31
	v_add3_u32 v21, v7, v5, v16
	v_add_u32_e32 v7, 14, v21
	v_and_b32_e32 v5, 0x1fffff, v32
	v_add_u32_e32 v16, v5, v31
	v_cmp_ne_u32_e32 vcc, 0, v7
                                        ; implicit-def: $vgpr31_vgpr32
                                        ; implicit-def: $vgpr5
	s_and_saveexec_b64 s[28:29], vcc
	s_xor_b64 s[28:29], exec, s[28:29]
; %bb.6774:                             ;   in Loop: Header=BB4_6234 Depth=4
	v_cmp_lt_u64_e32 vcc, s[88:89], v[16:17]
	v_add_u32_e32 v5, 15, v21
	v_cndmask_b32_e32 v5, v7, v5, vcc
	v_cndmask_b32_e64 v7, 0, 1, vcc
	v_lshrrev_b64 v[31:32], v7, v[16:17]
; %bb.6775:                             ;   in Loop: Header=BB4_6234 Depth=4
	s_andn2_saveexec_b64 s[28:29], s[28:29]
; %bb.6776:                             ;   in Loop: Header=BB4_6234 Depth=4
	v_mov_b32_e32 v32, v17
	v_mov_b32_e32 v31, v16
	v_bfe_u32 v5, v16, 23, 1
; %bb.6777:                             ;   in Loop: Header=BB4_6234 Depth=4
	s_or_b64 exec, exec, s[28:29]
	v_lshrrev_b64 v[27:28], 21, v[31:32]
	v_cmp_gt_i32_e32 vcc, 32, v5
	v_cndmask_b32_e32 v32, 0, v28, vcc
	v_cndmask_b32_e32 v31, 3, v27, vcc
	v_cmp_ne_u64_e32 vcc, 0, v[31:32]
	v_cmp_ne_u32_e64 s[28:29], 0, v5
	s_or_b64 s[28:29], s[28:29], vcc
                                        ; implicit-def: $vgpr33
	s_and_saveexec_b64 vcc, s[28:29]
	s_xor_b64 s[28:29], exec, vcc
; %bb.6778:                             ;   in Loop: Header=BB4_6234 Depth=4
	v_min_i32_e32 v5, 31, v5
	v_lshl_or_b32 v3, v5, 2, v3
	v_and_or_b32 v33, v31, 3, v3
                                        ; implicit-def: $vgpr3
; %bb.6779:                             ;   in Loop: Header=BB4_6234 Depth=4
	s_andn2_saveexec_b64 s[28:29], s[28:29]
; %bb.6780:                             ;   in Loop: Header=BB4_6234 Depth=4
	v_mov_b32_e32 v33, v3
; %bb.6781:                             ;   in Loop: Header=BB4_6234 Depth=4
	s_or_b64 exec, exec, s[28:29]
.LBB4_6782:                             ;   in Loop: Header=BB4_6234 Depth=4
	s_or_b64 exec, exec, s[38:39]
                                        ; implicit-def: $vgpr3
.LBB4_6783:                             ;   in Loop: Header=BB4_6234 Depth=4
	s_andn2_saveexec_b64 s[28:29], s[36:37]
; %bb.6784:                             ;   in Loop: Header=BB4_6234 Depth=4
	v_or_b32_e32 v33, 0x7b, v3
; %bb.6785:                             ;   in Loop: Header=BB4_6234 Depth=4
	s_or_b64 exec, exec, s[28:29]
                                        ; implicit-def: $vgpr5
.LBB4_6786:                             ;   in Loop: Header=BB4_6234 Depth=4
	s_andn2_saveexec_b64 s[28:29], s[34:35]
	s_cbranch_execz .LBB4_6792
; %bb.6787:                             ;   in Loop: Header=BB4_6234 Depth=4
	v_cmp_ne_u64_e32 vcc, 0, v[16:17]
                                        ; implicit-def: $vgpr33
	s_and_saveexec_b64 s[34:35], vcc
	s_xor_b64 vcc, exec, s[34:35]
; %bb.6788:                             ;   in Loop: Header=BB4_6234 Depth=4
	v_or_b32_sdwa v33, v5, s47 dst_sel:DWORD dst_unused:UNUSED_PAD src0_sel:BYTE_3 src1_sel:DWORD
                                        ; implicit-def: $vgpr5
; %bb.6789:                             ;   in Loop: Header=BB4_6234 Depth=4
	s_andn2_saveexec_b64 s[34:35], vcc
; %bb.6790:                             ;   in Loop: Header=BB4_6234 Depth=4
	v_cmp_lt_i32_e32 vcc, -1, v5
	v_cndmask_b32_e32 v33, -4, v52, vcc
; %bb.6791:                             ;   in Loop: Header=BB4_6234 Depth=4
	s_or_b64 exec, exec, s[34:35]
.LBB4_6792:                             ;   in Loop: Header=BB4_6234 Depth=4
	s_or_b64 exec, exec, s[28:29]
	v_and_b32_e32 v16, 0xff, v2
	v_cmp_ne_u16_e32 vcc, 0, v16
	v_mov_b32_e32 v5, 0
	v_mov_b32_e32 v3, 0
	s_and_saveexec_b64 s[28:29], vcc
	s_cbranch_execz .LBB4_6800
; %bb.6793:                             ;   in Loop: Header=BB4_6234 Depth=4
	v_cmp_ne_u16_e32 vcc, s96, v16
	v_bfrev_b32_e32 v3, 1
	s_and_saveexec_b64 s[34:35], vcc
	s_cbranch_execz .LBB4_6799
; %bb.6794:                             ;   in Loop: Header=BB4_6234 Depth=4
	v_and_b32_e32 v3, 0x7c, v2
	v_and_b32_e32 v7, 3, v2
	v_cmp_ne_u32_e32 vcc, s85, v3
                                        ; implicit-def: $vgpr3
	s_and_saveexec_b64 s[36:37], vcc
	s_xor_b64 s[36:37], exec, s[36:37]
	s_cbranch_execz .LBB4_6796
; %bb.6795:                             ;   in Loop: Header=BB4_6234 Depth=4
	v_ffbh_u32_e32 v21, v7
	v_min_u32_e32 v21, 32, v21
	v_mov_b32_e32 v3, v17
	v_subrev_u32_e32 v25, 29, v21
	v_bfe_u32 v16, v16, 2, 5
	v_lshlrev_b64 v[27:28], v25, v[2:3]
	v_sub_u32_e32 v3, 30, v21
	v_cmp_eq_u32_e32 vcc, 0, v16
	v_lshlrev_b32_e32 v2, 24, v2
	v_and_b32_e32 v21, 3, v27
	v_cndmask_b32_e32 v3, v16, v3, vcc
	v_and_b32_e32 v2, 0x80000000, v2
	v_cndmask_b32_e32 v7, v7, v21, vcc
	v_lshl_add_u32 v2, v3, 23, v2
	v_lshl_or_b32 v2, v7, 21, v2
	v_add_u32_e32 v3, 0x38000000, v2
                                        ; implicit-def: $vgpr7
                                        ; implicit-def: $vgpr2
.LBB4_6796:                             ;   in Loop: Header=BB4_6234 Depth=4
	s_andn2_saveexec_b64 s[36:37], s[36:37]
; %bb.6797:                             ;   in Loop: Header=BB4_6234 Depth=4
	v_mov_b32_e32 v3, -1
	v_cmp_gt_i16_sdwa vcc, sext(v2), v3 src0_sel:BYTE_0 src1_sel:DWORD
	v_mov_b32_e32 v2, 0xff800000
	v_mov_b32_e32 v3, 0x7f800000
	v_cndmask_b32_e32 v2, v2, v3, vcc
	v_cmp_eq_u32_e32 vcc, 0, v7
	v_mov_b32_e32 v3, 0x7f800001
	v_cndmask_b32_e32 v3, v3, v2, vcc
; %bb.6798:                             ;   in Loop: Header=BB4_6234 Depth=4
	s_or_b64 exec, exec, s[36:37]
.LBB4_6799:                             ;   in Loop: Header=BB4_6234 Depth=4
	s_or_b64 exec, exec, s[34:35]
.LBB4_6800:                             ;   in Loop: Header=BB4_6234 Depth=4
	s_or_b64 exec, exec, s[28:29]
	v_cmp_ne_u16_e32 vcc, 0, v34
	s_and_saveexec_b64 s[28:29], vcc
	s_cbranch_execz .LBB4_6808
; %bb.6801:                             ;   in Loop: Header=BB4_6234 Depth=4
	v_cmp_ne_u16_e32 vcc, s97, v34
	v_bfrev_b32_e32 v5, 1
	s_and_saveexec_b64 s[34:35], vcc
	s_cbranch_execz .LBB4_6807
; %bb.6802:                             ;   in Loop: Header=BB4_6234 Depth=4
	v_and_b32_e32 v5, 0x7c, v34
	v_and_b32_e32 v2, 3, v34
	v_cmp_ne_u32_e32 vcc, s85, v5
                                        ; implicit-def: $vgpr5
	s_and_saveexec_b64 s[36:37], vcc
	s_xor_b64 s[36:37], exec, s[36:37]
	s_cbranch_execz .LBB4_6804
; %bb.6803:                             ;   in Loop: Header=BB4_6234 Depth=4
	v_ffbh_u32_e32 v7, v2
	v_min_u32_e32 v7, 32, v7
	v_and_b32_e32 v5, 0xff, v34
	v_mov_b32_e32 v35, v17
	v_subrev_u32_e32 v16, 29, v7
	v_bfe_u32 v5, v5, 2, 5
	v_lshlrev_b64 v[27:28], v16, v[34:35]
	v_sub_u32_e32 v7, 30, v7
	v_cmp_eq_u32_e32 vcc, 0, v5
	v_and_b32_e32 v16, 3, v27
	v_cndmask_b32_e32 v5, v5, v7, vcc
	v_and_b32_sdwa v7, sext(v34), s86 dst_sel:DWORD dst_unused:UNUSED_PAD src0_sel:WORD_0 src1_sel:DWORD
	v_cndmask_b32_e32 v2, v2, v16, vcc
	v_lshl_add_u32 v5, v5, 23, v7
	v_lshl_or_b32 v2, v2, 21, v5
	v_add_u32_e32 v5, 0x38000000, v2
                                        ; implicit-def: $vgpr2
                                        ; implicit-def: $vgpr34
.LBB4_6804:                             ;   in Loop: Header=BB4_6234 Depth=4
	s_andn2_saveexec_b64 s[36:37], s[36:37]
; %bb.6805:                             ;   in Loop: Header=BB4_6234 Depth=4
	v_cmp_lt_i16_e32 vcc, -1, v34
	v_mov_b32_e32 v5, 0xff800000
	v_mov_b32_e32 v7, 0x7f800000
	v_cndmask_b32_e32 v5, v5, v7, vcc
	v_cmp_eq_u32_e32 vcc, 0, v2
	v_mov_b32_e32 v2, 0x7f800001
	v_cndmask_b32_e32 v5, v2, v5, vcc
; %bb.6806:                             ;   in Loop: Header=BB4_6234 Depth=4
	s_or_b64 exec, exec, s[36:37]
.LBB4_6807:                             ;   in Loop: Header=BB4_6234 Depth=4
	s_or_b64 exec, exec, s[34:35]
.LBB4_6808:                             ;   in Loop: Header=BB4_6234 Depth=4
	s_or_b64 exec, exec, s[28:29]
	v_add_f32_e32 v2, v3, v5
	v_and_b32_e32 v27, 0x7f800000, v2
	v_mov_b32_e32 v28, v17
	v_cmp_ne_u64_e32 vcc, s[76:77], v[27:28]
	v_and_b32_e32 v16, 0x7fffff, v2
                                        ; implicit-def: $vgpr32
	s_and_saveexec_b64 s[28:29], vcc
	s_xor_b64 s[34:35], exec, s[28:29]
	s_cbranch_execz .LBB4_6826
; %bb.6809:                             ;   in Loop: Header=BB4_6234 Depth=4
	v_and_b32_e32 v27, 0x7fffffff, v2
	v_mov_b32_e32 v28, v17
	v_cmp_gt_u64_e32 vcc, s[78:79], v[27:28]
	v_and_b32_sdwa v5, v2, s96 dst_sel:DWORD dst_unused:UNUSED_PAD src0_sel:BYTE_3 src1_sel:DWORD
                                        ; implicit-def: $vgpr32
	s_and_saveexec_b64 s[28:29], vcc
	s_xor_b64 s[36:37], exec, s[28:29]
	s_cbranch_execz .LBB4_6823
; %bb.6810:                             ;   in Loop: Header=BB4_6234 Depth=4
	v_cmp_ne_u32_e32 vcc, 0, v2
	v_mov_b32_e32 v32, 0
	s_and_saveexec_b64 s[38:39], vcc
	s_cbranch_execz .LBB4_6822
; %bb.6811:                             ;   in Loop: Header=BB4_6234 Depth=4
	v_bfe_u32 v7, v2, 23, 8
	v_cmp_gt_u32_e64 s[28:29], s46, v7
	v_sub_u32_e32 v2, 0x71, v7
	v_cmp_eq_u32_e32 vcc, 0, v7
	v_cndmask_b32_e64 v2, 0, v2, s[28:29]
	v_mov_b32_e32 v21, 0x70
	v_or_b32_e32 v3, 0x800000, v16
	v_cndmask_b32_e32 v21, v2, v21, vcc
	v_cndmask_b32_e32 v2, v3, v16, vcc
	v_add_u32_e32 v16, 21, v21
	v_lshlrev_b64 v[27:28], v16, -1
	v_mov_b32_e32 v3, v17
	v_add_u32_e32 v16, 20, v21
	v_bfi_b32 v27, v27, 0, v2
	v_lshlrev_b64 v[31:32], v16, 1
	v_lshrrev_b64 v[2:3], v21, v[2:3]
	v_bfi_b32 v28, v28, 0, 0
	v_cmp_eq_u64_e64 s[28:29], v[27:28], v[31:32]
	v_mov_b32_e32 v32, v3
	v_mov_b32_e32 v31, v2
	s_and_saveexec_b64 s[48:49], s[28:29]
; %bb.6812:                             ;   in Loop: Header=BB4_6234 Depth=4
	v_bfe_u32 v3, v2, 21, 1
	v_add_co_u32_e64 v3, s[28:29], v2, v3
	v_add_co_u32_e64 v31, s[28:29], -1, v3
; %bb.6813:                             ;   in Loop: Header=BB4_6234 Depth=4
	s_or_b64 exec, exec, s[48:49]
	v_add_u32_e32 v3, 0xffffff81, v7
	v_mov_b32_e32 v7, 0xffffff82
	v_cndmask_b32_e32 v3, v3, v7, vcc
	v_lshrrev_b32_e32 v7, 23, v2
	v_add3_u32 v25, v21, v3, v7
	v_add_u32_e32 v21, 14, v25
	v_and_b32_e32 v3, 0x1fffff, v31
	v_add_u32_e32 v16, v3, v2
	v_cmp_ne_u32_e32 vcc, 0, v21
                                        ; implicit-def: $vgpr2_vgpr3
                                        ; implicit-def: $vgpr7
	s_and_saveexec_b64 s[28:29], vcc
	s_xor_b64 s[28:29], exec, s[28:29]
; %bb.6814:                             ;   in Loop: Header=BB4_6234 Depth=4
	v_cmp_lt_u64_e32 vcc, s[88:89], v[16:17]
	v_add_u32_e32 v2, 15, v25
	v_cndmask_b32_e32 v7, v21, v2, vcc
	v_cndmask_b32_e64 v2, 0, 1, vcc
	v_lshrrev_b64 v[2:3], v2, v[16:17]
; %bb.6815:                             ;   in Loop: Header=BB4_6234 Depth=4
	s_andn2_saveexec_b64 s[28:29], s[28:29]
; %bb.6816:                             ;   in Loop: Header=BB4_6234 Depth=4
	v_mov_b32_e32 v2, v16
	v_mov_b32_e32 v3, v17
	v_bfe_u32 v7, v16, 23, 1
; %bb.6817:                             ;   in Loop: Header=BB4_6234 Depth=4
	s_or_b64 exec, exec, s[28:29]
	v_lshrrev_b64 v[2:3], 21, v[2:3]
	v_cmp_gt_i32_e32 vcc, 32, v7
	v_cndmask_b32_e32 v3, 0, v3, vcc
	v_cndmask_b32_e32 v2, 3, v2, vcc
	v_cmp_ne_u64_e32 vcc, 0, v[2:3]
	v_cmp_ne_u32_e64 s[28:29], 0, v7
	s_or_b64 s[28:29], s[28:29], vcc
                                        ; implicit-def: $vgpr32
	s_and_saveexec_b64 vcc, s[28:29]
	s_xor_b64 s[28:29], exec, vcc
; %bb.6818:                             ;   in Loop: Header=BB4_6234 Depth=4
	v_min_i32_e32 v3, 31, v7
	v_lshl_or_b32 v3, v3, 2, v5
	v_and_or_b32 v32, v2, 3, v3
                                        ; implicit-def: $vgpr5
; %bb.6819:                             ;   in Loop: Header=BB4_6234 Depth=4
	s_andn2_saveexec_b64 s[28:29], s[28:29]
; %bb.6820:                             ;   in Loop: Header=BB4_6234 Depth=4
	v_mov_b32_e32 v32, v5
; %bb.6821:                             ;   in Loop: Header=BB4_6234 Depth=4
	s_or_b64 exec, exec, s[28:29]
.LBB4_6822:                             ;   in Loop: Header=BB4_6234 Depth=4
	s_or_b64 exec, exec, s[38:39]
                                        ; implicit-def: $vgpr5
.LBB4_6823:                             ;   in Loop: Header=BB4_6234 Depth=4
	s_andn2_saveexec_b64 s[28:29], s[36:37]
; %bb.6824:                             ;   in Loop: Header=BB4_6234 Depth=4
	v_or_b32_e32 v32, 0x7b, v5
; %bb.6825:                             ;   in Loop: Header=BB4_6234 Depth=4
	s_or_b64 exec, exec, s[28:29]
                                        ; implicit-def: $vgpr2
.LBB4_6826:                             ;   in Loop: Header=BB4_6234 Depth=4
	s_andn2_saveexec_b64 s[28:29], s[34:35]
	s_cbranch_execz .LBB4_6832
; %bb.6827:                             ;   in Loop: Header=BB4_6234 Depth=4
	v_cmp_ne_u64_e32 vcc, 0, v[16:17]
                                        ; implicit-def: $vgpr32
	s_and_saveexec_b64 s[34:35], vcc
	s_xor_b64 vcc, exec, s[34:35]
; %bb.6828:                             ;   in Loop: Header=BB4_6234 Depth=4
	v_or_b32_sdwa v32, v2, s47 dst_sel:DWORD dst_unused:UNUSED_PAD src0_sel:BYTE_3 src1_sel:DWORD
                                        ; implicit-def: $vgpr2
; %bb.6829:                             ;   in Loop: Header=BB4_6234 Depth=4
	s_andn2_saveexec_b64 s[34:35], vcc
; %bb.6830:                             ;   in Loop: Header=BB4_6234 Depth=4
	v_cmp_lt_i32_e32 vcc, -1, v2
	v_cndmask_b32_e32 v32, -4, v52, vcc
; %bb.6831:                             ;   in Loop: Header=BB4_6234 Depth=4
	s_or_b64 exec, exec, s[34:35]
.LBB4_6832:                             ;   in Loop: Header=BB4_6234 Depth=4
	s_or_b64 exec, exec, s[28:29]
	v_and_b32_e32 v16, 0xff, v4
	v_cmp_ne_u16_e32 vcc, 0, v16
	v_mov_b32_e32 v2, 0
	v_mov_b32_e32 v3, 0
	s_and_saveexec_b64 s[28:29], vcc
	s_cbranch_execz .LBB4_6840
; %bb.6833:                             ;   in Loop: Header=BB4_6234 Depth=4
	v_cmp_ne_u16_e32 vcc, s96, v16
	v_bfrev_b32_e32 v3, 1
	s_and_saveexec_b64 s[34:35], vcc
	s_cbranch_execz .LBB4_6839
; %bb.6834:                             ;   in Loop: Header=BB4_6234 Depth=4
	v_and_b32_e32 v3, 0x7c, v4
	v_and_b32_e32 v7, 3, v4
	v_cmp_ne_u32_e32 vcc, s85, v3
                                        ; implicit-def: $vgpr3
	s_and_saveexec_b64 s[36:37], vcc
	s_xor_b64 s[36:37], exec, s[36:37]
	s_cbranch_execz .LBB4_6836
; %bb.6835:                             ;   in Loop: Header=BB4_6234 Depth=4
	v_bfe_u32 v3, v16, 2, 5
	v_ffbh_u32_e32 v16, v7
	v_min_u32_e32 v16, 32, v16
	v_mov_b32_e32 v5, v17
	v_subrev_u32_e32 v21, 29, v16
	v_lshlrev_b64 v[27:28], v21, v[4:5]
	v_sub_u32_e32 v5, 30, v16
	v_cmp_eq_u32_e32 vcc, 0, v3
	v_lshlrev_b32_e32 v4, 24, v4
	v_and_b32_e32 v16, 3, v27
	v_cndmask_b32_e32 v3, v3, v5, vcc
	v_and_b32_e32 v4, 0x80000000, v4
	v_cndmask_b32_e32 v5, v7, v16, vcc
	v_lshl_add_u32 v3, v3, 23, v4
	v_lshl_or_b32 v3, v5, 21, v3
	v_add_u32_e32 v3, 0x38000000, v3
                                        ; implicit-def: $vgpr7
                                        ; implicit-def: $vgpr4
.LBB4_6836:                             ;   in Loop: Header=BB4_6234 Depth=4
	s_andn2_saveexec_b64 s[36:37], s[36:37]
; %bb.6837:                             ;   in Loop: Header=BB4_6234 Depth=4
	v_mov_b32_e32 v3, -1
	v_cmp_gt_i16_sdwa vcc, sext(v4), v3 src0_sel:BYTE_0 src1_sel:DWORD
	v_mov_b32_e32 v3, 0xff800000
	v_mov_b32_e32 v4, 0x7f800000
	v_cndmask_b32_e32 v3, v3, v4, vcc
	v_cmp_eq_u32_e32 vcc, 0, v7
	v_mov_b32_e32 v4, 0x7f800001
	v_cndmask_b32_e32 v3, v4, v3, vcc
; %bb.6838:                             ;   in Loop: Header=BB4_6234 Depth=4
	s_or_b64 exec, exec, s[36:37]
.LBB4_6839:                             ;   in Loop: Header=BB4_6234 Depth=4
	s_or_b64 exec, exec, s[34:35]
.LBB4_6840:                             ;   in Loop: Header=BB4_6234 Depth=4
	s_or_b64 exec, exec, s[28:29]
	v_cmp_ne_u16_e32 vcc, 0, v54
	s_and_saveexec_b64 s[28:29], vcc
	s_cbranch_execz .LBB4_6848
; %bb.6841:                             ;   in Loop: Header=BB4_6234 Depth=4
	v_cmp_ne_u16_e32 vcc, s97, v54
	v_bfrev_b32_e32 v2, 1
	s_and_saveexec_b64 s[34:35], vcc
	s_cbranch_execz .LBB4_6847
; %bb.6842:                             ;   in Loop: Header=BB4_6234 Depth=4
	v_and_b32_e32 v2, 0x7c, v54
	v_and_b32_e32 v4, 3, v54
	v_cmp_ne_u32_e32 vcc, s85, v2
                                        ; implicit-def: $vgpr2
	s_and_saveexec_b64 s[36:37], vcc
	s_xor_b64 s[36:37], exec, s[36:37]
	s_cbranch_execz .LBB4_6844
; %bb.6843:                             ;   in Loop: Header=BB4_6234 Depth=4
	v_ffbh_u32_e32 v5, v4
	v_min_u32_e32 v5, 32, v5
	v_and_b32_e32 v2, 0xff, v54
	v_mov_b32_e32 v55, v17
	v_subrev_u32_e32 v7, 29, v5
	v_bfe_u32 v2, v2, 2, 5
	v_lshlrev_b64 v[27:28], v7, v[54:55]
	v_sub_u32_e32 v5, 30, v5
	v_cmp_eq_u32_e32 vcc, 0, v2
	v_and_b32_e32 v7, 3, v27
	v_cndmask_b32_e32 v2, v2, v5, vcc
	v_and_b32_sdwa v5, sext(v54), s86 dst_sel:DWORD dst_unused:UNUSED_PAD src0_sel:WORD_0 src1_sel:DWORD
	v_cndmask_b32_e32 v4, v4, v7, vcc
	v_lshl_add_u32 v2, v2, 23, v5
	v_lshl_or_b32 v2, v4, 21, v2
	v_add_u32_e32 v2, 0x38000000, v2
                                        ; implicit-def: $vgpr4
                                        ; implicit-def: $vgpr54
.LBB4_6844:                             ;   in Loop: Header=BB4_6234 Depth=4
	s_andn2_saveexec_b64 s[36:37], s[36:37]
; %bb.6845:                             ;   in Loop: Header=BB4_6234 Depth=4
	v_cmp_lt_i16_e32 vcc, -1, v54
	v_mov_b32_e32 v2, 0xff800000
	v_mov_b32_e32 v5, 0x7f800000
	v_cndmask_b32_e32 v2, v2, v5, vcc
	v_cmp_eq_u32_e32 vcc, 0, v4
	v_mov_b32_e32 v4, 0x7f800001
	v_cndmask_b32_e32 v2, v4, v2, vcc
; %bb.6846:                             ;   in Loop: Header=BB4_6234 Depth=4
	s_or_b64 exec, exec, s[36:37]
.LBB4_6847:                             ;   in Loop: Header=BB4_6234 Depth=4
	s_or_b64 exec, exec, s[34:35]
.LBB4_6848:                             ;   in Loop: Header=BB4_6234 Depth=4
	s_or_b64 exec, exec, s[28:29]
	v_add_f32_e32 v2, v3, v2
	v_and_b32_e32 v3, 0x7f800000, v2
	v_mov_b32_e32 v4, v17
	v_cmp_ne_u64_e32 vcc, s[76:77], v[3:4]
	v_and_b32_e32 v16, 0x7fffff, v2
                                        ; implicit-def: $vgpr5
	s_and_saveexec_b64 s[28:29], vcc
	s_xor_b64 s[34:35], exec, s[28:29]
	s_cbranch_execz .LBB4_6866
; %bb.6849:                             ;   in Loop: Header=BB4_6234 Depth=4
	v_and_b32_e32 v3, 0x7fffffff, v2
	v_mov_b32_e32 v4, v17
	v_cmp_gt_u64_e32 vcc, s[78:79], v[3:4]
	v_and_b32_sdwa v7, v2, s96 dst_sel:DWORD dst_unused:UNUSED_PAD src0_sel:BYTE_3 src1_sel:DWORD
                                        ; implicit-def: $vgpr5
	s_and_saveexec_b64 s[28:29], vcc
	s_xor_b64 s[36:37], exec, s[28:29]
	s_cbranch_execz .LBB4_6863
; %bb.6850:                             ;   in Loop: Header=BB4_6234 Depth=4
	v_cmp_ne_u32_e32 vcc, 0, v2
	v_mov_b32_e32 v5, 0
	s_and_saveexec_b64 s[38:39], vcc
	s_cbranch_execz .LBB4_6862
; %bb.6851:                             ;   in Loop: Header=BB4_6234 Depth=4
	v_bfe_u32 v5, v2, 23, 8
	v_cmp_gt_u32_e64 s[28:29], s46, v5
	v_sub_u32_e32 v2, 0x71, v5
	v_cmp_eq_u32_e32 vcc, 0, v5
	v_cndmask_b32_e64 v2, 0, v2, s[28:29]
	v_mov_b32_e32 v4, 0x70
	v_cndmask_b32_e32 v21, v2, v4, vcc
	v_add_u32_e32 v4, 21, v21
	v_or_b32_e32 v3, 0x800000, v16
	v_lshlrev_b64 v[27:28], v4, -1
	v_cndmask_b32_e32 v2, v3, v16, vcc
	v_mov_b32_e32 v3, v17
	v_add_u32_e32 v4, 20, v21
	v_bfi_b32 v27, v27, 0, v2
	v_lshlrev_b64 v[34:35], v4, 1
	v_lshrrev_b64 v[2:3], v21, v[2:3]
	v_bfi_b32 v28, v28, 0, 0
	v_cmp_eq_u64_e64 s[28:29], v[27:28], v[34:35]
	v_mov_b32_e32 v4, v3
	v_mov_b32_e32 v3, v2
	s_and_saveexec_b64 s[48:49], s[28:29]
; %bb.6852:                             ;   in Loop: Header=BB4_6234 Depth=4
	v_bfe_u32 v3, v2, 21, 1
	v_add_co_u32_e64 v3, s[28:29], v2, v3
	v_add_co_u32_e64 v3, s[28:29], -1, v3
; %bb.6853:                             ;   in Loop: Header=BB4_6234 Depth=4
	s_or_b64 exec, exec, s[48:49]
	v_add_u32_e32 v4, 0xffffff81, v5
	v_mov_b32_e32 v5, 0xffffff82
	v_cndmask_b32_e32 v4, v4, v5, vcc
	v_lshrrev_b32_e32 v5, 23, v2
	v_add3_u32 v21, v21, v4, v5
	v_add_u32_e32 v5, 14, v21
	v_and_b32_e32 v3, 0x1fffff, v3
	v_add_u32_e32 v16, v3, v2
	v_cmp_ne_u32_e32 vcc, 0, v5
                                        ; implicit-def: $vgpr2_vgpr3
                                        ; implicit-def: $vgpr4
	s_and_saveexec_b64 s[28:29], vcc
	s_xor_b64 s[28:29], exec, s[28:29]
; %bb.6854:                             ;   in Loop: Header=BB4_6234 Depth=4
	v_cmp_lt_u64_e32 vcc, s[88:89], v[16:17]
	v_add_u32_e32 v2, 15, v21
	v_cndmask_b32_e32 v4, v5, v2, vcc
	v_cndmask_b32_e64 v2, 0, 1, vcc
	v_lshrrev_b64 v[2:3], v2, v[16:17]
; %bb.6855:                             ;   in Loop: Header=BB4_6234 Depth=4
	s_andn2_saveexec_b64 s[28:29], s[28:29]
; %bb.6856:                             ;   in Loop: Header=BB4_6234 Depth=4
	v_mov_b32_e32 v2, v16
	v_mov_b32_e32 v3, v17
	v_bfe_u32 v4, v16, 23, 1
; %bb.6857:                             ;   in Loop: Header=BB4_6234 Depth=4
	s_or_b64 exec, exec, s[28:29]
	v_lshrrev_b64 v[2:3], 21, v[2:3]
	v_cmp_gt_i32_e32 vcc, 32, v4
	v_cndmask_b32_e32 v3, 0, v3, vcc
	v_cndmask_b32_e32 v2, 3, v2, vcc
	v_cmp_ne_u64_e32 vcc, 0, v[2:3]
	v_cmp_ne_u32_e64 s[28:29], 0, v4
	s_or_b64 s[28:29], s[28:29], vcc
                                        ; implicit-def: $vgpr5
	s_and_saveexec_b64 vcc, s[28:29]
	s_xor_b64 s[28:29], exec, vcc
; %bb.6858:                             ;   in Loop: Header=BB4_6234 Depth=4
	v_min_i32_e32 v3, 31, v4
	v_lshl_or_b32 v3, v3, 2, v7
	v_and_or_b32 v5, v2, 3, v3
                                        ; implicit-def: $vgpr7
; %bb.6859:                             ;   in Loop: Header=BB4_6234 Depth=4
	s_andn2_saveexec_b64 s[28:29], s[28:29]
; %bb.6860:                             ;   in Loop: Header=BB4_6234 Depth=4
	v_mov_b32_e32 v5, v7
; %bb.6861:                             ;   in Loop: Header=BB4_6234 Depth=4
	s_or_b64 exec, exec, s[28:29]
.LBB4_6862:                             ;   in Loop: Header=BB4_6234 Depth=4
	s_or_b64 exec, exec, s[38:39]
                                        ; implicit-def: $vgpr7
.LBB4_6863:                             ;   in Loop: Header=BB4_6234 Depth=4
	s_andn2_saveexec_b64 s[28:29], s[36:37]
; %bb.6864:                             ;   in Loop: Header=BB4_6234 Depth=4
	v_or_b32_e32 v5, 0x7b, v7
; %bb.6865:                             ;   in Loop: Header=BB4_6234 Depth=4
	s_or_b64 exec, exec, s[28:29]
                                        ; implicit-def: $vgpr2
.LBB4_6866:                             ;   in Loop: Header=BB4_6234 Depth=4
	s_andn2_saveexec_b64 s[28:29], s[34:35]
	s_cbranch_execz .LBB4_6872
; %bb.6867:                             ;   in Loop: Header=BB4_6234 Depth=4
	v_cmp_ne_u64_e32 vcc, 0, v[16:17]
                                        ; implicit-def: $vgpr5
	s_and_saveexec_b64 s[34:35], vcc
	s_xor_b64 vcc, exec, s[34:35]
; %bb.6868:                             ;   in Loop: Header=BB4_6234 Depth=4
	v_or_b32_sdwa v5, v2, s47 dst_sel:DWORD dst_unused:UNUSED_PAD src0_sel:BYTE_3 src1_sel:DWORD
                                        ; implicit-def: $vgpr2
; %bb.6869:                             ;   in Loop: Header=BB4_6234 Depth=4
	s_andn2_saveexec_b64 s[34:35], vcc
; %bb.6870:                             ;   in Loop: Header=BB4_6234 Depth=4
	v_cmp_lt_i32_e32 vcc, -1, v2
	v_cndmask_b32_e32 v5, -4, v52, vcc
; %bb.6871:                             ;   in Loop: Header=BB4_6234 Depth=4
	s_or_b64 exec, exec, s[34:35]
.LBB4_6872:                             ;   in Loop: Header=BB4_6234 Depth=4
	s_or_b64 exec, exec, s[28:29]
	v_and_b32_e32 v7, 0xff, v48
	v_cmp_ne_u16_e32 vcc, 0, v7
	v_mov_b32_e32 v2, 0
	v_mov_b32_e32 v3, 0
	s_and_saveexec_b64 s[28:29], vcc
	s_cbranch_execz .LBB4_6880
; %bb.6873:                             ;   in Loop: Header=BB4_6234 Depth=4
	v_cmp_ne_u16_e32 vcc, s96, v7
	v_bfrev_b32_e32 v3, 1
	s_and_saveexec_b64 s[34:35], vcc
	s_cbranch_execz .LBB4_6879
; %bb.6874:                             ;   in Loop: Header=BB4_6234 Depth=4
	v_and_b32_e32 v3, 0x7c, v48
	v_and_b32_e32 v4, 3, v48
	v_cmp_ne_u32_e32 vcc, s85, v3
                                        ; implicit-def: $vgpr3
	s_and_saveexec_b64 s[36:37], vcc
	s_xor_b64 s[36:37], exec, s[36:37]
	s_cbranch_execz .LBB4_6876
; %bb.6875:                             ;   in Loop: Header=BB4_6234 Depth=4
	v_bfe_u32 v3, v7, 2, 5
	v_ffbh_u32_e32 v7, v4
	v_min_u32_e32 v7, 32, v7
	v_mov_b32_e32 v49, v17
	v_subrev_u32_e32 v16, 29, v7
	v_lshlrev_b64 v[27:28], v16, v[48:49]
	v_sub_u32_e32 v7, 30, v7
	v_cmp_eq_u32_e32 vcc, 0, v3
	v_cndmask_b32_e32 v3, v3, v7, vcc
	v_lshlrev_b32_e32 v7, 24, v48
	v_and_b32_e32 v16, 3, v27
	v_and_b32_e32 v7, 0x80000000, v7
	v_cndmask_b32_e32 v4, v4, v16, vcc
	v_lshl_add_u32 v3, v3, 23, v7
	v_lshl_or_b32 v3, v4, 21, v3
	v_add_u32_e32 v3, 0x38000000, v3
                                        ; implicit-def: $vgpr4
                                        ; implicit-def: $vgpr48
.LBB4_6876:                             ;   in Loop: Header=BB4_6234 Depth=4
	s_andn2_saveexec_b64 s[36:37], s[36:37]
; %bb.6877:                             ;   in Loop: Header=BB4_6234 Depth=4
	v_mov_b32_e32 v3, -1
	v_cmp_gt_i16_sdwa vcc, sext(v48), v3 src0_sel:BYTE_0 src1_sel:DWORD
	v_mov_b32_e32 v3, 0xff800000
	v_mov_b32_e32 v7, 0x7f800000
	v_cndmask_b32_e32 v3, v3, v7, vcc
	v_cmp_eq_u32_e32 vcc, 0, v4
	v_mov_b32_e32 v4, 0x7f800001
	v_cndmask_b32_e32 v3, v4, v3, vcc
; %bb.6878:                             ;   in Loop: Header=BB4_6234 Depth=4
	s_or_b64 exec, exec, s[36:37]
.LBB4_6879:                             ;   in Loop: Header=BB4_6234 Depth=4
	s_or_b64 exec, exec, s[34:35]
.LBB4_6880:                             ;   in Loop: Header=BB4_6234 Depth=4
	s_or_b64 exec, exec, s[28:29]
	v_cmp_ne_u16_e32 vcc, 0, v53
	s_and_saveexec_b64 s[28:29], vcc
	s_cbranch_execz .LBB4_6888
; %bb.6881:                             ;   in Loop: Header=BB4_6234 Depth=4
	v_cmp_ne_u16_e32 vcc, s97, v53
	v_bfrev_b32_e32 v2, 1
	s_and_saveexec_b64 s[34:35], vcc
	s_cbranch_execz .LBB4_6887
; %bb.6882:                             ;   in Loop: Header=BB4_6234 Depth=4
	v_and_b32_e32 v2, 0x7c, v53
	v_and_b32_e32 v4, 3, v53
	v_cmp_ne_u32_e32 vcc, s85, v2
                                        ; implicit-def: $vgpr2
	s_and_saveexec_b64 s[36:37], vcc
	s_xor_b64 s[36:37], exec, s[36:37]
	s_cbranch_execz .LBB4_6884
; %bb.6883:                             ;   in Loop: Header=BB4_6234 Depth=4
	v_ffbh_u32_e32 v7, v4
	v_min_u32_e32 v7, 32, v7
	v_and_b32_e32 v2, 0xff, v53
	v_mov_b32_e32 v54, v17
	v_subrev_u32_e32 v16, 29, v7
	v_bfe_u32 v2, v2, 2, 5
	v_lshlrev_b64 v[27:28], v16, v[53:54]
	v_sub_u32_e32 v7, 30, v7
	v_cmp_eq_u32_e32 vcc, 0, v2
	v_and_b32_e32 v16, 3, v27
	v_cndmask_b32_e32 v2, v2, v7, vcc
	v_and_b32_sdwa v7, sext(v53), s86 dst_sel:DWORD dst_unused:UNUSED_PAD src0_sel:WORD_0 src1_sel:DWORD
	v_cndmask_b32_e32 v4, v4, v16, vcc
	v_lshl_add_u32 v2, v2, 23, v7
	v_lshl_or_b32 v2, v4, 21, v2
	v_add_u32_e32 v2, 0x38000000, v2
                                        ; implicit-def: $vgpr4
                                        ; implicit-def: $vgpr53
.LBB4_6884:                             ;   in Loop: Header=BB4_6234 Depth=4
	s_andn2_saveexec_b64 s[36:37], s[36:37]
; %bb.6885:                             ;   in Loop: Header=BB4_6234 Depth=4
	v_cmp_lt_i16_e32 vcc, -1, v53
	v_mov_b32_e32 v2, 0xff800000
	v_mov_b32_e32 v7, 0x7f800000
	v_cndmask_b32_e32 v2, v2, v7, vcc
	v_cmp_eq_u32_e32 vcc, 0, v4
	v_mov_b32_e32 v4, 0x7f800001
	v_cndmask_b32_e32 v2, v4, v2, vcc
; %bb.6886:                             ;   in Loop: Header=BB4_6234 Depth=4
	s_or_b64 exec, exec, s[36:37]
.LBB4_6887:                             ;   in Loop: Header=BB4_6234 Depth=4
	s_or_b64 exec, exec, s[34:35]
.LBB4_6888:                             ;   in Loop: Header=BB4_6234 Depth=4
	s_or_b64 exec, exec, s[28:29]
	v_add_f32_e32 v2, v3, v2
	v_and_b32_e32 v3, 0x7f800000, v2
	v_mov_b32_e32 v4, v17
	v_cmp_ne_u64_e32 vcc, s[76:77], v[3:4]
	v_and_b32_e32 v16, 0x7fffff, v2
                                        ; implicit-def: $vgpr34
	s_and_saveexec_b64 s[28:29], vcc
	s_xor_b64 s[34:35], exec, s[28:29]
	s_cbranch_execz .LBB4_6906
; %bb.6889:                             ;   in Loop: Header=BB4_6234 Depth=4
	v_and_b32_e32 v3, 0x7fffffff, v2
	v_mov_b32_e32 v4, v17
	v_cmp_gt_u64_e32 vcc, s[78:79], v[3:4]
	v_and_b32_sdwa v7, v2, s96 dst_sel:DWORD dst_unused:UNUSED_PAD src0_sel:BYTE_3 src1_sel:DWORD
                                        ; implicit-def: $vgpr34
	s_and_saveexec_b64 s[28:29], vcc
	s_xor_b64 s[36:37], exec, s[28:29]
	s_cbranch_execz .LBB4_6903
; %bb.6890:                             ;   in Loop: Header=BB4_6234 Depth=4
	v_cmp_ne_u32_e32 vcc, 0, v2
	v_mov_b32_e32 v34, 0
	s_and_saveexec_b64 s[38:39], vcc
	s_cbranch_execz .LBB4_6902
; %bb.6891:                             ;   in Loop: Header=BB4_6234 Depth=4
	v_bfe_u32 v21, v2, 23, 8
	v_cmp_gt_u32_e64 s[28:29], s46, v21
	v_sub_u32_e32 v2, 0x71, v21
	v_cmp_eq_u32_e32 vcc, 0, v21
	v_cndmask_b32_e64 v2, 0, v2, s[28:29]
	v_mov_b32_e32 v4, 0x70
	v_cndmask_b32_e32 v25, v2, v4, vcc
	v_add_u32_e32 v4, 21, v25
	v_or_b32_e32 v3, 0x800000, v16
	v_lshlrev_b64 v[27:28], v4, -1
	v_cndmask_b32_e32 v2, v3, v16, vcc
	v_mov_b32_e32 v3, v17
	v_add_u32_e32 v4, 20, v25
	v_bfi_b32 v27, v27, 0, v2
	v_lshlrev_b64 v[34:35], v4, 1
	v_lshrrev_b64 v[2:3], v25, v[2:3]
	v_bfi_b32 v28, v28, 0, 0
	v_cmp_eq_u64_e64 s[28:29], v[27:28], v[34:35]
	v_mov_b32_e32 v4, v3
	v_mov_b32_e32 v3, v2
	s_and_saveexec_b64 s[48:49], s[28:29]
; %bb.6892:                             ;   in Loop: Header=BB4_6234 Depth=4
	v_bfe_u32 v3, v2, 21, 1
	v_add_co_u32_e64 v3, s[28:29], v2, v3
	v_add_co_u32_e64 v3, s[28:29], -1, v3
; %bb.6893:                             ;   in Loop: Header=BB4_6234 Depth=4
	s_or_b64 exec, exec, s[48:49]
	v_add_u32_e32 v4, 0xffffff81, v21
	v_mov_b32_e32 v16, 0xffffff82
	v_cndmask_b32_e32 v4, v4, v16, vcc
	v_lshrrev_b32_e32 v16, 23, v2
	v_add3_u32 v25, v25, v4, v16
	v_add_u32_e32 v21, 14, v25
	v_and_b32_e32 v3, 0x1fffff, v3
	v_add_u32_e32 v16, v3, v2
	v_cmp_ne_u32_e32 vcc, 0, v21
                                        ; implicit-def: $vgpr2_vgpr3
                                        ; implicit-def: $vgpr4
	s_and_saveexec_b64 s[28:29], vcc
	s_xor_b64 s[28:29], exec, s[28:29]
; %bb.6894:                             ;   in Loop: Header=BB4_6234 Depth=4
	v_cmp_lt_u64_e32 vcc, s[88:89], v[16:17]
	v_add_u32_e32 v2, 15, v25
	v_cndmask_b32_e32 v4, v21, v2, vcc
	v_cndmask_b32_e64 v2, 0, 1, vcc
	v_lshrrev_b64 v[2:3], v2, v[16:17]
; %bb.6895:                             ;   in Loop: Header=BB4_6234 Depth=4
	s_andn2_saveexec_b64 s[28:29], s[28:29]
; %bb.6896:                             ;   in Loop: Header=BB4_6234 Depth=4
	v_mov_b32_e32 v2, v16
	v_mov_b32_e32 v3, v17
	v_bfe_u32 v4, v16, 23, 1
; %bb.6897:                             ;   in Loop: Header=BB4_6234 Depth=4
	s_or_b64 exec, exec, s[28:29]
	v_lshrrev_b64 v[2:3], 21, v[2:3]
	v_cmp_gt_i32_e32 vcc, 32, v4
	v_cndmask_b32_e32 v3, 0, v3, vcc
	v_cndmask_b32_e32 v2, 3, v2, vcc
	v_cmp_ne_u64_e32 vcc, 0, v[2:3]
	v_cmp_ne_u32_e64 s[28:29], 0, v4
	s_or_b64 s[28:29], s[28:29], vcc
                                        ; implicit-def: $vgpr34
	s_and_saveexec_b64 vcc, s[28:29]
	s_xor_b64 s[28:29], exec, vcc
; %bb.6898:                             ;   in Loop: Header=BB4_6234 Depth=4
	v_min_i32_e32 v3, 31, v4
	v_lshl_or_b32 v3, v3, 2, v7
	v_and_or_b32 v34, v2, 3, v3
                                        ; implicit-def: $vgpr7
; %bb.6899:                             ;   in Loop: Header=BB4_6234 Depth=4
	s_andn2_saveexec_b64 s[28:29], s[28:29]
; %bb.6900:                             ;   in Loop: Header=BB4_6234 Depth=4
	v_mov_b32_e32 v34, v7
; %bb.6901:                             ;   in Loop: Header=BB4_6234 Depth=4
	s_or_b64 exec, exec, s[28:29]
.LBB4_6902:                             ;   in Loop: Header=BB4_6234 Depth=4
	s_or_b64 exec, exec, s[38:39]
                                        ; implicit-def: $vgpr7
.LBB4_6903:                             ;   in Loop: Header=BB4_6234 Depth=4
	s_andn2_saveexec_b64 s[28:29], s[36:37]
; %bb.6904:                             ;   in Loop: Header=BB4_6234 Depth=4
	v_or_b32_e32 v34, 0x7b, v7
; %bb.6905:                             ;   in Loop: Header=BB4_6234 Depth=4
	s_or_b64 exec, exec, s[28:29]
                                        ; implicit-def: $vgpr2
.LBB4_6906:                             ;   in Loop: Header=BB4_6234 Depth=4
	s_andn2_saveexec_b64 s[28:29], s[34:35]
	s_cbranch_execz .LBB4_6912
; %bb.6907:                             ;   in Loop: Header=BB4_6234 Depth=4
	v_cmp_ne_u64_e32 vcc, 0, v[16:17]
                                        ; implicit-def: $vgpr34
	s_and_saveexec_b64 s[34:35], vcc
	s_xor_b64 vcc, exec, s[34:35]
; %bb.6908:                             ;   in Loop: Header=BB4_6234 Depth=4
	v_or_b32_sdwa v34, v2, s47 dst_sel:DWORD dst_unused:UNUSED_PAD src0_sel:BYTE_3 src1_sel:DWORD
                                        ; implicit-def: $vgpr2
; %bb.6909:                             ;   in Loop: Header=BB4_6234 Depth=4
	s_andn2_saveexec_b64 s[34:35], vcc
; %bb.6910:                             ;   in Loop: Header=BB4_6234 Depth=4
	v_cmp_lt_i32_e32 vcc, -1, v2
	v_cndmask_b32_e32 v34, -4, v52, vcc
; %bb.6911:                             ;   in Loop: Header=BB4_6234 Depth=4
	s_or_b64 exec, exec, s[34:35]
.LBB4_6912:                             ;   in Loop: Header=BB4_6234 Depth=4
	s_or_b64 exec, exec, s[28:29]
	v_and_b32_e32 v7, 0xff, v30
	v_cmp_ne_u16_e32 vcc, 0, v7
	v_mov_b32_e32 v2, 0
	v_mov_b32_e32 v3, 0
	s_and_saveexec_b64 s[28:29], vcc
	s_cbranch_execz .LBB4_6920
; %bb.6913:                             ;   in Loop: Header=BB4_6234 Depth=4
	v_cmp_ne_u16_e32 vcc, s96, v7
	v_bfrev_b32_e32 v3, 1
	s_and_saveexec_b64 s[34:35], vcc
	s_cbranch_execz .LBB4_6919
; %bb.6914:                             ;   in Loop: Header=BB4_6234 Depth=4
	v_and_b32_e32 v3, 0x7c, v30
	v_and_b32_e32 v4, 3, v30
	v_cmp_ne_u32_e32 vcc, s85, v3
                                        ; implicit-def: $vgpr3
	s_and_saveexec_b64 s[36:37], vcc
	s_xor_b64 s[36:37], exec, s[36:37]
	s_cbranch_execz .LBB4_6916
; %bb.6915:                             ;   in Loop: Header=BB4_6234 Depth=4
	v_bfe_u32 v3, v7, 2, 5
	v_ffbh_u32_e32 v7, v4
	v_min_u32_e32 v7, 32, v7
	v_mov_b32_e32 v31, v17
	v_subrev_u32_e32 v16, 29, v7
	v_lshlrev_b64 v[27:28], v16, v[30:31]
	v_sub_u32_e32 v7, 30, v7
	v_cmp_eq_u32_e32 vcc, 0, v3
	v_cndmask_b32_e32 v3, v3, v7, vcc
	v_lshlrev_b32_e32 v7, 24, v30
	v_and_b32_e32 v16, 3, v27
	v_and_b32_e32 v7, 0x80000000, v7
	v_cndmask_b32_e32 v4, v4, v16, vcc
	v_lshl_add_u32 v3, v3, 23, v7
	v_lshl_or_b32 v3, v4, 21, v3
	v_add_u32_e32 v3, 0x38000000, v3
                                        ; implicit-def: $vgpr4
                                        ; implicit-def: $vgpr30
.LBB4_6916:                             ;   in Loop: Header=BB4_6234 Depth=4
	s_andn2_saveexec_b64 s[36:37], s[36:37]
; %bb.6917:                             ;   in Loop: Header=BB4_6234 Depth=4
	v_mov_b32_e32 v3, -1
	v_cmp_gt_i16_sdwa vcc, sext(v30), v3 src0_sel:BYTE_0 src1_sel:DWORD
	v_mov_b32_e32 v3, 0xff800000
	v_mov_b32_e32 v7, 0x7f800000
	v_cndmask_b32_e32 v3, v3, v7, vcc
	v_cmp_eq_u32_e32 vcc, 0, v4
	v_mov_b32_e32 v4, 0x7f800001
	v_cndmask_b32_e32 v3, v4, v3, vcc
; %bb.6918:                             ;   in Loop: Header=BB4_6234 Depth=4
	s_or_b64 exec, exec, s[36:37]
.LBB4_6919:                             ;   in Loop: Header=BB4_6234 Depth=4
	s_or_b64 exec, exec, s[34:35]
.LBB4_6920:                             ;   in Loop: Header=BB4_6234 Depth=4
	s_or_b64 exec, exec, s[28:29]
	v_cmp_ne_u16_e32 vcc, 0, v24
	s_and_saveexec_b64 s[28:29], vcc
	s_cbranch_execz .LBB4_6928
; %bb.6921:                             ;   in Loop: Header=BB4_6234 Depth=4
	v_cmp_ne_u16_e32 vcc, s97, v24
	v_bfrev_b32_e32 v2, 1
	s_and_saveexec_b64 s[34:35], vcc
	s_cbranch_execz .LBB4_6927
; %bb.6922:                             ;   in Loop: Header=BB4_6234 Depth=4
	v_and_b32_e32 v2, 0x7c, v24
	v_and_b32_e32 v4, 3, v24
	v_cmp_ne_u32_e32 vcc, s85, v2
                                        ; implicit-def: $vgpr2
	s_and_saveexec_b64 s[36:37], vcc
	s_xor_b64 s[36:37], exec, s[36:37]
	s_cbranch_execz .LBB4_6924
; %bb.6923:                             ;   in Loop: Header=BB4_6234 Depth=4
	v_ffbh_u32_e32 v7, v4
	v_min_u32_e32 v7, 32, v7
	v_and_b32_e32 v2, 0xff, v24
	v_mov_b32_e32 v25, v17
	v_subrev_u32_e32 v16, 29, v7
	v_bfe_u32 v2, v2, 2, 5
	v_lshlrev_b64 v[27:28], v16, v[24:25]
	v_sub_u32_e32 v7, 30, v7
	v_cmp_eq_u32_e32 vcc, 0, v2
	v_and_b32_e32 v16, 3, v27
	v_cndmask_b32_e32 v2, v2, v7, vcc
	v_and_b32_sdwa v7, sext(v24), s86 dst_sel:DWORD dst_unused:UNUSED_PAD src0_sel:WORD_0 src1_sel:DWORD
	v_cndmask_b32_e32 v4, v4, v16, vcc
	v_lshl_add_u32 v2, v2, 23, v7
	v_lshl_or_b32 v2, v4, 21, v2
	v_add_u32_e32 v2, 0x38000000, v2
                                        ; implicit-def: $vgpr4
                                        ; implicit-def: $vgpr24
.LBB4_6924:                             ;   in Loop: Header=BB4_6234 Depth=4
	s_andn2_saveexec_b64 s[36:37], s[36:37]
; %bb.6925:                             ;   in Loop: Header=BB4_6234 Depth=4
	v_cmp_lt_i16_e32 vcc, -1, v24
	v_mov_b32_e32 v2, 0xff800000
	v_mov_b32_e32 v7, 0x7f800000
	v_cndmask_b32_e32 v2, v2, v7, vcc
	v_cmp_eq_u32_e32 vcc, 0, v4
	v_mov_b32_e32 v4, 0x7f800001
	v_cndmask_b32_e32 v2, v4, v2, vcc
; %bb.6926:                             ;   in Loop: Header=BB4_6234 Depth=4
	s_or_b64 exec, exec, s[36:37]
.LBB4_6927:                             ;   in Loop: Header=BB4_6234 Depth=4
	s_or_b64 exec, exec, s[34:35]
.LBB4_6928:                             ;   in Loop: Header=BB4_6234 Depth=4
	s_or_b64 exec, exec, s[28:29]
	v_add_f32_e32 v2, v3, v2
	v_and_b32_e32 v3, 0x7f800000, v2
	v_mov_b32_e32 v4, v17
	v_cmp_ne_u64_e32 vcc, s[76:77], v[3:4]
	v_and_b32_e32 v16, 0x7fffff, v2
                                        ; implicit-def: $vgpr24
	s_and_saveexec_b64 s[28:29], vcc
	s_xor_b64 s[34:35], exec, s[28:29]
	s_cbranch_execz .LBB4_6946
; %bb.6929:                             ;   in Loop: Header=BB4_6234 Depth=4
	v_and_b32_e32 v3, 0x7fffffff, v2
	v_mov_b32_e32 v4, v17
	v_cmp_gt_u64_e32 vcc, s[78:79], v[3:4]
	v_and_b32_sdwa v7, v2, s96 dst_sel:DWORD dst_unused:UNUSED_PAD src0_sel:BYTE_3 src1_sel:DWORD
                                        ; implicit-def: $vgpr24
	s_and_saveexec_b64 s[28:29], vcc
	s_xor_b64 s[36:37], exec, s[28:29]
	s_cbranch_execz .LBB4_6943
; %bb.6930:                             ;   in Loop: Header=BB4_6234 Depth=4
	v_cmp_ne_u32_e32 vcc, 0, v2
	v_mov_b32_e32 v24, 0
	s_and_saveexec_b64 s[38:39], vcc
	s_cbranch_execz .LBB4_6942
; %bb.6931:                             ;   in Loop: Header=BB4_6234 Depth=4
	v_bfe_u32 v21, v2, 23, 8
	v_cmp_gt_u32_e64 s[28:29], s46, v21
	v_sub_u32_e32 v2, 0x71, v21
	v_cmp_eq_u32_e32 vcc, 0, v21
	v_cndmask_b32_e64 v2, 0, v2, s[28:29]
	v_mov_b32_e32 v4, 0x70
	v_cndmask_b32_e32 v24, v2, v4, vcc
	v_add_u32_e32 v4, 21, v24
	v_or_b32_e32 v3, 0x800000, v16
	v_lshlrev_b64 v[27:28], v4, -1
	v_cndmask_b32_e32 v2, v3, v16, vcc
	v_mov_b32_e32 v3, v17
	v_add_u32_e32 v4, 20, v24
	v_bfi_b32 v27, v27, 0, v2
	v_lshlrev_b64 v[29:30], v4, 1
	v_lshrrev_b64 v[2:3], v24, v[2:3]
	v_bfi_b32 v28, v28, 0, 0
	v_cmp_eq_u64_e64 s[28:29], v[27:28], v[29:30]
	v_mov_b32_e32 v4, v3
	v_mov_b32_e32 v3, v2
	s_and_saveexec_b64 s[48:49], s[28:29]
; %bb.6932:                             ;   in Loop: Header=BB4_6234 Depth=4
	v_bfe_u32 v3, v2, 21, 1
	v_add_co_u32_e64 v3, s[28:29], v2, v3
	v_add_co_u32_e64 v3, s[28:29], -1, v3
; %bb.6933:                             ;   in Loop: Header=BB4_6234 Depth=4
	s_or_b64 exec, exec, s[48:49]
	v_add_u32_e32 v4, 0xffffff81, v21
	v_mov_b32_e32 v16, 0xffffff82
	v_cndmask_b32_e32 v4, v4, v16, vcc
	v_lshrrev_b32_e32 v16, 23, v2
	v_add3_u32 v24, v24, v4, v16
	v_add_u32_e32 v21, 14, v24
	v_and_b32_e32 v3, 0x1fffff, v3
	v_add_u32_e32 v16, v3, v2
	v_cmp_ne_u32_e32 vcc, 0, v21
                                        ; implicit-def: $vgpr2_vgpr3
                                        ; implicit-def: $vgpr4
	s_and_saveexec_b64 s[28:29], vcc
	s_xor_b64 s[28:29], exec, s[28:29]
; %bb.6934:                             ;   in Loop: Header=BB4_6234 Depth=4
	v_cmp_lt_u64_e32 vcc, s[88:89], v[16:17]
	v_add_u32_e32 v2, 15, v24
	v_cndmask_b32_e32 v4, v21, v2, vcc
	v_cndmask_b32_e64 v2, 0, 1, vcc
	v_lshrrev_b64 v[2:3], v2, v[16:17]
; %bb.6935:                             ;   in Loop: Header=BB4_6234 Depth=4
	s_andn2_saveexec_b64 s[28:29], s[28:29]
; %bb.6936:                             ;   in Loop: Header=BB4_6234 Depth=4
	v_mov_b32_e32 v2, v16
	v_mov_b32_e32 v3, v17
	v_bfe_u32 v4, v16, 23, 1
; %bb.6937:                             ;   in Loop: Header=BB4_6234 Depth=4
	s_or_b64 exec, exec, s[28:29]
	v_lshrrev_b64 v[2:3], 21, v[2:3]
	v_cmp_gt_i32_e32 vcc, 32, v4
	v_cndmask_b32_e32 v3, 0, v3, vcc
	v_cndmask_b32_e32 v2, 3, v2, vcc
	v_cmp_ne_u64_e32 vcc, 0, v[2:3]
	v_cmp_ne_u32_e64 s[28:29], 0, v4
	s_or_b64 s[28:29], s[28:29], vcc
                                        ; implicit-def: $vgpr24
	s_and_saveexec_b64 vcc, s[28:29]
	s_xor_b64 s[28:29], exec, vcc
; %bb.6938:                             ;   in Loop: Header=BB4_6234 Depth=4
	v_min_i32_e32 v3, 31, v4
	v_lshl_or_b32 v3, v3, 2, v7
	v_and_or_b32 v24, v2, 3, v3
                                        ; implicit-def: $vgpr7
; %bb.6939:                             ;   in Loop: Header=BB4_6234 Depth=4
	s_andn2_saveexec_b64 s[28:29], s[28:29]
; %bb.6940:                             ;   in Loop: Header=BB4_6234 Depth=4
	v_mov_b32_e32 v24, v7
; %bb.6941:                             ;   in Loop: Header=BB4_6234 Depth=4
	s_or_b64 exec, exec, s[28:29]
.LBB4_6942:                             ;   in Loop: Header=BB4_6234 Depth=4
	s_or_b64 exec, exec, s[38:39]
                                        ; implicit-def: $vgpr7
.LBB4_6943:                             ;   in Loop: Header=BB4_6234 Depth=4
	s_andn2_saveexec_b64 s[28:29], s[36:37]
; %bb.6944:                             ;   in Loop: Header=BB4_6234 Depth=4
	v_or_b32_e32 v24, 0x7b, v7
; %bb.6945:                             ;   in Loop: Header=BB4_6234 Depth=4
	s_or_b64 exec, exec, s[28:29]
                                        ; implicit-def: $vgpr2
.LBB4_6946:                             ;   in Loop: Header=BB4_6234 Depth=4
	s_andn2_saveexec_b64 s[28:29], s[34:35]
	s_cbranch_execz .LBB4_6952
; %bb.6947:                             ;   in Loop: Header=BB4_6234 Depth=4
	v_cmp_ne_u64_e32 vcc, 0, v[16:17]
                                        ; implicit-def: $vgpr24
	s_and_saveexec_b64 s[34:35], vcc
	s_xor_b64 vcc, exec, s[34:35]
; %bb.6948:                             ;   in Loop: Header=BB4_6234 Depth=4
	v_or_b32_sdwa v24, v2, s47 dst_sel:DWORD dst_unused:UNUSED_PAD src0_sel:BYTE_3 src1_sel:DWORD
                                        ; implicit-def: $vgpr2
; %bb.6949:                             ;   in Loop: Header=BB4_6234 Depth=4
	s_andn2_saveexec_b64 s[34:35], vcc
; %bb.6950:                             ;   in Loop: Header=BB4_6234 Depth=4
	v_cmp_lt_i32_e32 vcc, -1, v2
	v_cndmask_b32_e32 v24, -4, v52, vcc
; %bb.6951:                             ;   in Loop: Header=BB4_6234 Depth=4
	s_or_b64 exec, exec, s[34:35]
.LBB4_6952:                             ;   in Loop: Header=BB4_6234 Depth=4
	s_or_b64 exec, exec, s[28:29]
	v_and_b32_e32 v7, 0xff, v20
	v_cmp_ne_u16_e32 vcc, 0, v7
	v_mov_b32_e32 v2, 0
	v_mov_b32_e32 v3, 0
	s_and_saveexec_b64 s[28:29], vcc
	s_cbranch_execz .LBB4_6960
; %bb.6953:                             ;   in Loop: Header=BB4_6234 Depth=4
	v_cmp_ne_u16_e32 vcc, s96, v7
	v_bfrev_b32_e32 v3, 1
	s_and_saveexec_b64 s[34:35], vcc
	s_cbranch_execz .LBB4_6959
; %bb.6954:                             ;   in Loop: Header=BB4_6234 Depth=4
	v_and_b32_e32 v3, 0x7c, v20
	v_and_b32_e32 v4, 3, v20
	v_cmp_ne_u32_e32 vcc, s85, v3
                                        ; implicit-def: $vgpr3
	s_and_saveexec_b64 s[36:37], vcc
	s_xor_b64 s[36:37], exec, s[36:37]
	s_cbranch_execz .LBB4_6956
; %bb.6955:                             ;   in Loop: Header=BB4_6234 Depth=4
	v_bfe_u32 v3, v7, 2, 5
	v_ffbh_u32_e32 v7, v4
	v_min_u32_e32 v7, 32, v7
	v_mov_b32_e32 v21, v17
	v_subrev_u32_e32 v16, 29, v7
	v_lshlrev_b64 v[27:28], v16, v[20:21]
	v_sub_u32_e32 v7, 30, v7
	v_cmp_eq_u32_e32 vcc, 0, v3
	v_cndmask_b32_e32 v3, v3, v7, vcc
	v_lshlrev_b32_e32 v7, 24, v20
	v_and_b32_e32 v16, 3, v27
	v_and_b32_e32 v7, 0x80000000, v7
	v_cndmask_b32_e32 v4, v4, v16, vcc
	v_lshl_add_u32 v3, v3, 23, v7
	v_lshl_or_b32 v3, v4, 21, v3
	v_add_u32_e32 v3, 0x38000000, v3
                                        ; implicit-def: $vgpr4
                                        ; implicit-def: $vgpr20
.LBB4_6956:                             ;   in Loop: Header=BB4_6234 Depth=4
	s_andn2_saveexec_b64 s[36:37], s[36:37]
; %bb.6957:                             ;   in Loop: Header=BB4_6234 Depth=4
	v_mov_b32_e32 v3, -1
	v_cmp_gt_i16_sdwa vcc, sext(v20), v3 src0_sel:BYTE_0 src1_sel:DWORD
	v_mov_b32_e32 v3, 0xff800000
	v_mov_b32_e32 v7, 0x7f800000
	v_cndmask_b32_e32 v3, v3, v7, vcc
	v_cmp_eq_u32_e32 vcc, 0, v4
	v_mov_b32_e32 v4, 0x7f800001
	v_cndmask_b32_e32 v3, v4, v3, vcc
; %bb.6958:                             ;   in Loop: Header=BB4_6234 Depth=4
	s_or_b64 exec, exec, s[36:37]
.LBB4_6959:                             ;   in Loop: Header=BB4_6234 Depth=4
	s_or_b64 exec, exec, s[34:35]
.LBB4_6960:                             ;   in Loop: Header=BB4_6234 Depth=4
	s_or_b64 exec, exec, s[28:29]
	v_cmp_ne_u16_e32 vcc, 0, v6
	s_and_saveexec_b64 s[28:29], vcc
	s_cbranch_execz .LBB4_6968
; %bb.6961:                             ;   in Loop: Header=BB4_6234 Depth=4
	v_cmp_ne_u16_e32 vcc, s97, v6
	v_bfrev_b32_e32 v2, 1
	s_and_saveexec_b64 s[34:35], vcc
	s_cbranch_execz .LBB4_6967
; %bb.6962:                             ;   in Loop: Header=BB4_6234 Depth=4
	v_and_b32_e32 v2, 0x7c, v6
	v_and_b32_e32 v4, 3, v6
	v_cmp_ne_u32_e32 vcc, s85, v2
                                        ; implicit-def: $vgpr2
	s_and_saveexec_b64 s[36:37], vcc
	s_xor_b64 s[36:37], exec, s[36:37]
	s_cbranch_execz .LBB4_6964
; %bb.6963:                             ;   in Loop: Header=BB4_6234 Depth=4
	v_ffbh_u32_e32 v16, v4
	v_min_u32_e32 v16, 32, v16
	v_and_b32_e32 v2, 0xff, v6
	v_mov_b32_e32 v7, v17
	v_subrev_u32_e32 v20, 29, v16
	v_bfe_u32 v2, v2, 2, 5
	v_lshlrev_b64 v[20:21], v20, v[6:7]
	v_sub_u32_e32 v7, 30, v16
	v_cmp_eq_u32_e32 vcc, 0, v2
	v_and_b32_e32 v16, 3, v20
	v_cndmask_b32_e32 v2, v2, v7, vcc
	v_and_b32_sdwa v6, sext(v6), s86 dst_sel:DWORD dst_unused:UNUSED_PAD src0_sel:WORD_0 src1_sel:DWORD
	v_cndmask_b32_e32 v4, v4, v16, vcc
	v_lshl_add_u32 v2, v2, 23, v6
	v_lshl_or_b32 v2, v4, 21, v2
	v_add_u32_e32 v2, 0x38000000, v2
                                        ; implicit-def: $vgpr4
                                        ; implicit-def: $vgpr6
.LBB4_6964:                             ;   in Loop: Header=BB4_6234 Depth=4
	s_andn2_saveexec_b64 s[36:37], s[36:37]
; %bb.6965:                             ;   in Loop: Header=BB4_6234 Depth=4
	v_cmp_lt_i16_e32 vcc, -1, v6
	v_mov_b32_e32 v2, 0xff800000
	v_mov_b32_e32 v6, 0x7f800000
	v_cndmask_b32_e32 v2, v2, v6, vcc
	v_cmp_eq_u32_e32 vcc, 0, v4
	v_mov_b32_e32 v4, 0x7f800001
	v_cndmask_b32_e32 v2, v4, v2, vcc
; %bb.6966:                             ;   in Loop: Header=BB4_6234 Depth=4
	s_or_b64 exec, exec, s[36:37]
.LBB4_6967:                             ;   in Loop: Header=BB4_6234 Depth=4
	s_or_b64 exec, exec, s[34:35]
.LBB4_6968:                             ;   in Loop: Header=BB4_6234 Depth=4
	s_or_b64 exec, exec, s[28:29]
	v_add_f32_e32 v2, v3, v2
	v_and_b32_e32 v3, 0x7f800000, v2
	v_mov_b32_e32 v4, v17
	v_cmp_ne_u64_e32 vcc, s[76:77], v[3:4]
	v_and_b32_e32 v16, 0x7fffff, v2
                                        ; implicit-def: $vgpr4
	s_and_saveexec_b64 s[28:29], vcc
	s_xor_b64 s[34:35], exec, s[28:29]
	s_cbranch_execz .LBB4_6986
; %bb.6969:                             ;   in Loop: Header=BB4_6234 Depth=4
	v_and_b32_e32 v3, 0x7fffffff, v2
	v_mov_b32_e32 v4, v17
	v_cmp_gt_u64_e32 vcc, s[78:79], v[3:4]
	v_and_b32_sdwa v6, v2, s96 dst_sel:DWORD dst_unused:UNUSED_PAD src0_sel:BYTE_3 src1_sel:DWORD
                                        ; implicit-def: $vgpr4
	s_and_saveexec_b64 s[28:29], vcc
	s_xor_b64 s[36:37], exec, s[28:29]
	s_cbranch_execz .LBB4_6983
; %bb.6970:                             ;   in Loop: Header=BB4_6234 Depth=4
	v_cmp_ne_u32_e32 vcc, 0, v2
	v_mov_b32_e32 v4, 0
	s_and_saveexec_b64 s[38:39], vcc
	s_cbranch_execz .LBB4_6982
; %bb.6971:                             ;   in Loop: Header=BB4_6234 Depth=4
	v_bfe_u32 v7, v2, 23, 8
	v_cmp_gt_u32_e64 s[28:29], s46, v7
	v_sub_u32_e32 v2, 0x71, v7
	v_cmp_eq_u32_e32 vcc, 0, v7
	v_cndmask_b32_e64 v2, 0, v2, s[28:29]
	v_mov_b32_e32 v4, 0x70
	v_cndmask_b32_e32 v20, v2, v4, vcc
	v_add_u32_e32 v4, 21, v20
	v_or_b32_e32 v3, 0x800000, v16
	v_lshlrev_b64 v[27:28], v4, -1
	v_cndmask_b32_e32 v2, v3, v16, vcc
	v_mov_b32_e32 v3, v17
	v_add_u32_e32 v4, 20, v20
	v_bfi_b32 v27, v27, 0, v2
	v_lshlrev_b64 v[29:30], v4, 1
	v_lshrrev_b64 v[2:3], v20, v[2:3]
	v_bfi_b32 v28, v28, 0, 0
	v_cmp_eq_u64_e64 s[28:29], v[27:28], v[29:30]
	v_mov_b32_e32 v4, v3
	v_mov_b32_e32 v3, v2
	s_and_saveexec_b64 s[48:49], s[28:29]
; %bb.6972:                             ;   in Loop: Header=BB4_6234 Depth=4
	v_bfe_u32 v3, v2, 21, 1
	v_add_co_u32_e64 v3, s[28:29], v2, v3
	v_add_co_u32_e64 v3, s[28:29], -1, v3
; %bb.6973:                             ;   in Loop: Header=BB4_6234 Depth=4
	s_or_b64 exec, exec, s[48:49]
	v_add_u32_e32 v4, 0xffffff81, v7
	v_mov_b32_e32 v7, 0xffffff82
	v_cndmask_b32_e32 v4, v4, v7, vcc
	v_lshrrev_b32_e32 v7, 23, v2
	v_add3_u32 v20, v20, v4, v7
	v_add_u32_e32 v4, 14, v20
	v_and_b32_e32 v3, 0x1fffff, v3
	v_add_u32_e32 v16, v3, v2
	v_cmp_ne_u32_e32 vcc, 0, v4
                                        ; implicit-def: $vgpr2_vgpr3
                                        ; implicit-def: $vgpr7
	s_and_saveexec_b64 s[28:29], vcc
	s_xor_b64 s[28:29], exec, s[28:29]
; %bb.6974:                             ;   in Loop: Header=BB4_6234 Depth=4
	v_cmp_lt_u64_e32 vcc, s[88:89], v[16:17]
	v_add_u32_e32 v2, 15, v20
	v_cndmask_b32_e32 v7, v4, v2, vcc
	v_cndmask_b32_e64 v2, 0, 1, vcc
	v_lshrrev_b64 v[2:3], v2, v[16:17]
; %bb.6975:                             ;   in Loop: Header=BB4_6234 Depth=4
	s_andn2_saveexec_b64 s[28:29], s[28:29]
; %bb.6976:                             ;   in Loop: Header=BB4_6234 Depth=4
	v_mov_b32_e32 v2, v16
	v_mov_b32_e32 v3, v17
	v_bfe_u32 v7, v16, 23, 1
; %bb.6977:                             ;   in Loop: Header=BB4_6234 Depth=4
	s_or_b64 exec, exec, s[28:29]
	v_lshrrev_b64 v[2:3], 21, v[2:3]
	v_cmp_gt_i32_e32 vcc, 32, v7
	v_cndmask_b32_e32 v3, 0, v3, vcc
	v_cndmask_b32_e32 v2, 3, v2, vcc
	v_cmp_ne_u64_e32 vcc, 0, v[2:3]
	v_cmp_ne_u32_e64 s[28:29], 0, v7
	s_or_b64 s[28:29], s[28:29], vcc
                                        ; implicit-def: $vgpr4
	s_and_saveexec_b64 vcc, s[28:29]
	s_xor_b64 s[28:29], exec, vcc
; %bb.6978:                             ;   in Loop: Header=BB4_6234 Depth=4
	v_min_i32_e32 v3, 31, v7
	v_lshl_or_b32 v3, v3, 2, v6
	v_and_or_b32 v4, v2, 3, v3
                                        ; implicit-def: $vgpr6
; %bb.6979:                             ;   in Loop: Header=BB4_6234 Depth=4
	s_andn2_saveexec_b64 s[28:29], s[28:29]
; %bb.6980:                             ;   in Loop: Header=BB4_6234 Depth=4
	v_mov_b32_e32 v4, v6
; %bb.6981:                             ;   in Loop: Header=BB4_6234 Depth=4
	s_or_b64 exec, exec, s[28:29]
.LBB4_6982:                             ;   in Loop: Header=BB4_6234 Depth=4
	s_or_b64 exec, exec, s[38:39]
                                        ; implicit-def: $vgpr6
.LBB4_6983:                             ;   in Loop: Header=BB4_6234 Depth=4
	s_andn2_saveexec_b64 s[28:29], s[36:37]
; %bb.6984:                             ;   in Loop: Header=BB4_6234 Depth=4
	v_or_b32_e32 v4, 0x7b, v6
; %bb.6985:                             ;   in Loop: Header=BB4_6234 Depth=4
	s_or_b64 exec, exec, s[28:29]
                                        ; implicit-def: $vgpr2
.LBB4_6986:                             ;   in Loop: Header=BB4_6234 Depth=4
	s_andn2_saveexec_b64 s[28:29], s[34:35]
	s_cbranch_execz .LBB4_6992
; %bb.6987:                             ;   in Loop: Header=BB4_6234 Depth=4
	v_cmp_ne_u64_e32 vcc, 0, v[16:17]
                                        ; implicit-def: $vgpr4
	s_and_saveexec_b64 s[34:35], vcc
	s_xor_b64 vcc, exec, s[34:35]
; %bb.6988:                             ;   in Loop: Header=BB4_6234 Depth=4
	v_or_b32_sdwa v4, v2, s47 dst_sel:DWORD dst_unused:UNUSED_PAD src0_sel:BYTE_3 src1_sel:DWORD
                                        ; implicit-def: $vgpr2
; %bb.6989:                             ;   in Loop: Header=BB4_6234 Depth=4
	s_andn2_saveexec_b64 s[34:35], vcc
; %bb.6990:                             ;   in Loop: Header=BB4_6234 Depth=4
	v_cmp_lt_i32_e32 vcc, -1, v2
	v_cndmask_b32_e32 v4, -4, v52, vcc
; %bb.6991:                             ;   in Loop: Header=BB4_6234 Depth=4
	s_or_b64 exec, exec, s[34:35]
.LBB4_6992:                             ;   in Loop: Header=BB4_6234 Depth=4
	s_or_b64 exec, exec, s[28:29]
	v_and_b32_e32 v7, 0xff, v19
	v_cmp_ne_u16_e32 vcc, 0, v7
	v_mov_b32_e32 v2, 0
	v_mov_b32_e32 v3, 0
	s_and_saveexec_b64 s[28:29], vcc
	s_cbranch_execz .LBB4_7000
; %bb.6993:                             ;   in Loop: Header=BB4_6234 Depth=4
	v_cmp_ne_u16_e32 vcc, s96, v7
	v_bfrev_b32_e32 v3, 1
	s_and_saveexec_b64 s[34:35], vcc
	s_cbranch_execz .LBB4_6999
; %bb.6994:                             ;   in Loop: Header=BB4_6234 Depth=4
	v_and_b32_e32 v3, 0x7c, v19
	v_and_b32_e32 v6, 3, v19
	v_cmp_ne_u32_e32 vcc, s85, v3
                                        ; implicit-def: $vgpr3
	s_and_saveexec_b64 s[36:37], vcc
	s_xor_b64 s[36:37], exec, s[36:37]
	s_cbranch_execz .LBB4_6996
; %bb.6995:                             ;   in Loop: Header=BB4_6234 Depth=4
	v_bfe_u32 v3, v7, 2, 5
	v_ffbh_u32_e32 v7, v6
	v_min_u32_e32 v7, 32, v7
	v_mov_b32_e32 v20, v17
	v_subrev_u32_e32 v16, 29, v7
	v_lshlrev_b64 v[20:21], v16, v[19:20]
	v_sub_u32_e32 v7, 30, v7
	v_cmp_eq_u32_e32 vcc, 0, v3
	v_cndmask_b32_e32 v3, v3, v7, vcc
	v_lshlrev_b32_e32 v7, 24, v19
	v_and_b32_e32 v16, 3, v20
	v_and_b32_e32 v7, 0x80000000, v7
	v_cndmask_b32_e32 v6, v6, v16, vcc
	v_lshl_add_u32 v3, v3, 23, v7
	v_lshl_or_b32 v3, v6, 21, v3
	v_add_u32_e32 v3, 0x38000000, v3
                                        ; implicit-def: $vgpr6
                                        ; implicit-def: $vgpr19
.LBB4_6996:                             ;   in Loop: Header=BB4_6234 Depth=4
	s_andn2_saveexec_b64 s[36:37], s[36:37]
; %bb.6997:                             ;   in Loop: Header=BB4_6234 Depth=4
	v_mov_b32_e32 v3, -1
	v_cmp_gt_i16_sdwa vcc, sext(v19), v3 src0_sel:BYTE_0 src1_sel:DWORD
	v_mov_b32_e32 v3, 0xff800000
	v_mov_b32_e32 v7, 0x7f800000
	v_cndmask_b32_e32 v3, v3, v7, vcc
	v_cmp_eq_u32_e32 vcc, 0, v6
	v_mov_b32_e32 v6, 0x7f800001
	v_cndmask_b32_e32 v3, v6, v3, vcc
; %bb.6998:                             ;   in Loop: Header=BB4_6234 Depth=4
	s_or_b64 exec, exec, s[36:37]
.LBB4_6999:                             ;   in Loop: Header=BB4_6234 Depth=4
	s_or_b64 exec, exec, s[34:35]
.LBB4_7000:                             ;   in Loop: Header=BB4_6234 Depth=4
	s_or_b64 exec, exec, s[28:29]
	v_cmp_ne_u16_e32 vcc, 0, v1
	s_and_saveexec_b64 s[28:29], vcc
	s_cbranch_execz .LBB4_7008
; %bb.7001:                             ;   in Loop: Header=BB4_6234 Depth=4
	v_cmp_ne_u16_e32 vcc, s97, v1
	v_bfrev_b32_e32 v2, 1
	s_and_saveexec_b64 s[34:35], vcc
	s_cbranch_execz .LBB4_7007
; %bb.7002:                             ;   in Loop: Header=BB4_6234 Depth=4
	v_and_b32_e32 v2, 0x7c, v1
	v_and_b32_e32 v6, 3, v1
	v_cmp_ne_u32_e32 vcc, s85, v2
                                        ; implicit-def: $vgpr2
	s_and_saveexec_b64 s[36:37], vcc
	s_xor_b64 s[36:37], exec, s[36:37]
	s_cbranch_execz .LBB4_7004
; %bb.7003:                             ;   in Loop: Header=BB4_6234 Depth=4
	v_ffbh_u32_e32 v16, v6
	v_min_u32_e32 v16, 32, v16
	v_and_b32_e32 v7, 0xff, v1
	v_mov_b32_e32 v2, v17
	v_subrev_u32_e32 v19, 29, v16
	v_bfe_u32 v7, v7, 2, 5
	v_lshlrev_b64 v[19:20], v19, v[1:2]
	v_sub_u32_e32 v2, 30, v16
	v_cmp_eq_u32_e32 vcc, 0, v7
	v_and_b32_e32 v16, 3, v19
	v_cndmask_b32_e32 v2, v7, v2, vcc
	v_and_b32_sdwa v1, sext(v1), s86 dst_sel:DWORD dst_unused:UNUSED_PAD src0_sel:WORD_0 src1_sel:DWORD
	v_cndmask_b32_e32 v6, v6, v16, vcc
	v_lshl_add_u32 v1, v2, 23, v1
	v_lshl_or_b32 v1, v6, 21, v1
	v_add_u32_e32 v2, 0x38000000, v1
                                        ; implicit-def: $vgpr6
                                        ; implicit-def: $vgpr1
.LBB4_7004:                             ;   in Loop: Header=BB4_6234 Depth=4
	s_andn2_saveexec_b64 s[36:37], s[36:37]
; %bb.7005:                             ;   in Loop: Header=BB4_6234 Depth=4
	v_cmp_lt_i16_e32 vcc, -1, v1
	v_mov_b32_e32 v1, 0xff800000
	v_mov_b32_e32 v2, 0x7f800000
	v_cndmask_b32_e32 v1, v1, v2, vcc
	v_cmp_eq_u32_e32 vcc, 0, v6
	v_mov_b32_e32 v2, 0x7f800001
	v_cndmask_b32_e32 v2, v2, v1, vcc
; %bb.7006:                             ;   in Loop: Header=BB4_6234 Depth=4
	s_or_b64 exec, exec, s[36:37]
.LBB4_7007:                             ;   in Loop: Header=BB4_6234 Depth=4
	s_or_b64 exec, exec, s[34:35]
.LBB4_7008:                             ;   in Loop: Header=BB4_6234 Depth=4
	s_or_b64 exec, exec, s[28:29]
	v_add_f32_e32 v1, v3, v2
	v_and_b32_e32 v2, 0x7f800000, v1
	v_mov_b32_e32 v3, v17
	v_cmp_ne_u64_e32 vcc, s[76:77], v[2:3]
	v_and_b32_e32 v16, 0x7fffff, v1
                                        ; implicit-def: $vgpr3
	s_and_saveexec_b64 s[28:29], vcc
	s_xor_b64 s[34:35], exec, s[28:29]
	s_cbranch_execz .LBB4_7026
; %bb.7009:                             ;   in Loop: Header=BB4_6234 Depth=4
	v_and_b32_e32 v2, 0x7fffffff, v1
	v_mov_b32_e32 v3, v17
	v_cmp_gt_u64_e32 vcc, s[78:79], v[2:3]
	v_and_b32_sdwa v6, v1, s96 dst_sel:DWORD dst_unused:UNUSED_PAD src0_sel:BYTE_3 src1_sel:DWORD
                                        ; implicit-def: $vgpr3
	s_and_saveexec_b64 s[28:29], vcc
	s_xor_b64 s[36:37], exec, s[28:29]
	s_cbranch_execz .LBB4_7023
; %bb.7010:                             ;   in Loop: Header=BB4_6234 Depth=4
	v_cmp_ne_u32_e32 vcc, 0, v1
	v_mov_b32_e32 v3, 0
	s_and_saveexec_b64 s[38:39], vcc
	s_cbranch_execz .LBB4_7022
; %bb.7011:                             ;   in Loop: Header=BB4_6234 Depth=4
	v_bfe_u32 v7, v1, 23, 8
	v_cmp_gt_u32_e64 s[28:29], s46, v7
	v_sub_u32_e32 v1, 0x71, v7
	v_cmp_eq_u32_e32 vcc, 0, v7
	v_cndmask_b32_e64 v1, 0, v1, s[28:29]
	v_mov_b32_e32 v3, 0x70
	v_cndmask_b32_e32 v19, v1, v3, vcc
	v_add_u32_e32 v3, 21, v19
	v_or_b32_e32 v2, 0x800000, v16
	v_lshlrev_b64 v[20:21], v3, -1
	v_cndmask_b32_e32 v1, v2, v16, vcc
	v_mov_b32_e32 v2, v17
	v_add_u32_e32 v3, 20, v19
	v_bfi_b32 v20, v20, 0, v1
	v_lshlrev_b64 v[27:28], v3, 1
	v_lshrrev_b64 v[1:2], v19, v[1:2]
	v_bfi_b32 v21, v21, 0, 0
	v_cmp_eq_u64_e64 s[28:29], v[20:21], v[27:28]
	v_mov_b32_e32 v3, v2
	v_mov_b32_e32 v2, v1
	s_and_saveexec_b64 s[48:49], s[28:29]
; %bb.7012:                             ;   in Loop: Header=BB4_6234 Depth=4
	v_bfe_u32 v2, v1, 21, 1
	v_add_co_u32_e64 v2, s[28:29], v1, v2
	v_add_co_u32_e64 v2, s[28:29], -1, v2
; %bb.7013:                             ;   in Loop: Header=BB4_6234 Depth=4
	s_or_b64 exec, exec, s[48:49]
	v_add_u32_e32 v3, 0xffffff81, v7
	v_mov_b32_e32 v7, 0xffffff82
	v_cndmask_b32_e32 v3, v3, v7, vcc
	v_lshrrev_b32_e32 v7, 23, v1
	v_add3_u32 v19, v19, v3, v7
	v_add_u32_e32 v3, 14, v19
	v_and_b32_e32 v2, 0x1fffff, v2
	v_add_u32_e32 v16, v2, v1
	v_cmp_ne_u32_e32 vcc, 0, v3
                                        ; implicit-def: $vgpr1_vgpr2
                                        ; implicit-def: $vgpr7
	s_and_saveexec_b64 s[28:29], vcc
	s_xor_b64 s[28:29], exec, s[28:29]
; %bb.7014:                             ;   in Loop: Header=BB4_6234 Depth=4
	v_cmp_lt_u64_e32 vcc, s[88:89], v[16:17]
	v_add_u32_e32 v1, 15, v19
	v_cndmask_b32_e32 v7, v3, v1, vcc
	v_cndmask_b32_e64 v1, 0, 1, vcc
	v_lshrrev_b64 v[1:2], v1, v[16:17]
; %bb.7015:                             ;   in Loop: Header=BB4_6234 Depth=4
	s_andn2_saveexec_b64 s[28:29], s[28:29]
; %bb.7016:                             ;   in Loop: Header=BB4_6234 Depth=4
	v_mov_b32_e32 v1, v16
	v_mov_b32_e32 v2, v17
	v_bfe_u32 v7, v16, 23, 1
; %bb.7017:                             ;   in Loop: Header=BB4_6234 Depth=4
	s_or_b64 exec, exec, s[28:29]
	v_lshrrev_b64 v[1:2], 21, v[1:2]
	v_cmp_gt_i32_e32 vcc, 32, v7
	v_cndmask_b32_e32 v2, 0, v2, vcc
	v_cndmask_b32_e32 v1, 3, v1, vcc
	v_cmp_ne_u64_e32 vcc, 0, v[1:2]
	v_cmp_ne_u32_e64 s[28:29], 0, v7
	s_or_b64 s[28:29], s[28:29], vcc
                                        ; implicit-def: $vgpr3
	s_and_saveexec_b64 vcc, s[28:29]
	s_xor_b64 s[28:29], exec, vcc
; %bb.7018:                             ;   in Loop: Header=BB4_6234 Depth=4
	v_min_i32_e32 v2, 31, v7
	v_lshl_or_b32 v2, v2, 2, v6
	v_and_or_b32 v3, v1, 3, v2
                                        ; implicit-def: $vgpr6
; %bb.7019:                             ;   in Loop: Header=BB4_6234 Depth=4
	s_andn2_saveexec_b64 s[28:29], s[28:29]
; %bb.7020:                             ;   in Loop: Header=BB4_6234 Depth=4
	v_mov_b32_e32 v3, v6
; %bb.7021:                             ;   in Loop: Header=BB4_6234 Depth=4
	s_or_b64 exec, exec, s[28:29]
.LBB4_7022:                             ;   in Loop: Header=BB4_6234 Depth=4
	s_or_b64 exec, exec, s[38:39]
                                        ; implicit-def: $vgpr6
.LBB4_7023:                             ;   in Loop: Header=BB4_6234 Depth=4
	s_andn2_saveexec_b64 s[28:29], s[36:37]
; %bb.7024:                             ;   in Loop: Header=BB4_6234 Depth=4
	v_or_b32_e32 v3, 0x7b, v6
; %bb.7025:                             ;   in Loop: Header=BB4_6234 Depth=4
	s_or_b64 exec, exec, s[28:29]
                                        ; implicit-def: $vgpr1
.LBB4_7026:                             ;   in Loop: Header=BB4_6234 Depth=4
	s_andn2_saveexec_b64 s[28:29], s[34:35]
	s_cbranch_execz .LBB4_7032
; %bb.7027:                             ;   in Loop: Header=BB4_6234 Depth=4
	v_cmp_ne_u64_e32 vcc, 0, v[16:17]
                                        ; implicit-def: $vgpr3
	s_and_saveexec_b64 s[34:35], vcc
	s_xor_b64 vcc, exec, s[34:35]
; %bb.7028:                             ;   in Loop: Header=BB4_6234 Depth=4
	v_or_b32_sdwa v3, v1, s47 dst_sel:DWORD dst_unused:UNUSED_PAD src0_sel:BYTE_3 src1_sel:DWORD
                                        ; implicit-def: $vgpr1
; %bb.7029:                             ;   in Loop: Header=BB4_6234 Depth=4
	s_andn2_saveexec_b64 s[34:35], vcc
; %bb.7030:                             ;   in Loop: Header=BB4_6234 Depth=4
	v_cmp_lt_i32_e32 vcc, -1, v1
	v_cndmask_b32_e32 v3, -4, v52, vcc
; %bb.7031:                             ;   in Loop: Header=BB4_6234 Depth=4
	s_or_b64 exec, exec, s[34:35]
.LBB4_7032:                             ;   in Loop: Header=BB4_6234 Depth=4
	s_or_b64 exec, exec, s[28:29]
	v_and_b32_e32 v7, 0xff, v18
	v_cmp_ne_u16_e32 vcc, 0, v7
	v_mov_b32_e32 v1, 0
	v_mov_b32_e32 v2, 0
	s_and_saveexec_b64 s[28:29], vcc
	s_cbranch_execz .LBB4_7040
; %bb.7033:                             ;   in Loop: Header=BB4_6234 Depth=4
	v_cmp_ne_u16_e32 vcc, s96, v7
	v_bfrev_b32_e32 v2, 1
	s_and_saveexec_b64 s[34:35], vcc
	s_cbranch_execz .LBB4_7039
; %bb.7034:                             ;   in Loop: Header=BB4_6234 Depth=4
	v_and_b32_e32 v2, 0x7c, v18
	v_and_b32_e32 v6, 3, v18
	v_cmp_ne_u32_e32 vcc, s85, v2
                                        ; implicit-def: $vgpr2
	s_and_saveexec_b64 s[36:37], vcc
	s_xor_b64 s[36:37], exec, s[36:37]
	s_cbranch_execz .LBB4_7036
; %bb.7035:                             ;   in Loop: Header=BB4_6234 Depth=4
	v_bfe_u32 v2, v7, 2, 5
	v_ffbh_u32_e32 v7, v6
	v_min_u32_e32 v7, 32, v7
	v_mov_b32_e32 v19, v17
	v_subrev_u32_e32 v16, 29, v7
	v_lshlrev_b64 v[19:20], v16, v[18:19]
	v_sub_u32_e32 v7, 30, v7
	v_cmp_eq_u32_e32 vcc, 0, v2
	v_cndmask_b32_e32 v2, v2, v7, vcc
	v_lshlrev_b32_e32 v7, 24, v18
	v_and_b32_e32 v16, 3, v19
	v_and_b32_e32 v7, 0x80000000, v7
	v_cndmask_b32_e32 v6, v6, v16, vcc
	v_lshl_add_u32 v2, v2, 23, v7
	v_lshl_or_b32 v2, v6, 21, v2
	v_add_u32_e32 v2, 0x38000000, v2
                                        ; implicit-def: $vgpr6
                                        ; implicit-def: $vgpr18
.LBB4_7036:                             ;   in Loop: Header=BB4_6234 Depth=4
	s_andn2_saveexec_b64 s[36:37], s[36:37]
; %bb.7037:                             ;   in Loop: Header=BB4_6234 Depth=4
	v_mov_b32_e32 v2, -1
	v_cmp_gt_i16_sdwa vcc, sext(v18), v2 src0_sel:BYTE_0 src1_sel:DWORD
	v_mov_b32_e32 v2, 0xff800000
	v_mov_b32_e32 v7, 0x7f800000
	v_cndmask_b32_e32 v2, v2, v7, vcc
	v_cmp_eq_u32_e32 vcc, 0, v6
	v_mov_b32_e32 v6, 0x7f800001
	v_cndmask_b32_e32 v2, v6, v2, vcc
; %bb.7038:                             ;   in Loop: Header=BB4_6234 Depth=4
	s_or_b64 exec, exec, s[36:37]
.LBB4_7039:                             ;   in Loop: Header=BB4_6234 Depth=4
	s_or_b64 exec, exec, s[34:35]
.LBB4_7040:                             ;   in Loop: Header=BB4_6234 Depth=4
	s_or_b64 exec, exec, s[28:29]
	v_cmp_ne_u16_e32 vcc, 0, v0
	s_and_saveexec_b64 s[28:29], vcc
	s_cbranch_execz .LBB4_7048
; %bb.7041:                             ;   in Loop: Header=BB4_6234 Depth=4
	v_cmp_ne_u16_e32 vcc, s97, v0
	v_bfrev_b32_e32 v1, 1
	s_and_saveexec_b64 s[34:35], vcc
	s_cbranch_execz .LBB4_7047
; %bb.7042:                             ;   in Loop: Header=BB4_6234 Depth=4
	v_and_b32_e32 v1, 0x7c, v0
	v_and_b32_e32 v6, 3, v0
	v_cmp_ne_u32_e32 vcc, s85, v1
                                        ; implicit-def: $vgpr1
	s_and_saveexec_b64 s[36:37], vcc
	s_xor_b64 s[36:37], exec, s[36:37]
	s_cbranch_execz .LBB4_7044
; %bb.7043:                             ;   in Loop: Header=BB4_6234 Depth=4
	v_ffbh_u32_e32 v16, v6
	v_min_u32_e32 v16, 32, v16
	v_and_b32_e32 v7, 0xff, v0
	v_mov_b32_e32 v1, v17
	v_subrev_u32_e32 v18, 29, v16
	v_bfe_u32 v7, v7, 2, 5
	v_lshlrev_b64 v[18:19], v18, v[0:1]
	v_sub_u32_e32 v1, 30, v16
	v_cmp_eq_u32_e32 vcc, 0, v7
	v_and_b32_e32 v16, 3, v18
	v_cndmask_b32_e32 v1, v7, v1, vcc
	v_and_b32_sdwa v0, sext(v0), s86 dst_sel:DWORD dst_unused:UNUSED_PAD src0_sel:WORD_0 src1_sel:DWORD
	v_cndmask_b32_e32 v6, v6, v16, vcc
	v_lshl_add_u32 v0, v1, 23, v0
	v_lshl_or_b32 v0, v6, 21, v0
	v_add_u32_e32 v1, 0x38000000, v0
                                        ; implicit-def: $vgpr6
                                        ; implicit-def: $vgpr0
.LBB4_7044:                             ;   in Loop: Header=BB4_6234 Depth=4
	s_andn2_saveexec_b64 s[36:37], s[36:37]
; %bb.7045:                             ;   in Loop: Header=BB4_6234 Depth=4
	v_cmp_lt_i16_e32 vcc, -1, v0
	v_mov_b32_e32 v0, 0xff800000
	v_mov_b32_e32 v1, 0x7f800000
	v_cndmask_b32_e32 v0, v0, v1, vcc
	v_cmp_eq_u32_e32 vcc, 0, v6
	v_mov_b32_e32 v1, 0x7f800001
	v_cndmask_b32_e32 v1, v1, v0, vcc
; %bb.7046:                             ;   in Loop: Header=BB4_6234 Depth=4
	s_or_b64 exec, exec, s[36:37]
.LBB4_7047:                             ;   in Loop: Header=BB4_6234 Depth=4
	s_or_b64 exec, exec, s[34:35]
.LBB4_7048:                             ;   in Loop: Header=BB4_6234 Depth=4
	s_or_b64 exec, exec, s[28:29]
	v_add_f32_e32 v0, v2, v1
	v_and_b32_e32 v1, 0x7f800000, v0
	v_mov_b32_e32 v2, v17
	v_cmp_ne_u64_e32 vcc, s[76:77], v[1:2]
	v_and_b32_e32 v16, 0x7fffff, v0
                                        ; implicit-def: $vgpr6
	s_and_saveexec_b64 s[28:29], vcc
	s_xor_b64 s[34:35], exec, s[28:29]
	s_cbranch_execz .LBB4_7066
; %bb.7049:                             ;   in Loop: Header=BB4_6234 Depth=4
	v_and_b32_e32 v1, 0x7fffffff, v0
	v_mov_b32_e32 v2, v17
	v_cmp_gt_u64_e32 vcc, s[78:79], v[1:2]
	v_and_b32_sdwa v7, v0, s96 dst_sel:DWORD dst_unused:UNUSED_PAD src0_sel:BYTE_3 src1_sel:DWORD
                                        ; implicit-def: $vgpr6
	s_and_saveexec_b64 s[28:29], vcc
	s_xor_b64 s[36:37], exec, s[28:29]
	s_cbranch_execz .LBB4_7063
; %bb.7050:                             ;   in Loop: Header=BB4_6234 Depth=4
	v_cmp_ne_u32_e32 vcc, 0, v0
	v_mov_b32_e32 v6, 0
	s_and_saveexec_b64 s[38:39], vcc
	s_cbranch_execz .LBB4_7062
; %bb.7051:                             ;   in Loop: Header=BB4_6234 Depth=4
	v_bfe_u32 v6, v0, 23, 8
	v_cmp_gt_u32_e64 s[28:29], s46, v6
	v_sub_u32_e32 v0, 0x71, v6
	v_cmp_eq_u32_e32 vcc, 0, v6
	v_cndmask_b32_e64 v0, 0, v0, s[28:29]
	v_mov_b32_e32 v2, 0x70
	v_cndmask_b32_e32 v18, v0, v2, vcc
	v_add_u32_e32 v2, 21, v18
	v_or_b32_e32 v1, 0x800000, v16
	v_lshlrev_b64 v[19:20], v2, -1
	v_cndmask_b32_e32 v0, v1, v16, vcc
	v_mov_b32_e32 v1, v17
	v_add_u32_e32 v2, 20, v18
	v_bfi_b32 v19, v19, 0, v0
	v_lshlrev_b64 v[27:28], v2, 1
	v_lshrrev_b64 v[0:1], v18, v[0:1]
	v_bfi_b32 v20, v20, 0, 0
	v_cmp_eq_u64_e64 s[28:29], v[19:20], v[27:28]
	v_mov_b32_e32 v2, v1
	v_mov_b32_e32 v1, v0
	s_and_saveexec_b64 s[48:49], s[28:29]
; %bb.7052:                             ;   in Loop: Header=BB4_6234 Depth=4
	v_bfe_u32 v1, v0, 21, 1
	v_add_co_u32_e64 v1, s[28:29], v0, v1
	v_add_co_u32_e64 v1, s[28:29], -1, v1
; %bb.7053:                             ;   in Loop: Header=BB4_6234 Depth=4
	s_or_b64 exec, exec, s[48:49]
	v_add_u32_e32 v2, 0xffffff81, v6
	v_mov_b32_e32 v6, 0xffffff82
	v_cndmask_b32_e32 v2, v2, v6, vcc
	v_lshrrev_b32_e32 v6, 23, v0
	v_add3_u32 v18, v18, v2, v6
	v_add_u32_e32 v6, 14, v18
	v_and_b32_e32 v1, 0x1fffff, v1
	v_add_u32_e32 v16, v1, v0
	v_cmp_ne_u32_e32 vcc, 0, v6
                                        ; implicit-def: $vgpr0_vgpr1
                                        ; implicit-def: $vgpr2
	s_and_saveexec_b64 s[28:29], vcc
	s_xor_b64 s[28:29], exec, s[28:29]
; %bb.7054:                             ;   in Loop: Header=BB4_6234 Depth=4
	v_cmp_lt_u64_e32 vcc, s[88:89], v[16:17]
	v_add_u32_e32 v0, 15, v18
	v_cndmask_b32_e32 v2, v6, v0, vcc
	v_cndmask_b32_e64 v0, 0, 1, vcc
	v_lshrrev_b64 v[0:1], v0, v[16:17]
; %bb.7055:                             ;   in Loop: Header=BB4_6234 Depth=4
	s_andn2_saveexec_b64 s[28:29], s[28:29]
; %bb.7056:                             ;   in Loop: Header=BB4_6234 Depth=4
	v_mov_b32_e32 v0, v16
	v_mov_b32_e32 v1, v17
	v_bfe_u32 v2, v16, 23, 1
; %bb.7057:                             ;   in Loop: Header=BB4_6234 Depth=4
	s_or_b64 exec, exec, s[28:29]
	v_lshrrev_b64 v[0:1], 21, v[0:1]
	v_cmp_gt_i32_e32 vcc, 32, v2
	v_cndmask_b32_e32 v1, 0, v1, vcc
	v_cndmask_b32_e32 v0, 3, v0, vcc
	v_cmp_ne_u64_e32 vcc, 0, v[0:1]
	v_cmp_ne_u32_e64 s[28:29], 0, v2
	s_or_b64 s[28:29], s[28:29], vcc
                                        ; implicit-def: $vgpr6
	s_and_saveexec_b64 vcc, s[28:29]
	s_xor_b64 s[28:29], exec, vcc
; %bb.7058:                             ;   in Loop: Header=BB4_6234 Depth=4
	v_min_i32_e32 v1, 31, v2
	v_lshl_or_b32 v1, v1, 2, v7
	v_and_or_b32 v6, v0, 3, v1
                                        ; implicit-def: $vgpr7
; %bb.7059:                             ;   in Loop: Header=BB4_6234 Depth=4
	s_andn2_saveexec_b64 s[28:29], s[28:29]
; %bb.7060:                             ;   in Loop: Header=BB4_6234 Depth=4
	v_mov_b32_e32 v6, v7
; %bb.7061:                             ;   in Loop: Header=BB4_6234 Depth=4
	s_or_b64 exec, exec, s[28:29]
.LBB4_7062:                             ;   in Loop: Header=BB4_6234 Depth=4
	s_or_b64 exec, exec, s[38:39]
                                        ; implicit-def: $vgpr7
.LBB4_7063:                             ;   in Loop: Header=BB4_6234 Depth=4
	s_andn2_saveexec_b64 s[28:29], s[36:37]
; %bb.7064:                             ;   in Loop: Header=BB4_6234 Depth=4
	v_or_b32_e32 v6, 0x7b, v7
; %bb.7065:                             ;   in Loop: Header=BB4_6234 Depth=4
	s_or_b64 exec, exec, s[28:29]
                                        ; implicit-def: $vgpr0
.LBB4_7066:                             ;   in Loop: Header=BB4_6234 Depth=4
	s_andn2_saveexec_b64 s[28:29], s[34:35]
	s_cbranch_execz .LBB4_7072
; %bb.7067:                             ;   in Loop: Header=BB4_6234 Depth=4
	v_cmp_ne_u64_e32 vcc, 0, v[16:17]
                                        ; implicit-def: $vgpr6
	s_and_saveexec_b64 s[34:35], vcc
	s_xor_b64 vcc, exec, s[34:35]
; %bb.7068:                             ;   in Loop: Header=BB4_6234 Depth=4
	v_or_b32_sdwa v6, v0, s47 dst_sel:DWORD dst_unused:UNUSED_PAD src0_sel:BYTE_3 src1_sel:DWORD
                                        ; implicit-def: $vgpr0
; %bb.7069:                             ;   in Loop: Header=BB4_6234 Depth=4
	s_andn2_saveexec_b64 s[34:35], vcc
; %bb.7070:                             ;   in Loop: Header=BB4_6234 Depth=4
	v_cmp_lt_i32_e32 vcc, -1, v0
	v_cndmask_b32_e32 v6, -4, v52, vcc
; %bb.7071:                             ;   in Loop: Header=BB4_6234 Depth=4
	s_or_b64 exec, exec, s[34:35]
.LBB4_7072:                             ;   in Loop: Header=BB4_6234 Depth=4
	s_or_b64 exec, exec, s[28:29]
	v_and_b32_e32 v7, 0xff, v57
	v_cmp_ne_u16_e32 vcc, 0, v7
	v_mov_b32_e32 v0, 0
	v_mov_b32_e32 v1, 0
	s_and_saveexec_b64 s[28:29], vcc
	s_cbranch_execz .LBB4_7080
; %bb.7073:                             ;   in Loop: Header=BB4_6234 Depth=4
	v_cmp_ne_u16_e32 vcc, s96, v7
	v_bfrev_b32_e32 v1, 1
	s_and_saveexec_b64 s[34:35], vcc
	s_cbranch_execz .LBB4_7079
; %bb.7074:                             ;   in Loop: Header=BB4_6234 Depth=4
	v_and_b32_e32 v1, 0x7c, v57
	v_and_b32_e32 v2, 3, v57
	v_cmp_ne_u32_e32 vcc, s85, v1
                                        ; implicit-def: $vgpr1
	s_and_saveexec_b64 s[36:37], vcc
	s_xor_b64 s[36:37], exec, s[36:37]
	s_cbranch_execz .LBB4_7076
; %bb.7075:                             ;   in Loop: Header=BB4_6234 Depth=4
	v_bfe_u32 v1, v7, 2, 5
	v_ffbh_u32_e32 v7, v2
	v_min_u32_e32 v7, 32, v7
	v_mov_b32_e32 v58, v17
	v_subrev_u32_e32 v16, 29, v7
	v_lshlrev_b64 v[18:19], v16, v[57:58]
	v_sub_u32_e32 v7, 30, v7
	v_cmp_eq_u32_e32 vcc, 0, v1
	v_cndmask_b32_e32 v1, v1, v7, vcc
	v_lshlrev_b32_e32 v7, 24, v57
	v_and_b32_e32 v16, 3, v18
	v_and_b32_e32 v7, 0x80000000, v7
	v_cndmask_b32_e32 v2, v2, v16, vcc
	v_lshl_add_u32 v1, v1, 23, v7
	v_lshl_or_b32 v1, v2, 21, v1
	v_add_u32_e32 v1, 0x38000000, v1
                                        ; implicit-def: $vgpr2
                                        ; implicit-def: $vgpr57
.LBB4_7076:                             ;   in Loop: Header=BB4_6234 Depth=4
	s_andn2_saveexec_b64 s[36:37], s[36:37]
; %bb.7077:                             ;   in Loop: Header=BB4_6234 Depth=4
	v_mov_b32_e32 v1, -1
	v_cmp_gt_i16_sdwa vcc, sext(v57), v1 src0_sel:BYTE_0 src1_sel:DWORD
	v_mov_b32_e32 v1, 0xff800000
	v_mov_b32_e32 v7, 0x7f800000
	v_cndmask_b32_e32 v1, v1, v7, vcc
	v_cmp_eq_u32_e32 vcc, 0, v2
	v_mov_b32_e32 v2, 0x7f800001
	v_cndmask_b32_e32 v1, v2, v1, vcc
; %bb.7078:                             ;   in Loop: Header=BB4_6234 Depth=4
	s_or_b64 exec, exec, s[36:37]
.LBB4_7079:                             ;   in Loop: Header=BB4_6234 Depth=4
	s_or_b64 exec, exec, s[34:35]
.LBB4_7080:                             ;   in Loop: Header=BB4_6234 Depth=4
	s_or_b64 exec, exec, s[28:29]
	v_cmp_ne_u16_e32 vcc, 0, v26
	s_and_saveexec_b64 s[28:29], vcc
	s_cbranch_execz .LBB4_7088
; %bb.7081:                             ;   in Loop: Header=BB4_6234 Depth=4
	v_cmp_ne_u16_e32 vcc, s97, v26
	v_bfrev_b32_e32 v0, 1
	s_and_saveexec_b64 s[34:35], vcc
	s_cbranch_execz .LBB4_7087
; %bb.7082:                             ;   in Loop: Header=BB4_6234 Depth=4
	v_and_b32_e32 v0, 0x7c, v26
	v_and_b32_e32 v2, 3, v26
	v_cmp_ne_u32_e32 vcc, s85, v0
                                        ; implicit-def: $vgpr0
	s_and_saveexec_b64 s[36:37], vcc
	s_xor_b64 s[36:37], exec, s[36:37]
	s_cbranch_execz .LBB4_7084
; %bb.7083:                             ;   in Loop: Header=BB4_6234 Depth=4
	v_ffbh_u32_e32 v7, v2
	v_min_u32_e32 v7, 32, v7
	v_and_b32_e32 v0, 0xff, v26
	v_mov_b32_e32 v27, v17
	v_subrev_u32_e32 v16, 29, v7
	v_bfe_u32 v0, v0, 2, 5
	v_lshlrev_b64 v[18:19], v16, v[26:27]
	v_sub_u32_e32 v7, 30, v7
	v_cmp_eq_u32_e32 vcc, 0, v0
	v_and_b32_e32 v16, 3, v18
	v_cndmask_b32_e32 v0, v0, v7, vcc
	v_and_b32_sdwa v7, sext(v26), s86 dst_sel:DWORD dst_unused:UNUSED_PAD src0_sel:WORD_0 src1_sel:DWORD
	v_cndmask_b32_e32 v2, v2, v16, vcc
	v_lshl_add_u32 v0, v0, 23, v7
	v_lshl_or_b32 v0, v2, 21, v0
	v_add_u32_e32 v0, 0x38000000, v0
                                        ; implicit-def: $vgpr2
                                        ; implicit-def: $vgpr26
.LBB4_7084:                             ;   in Loop: Header=BB4_6234 Depth=4
	s_andn2_saveexec_b64 s[36:37], s[36:37]
; %bb.7085:                             ;   in Loop: Header=BB4_6234 Depth=4
	v_cmp_lt_i16_e32 vcc, -1, v26
	v_mov_b32_e32 v0, 0xff800000
	v_mov_b32_e32 v7, 0x7f800000
	v_cndmask_b32_e32 v0, v0, v7, vcc
	v_cmp_eq_u32_e32 vcc, 0, v2
	v_mov_b32_e32 v2, 0x7f800001
	v_cndmask_b32_e32 v0, v2, v0, vcc
; %bb.7086:                             ;   in Loop: Header=BB4_6234 Depth=4
	s_or_b64 exec, exec, s[36:37]
.LBB4_7087:                             ;   in Loop: Header=BB4_6234 Depth=4
	s_or_b64 exec, exec, s[34:35]
.LBB4_7088:                             ;   in Loop: Header=BB4_6234 Depth=4
	s_or_b64 exec, exec, s[28:29]
	v_add_f32_e32 v0, v1, v0
	v_and_b32_e32 v1, 0x7f800000, v0
	v_mov_b32_e32 v2, v17
	v_cmp_ne_u64_e32 vcc, s[76:77], v[1:2]
	v_and_b32_e32 v16, 0x7fffff, v0
                                        ; implicit-def: $vgpr7
	s_and_saveexec_b64 s[28:29], vcc
	s_xor_b64 s[34:35], exec, s[28:29]
	s_cbranch_execz .LBB4_7106
; %bb.7089:                             ;   in Loop: Header=BB4_6234 Depth=4
	v_and_b32_e32 v1, 0x7fffffff, v0
	v_mov_b32_e32 v2, v17
	v_cmp_gt_u64_e32 vcc, s[78:79], v[1:2]
	v_and_b32_sdwa v18, v0, s96 dst_sel:DWORD dst_unused:UNUSED_PAD src0_sel:BYTE_3 src1_sel:DWORD
                                        ; implicit-def: $vgpr7
	s_and_saveexec_b64 s[28:29], vcc
	s_xor_b64 s[36:37], exec, s[28:29]
	s_cbranch_execz .LBB4_7103
; %bb.7090:                             ;   in Loop: Header=BB4_6234 Depth=4
	v_cmp_ne_u32_e32 vcc, 0, v0
	v_mov_b32_e32 v7, 0
	s_and_saveexec_b64 s[38:39], vcc
	s_cbranch_execz .LBB4_7102
; %bb.7091:                             ;   in Loop: Header=BB4_6234 Depth=4
	v_bfe_u32 v7, v0, 23, 8
	v_cmp_gt_u32_e64 s[28:29], s46, v7
	v_sub_u32_e32 v0, 0x71, v7
	v_cmp_eq_u32_e32 vcc, 0, v7
	v_cndmask_b32_e64 v0, 0, v0, s[28:29]
	v_mov_b32_e32 v2, 0x70
	v_cndmask_b32_e32 v19, v0, v2, vcc
	v_add_u32_e32 v2, 21, v19
	v_or_b32_e32 v1, 0x800000, v16
	v_lshlrev_b64 v[20:21], v2, -1
	v_cndmask_b32_e32 v0, v1, v16, vcc
	v_mov_b32_e32 v1, v17
	v_add_u32_e32 v2, 20, v19
	v_bfi_b32 v20, v20, 0, v0
	v_lshlrev_b64 v[25:26], v2, 1
	v_lshrrev_b64 v[0:1], v19, v[0:1]
	v_bfi_b32 v21, v21, 0, 0
	v_cmp_eq_u64_e64 s[28:29], v[20:21], v[25:26]
	v_mov_b32_e32 v2, v1
	v_mov_b32_e32 v1, v0
	s_and_saveexec_b64 s[48:49], s[28:29]
; %bb.7092:                             ;   in Loop: Header=BB4_6234 Depth=4
	v_bfe_u32 v1, v0, 21, 1
	v_add_co_u32_e64 v1, s[28:29], v0, v1
	v_add_co_u32_e64 v1, s[28:29], -1, v1
; %bb.7093:                             ;   in Loop: Header=BB4_6234 Depth=4
	s_or_b64 exec, exec, s[48:49]
	v_add_u32_e32 v2, 0xffffff81, v7
	v_mov_b32_e32 v7, 0xffffff82
	v_cndmask_b32_e32 v2, v2, v7, vcc
	v_lshrrev_b32_e32 v7, 23, v0
	v_add3_u32 v19, v19, v2, v7
	v_add_u32_e32 v7, 14, v19
	v_and_b32_e32 v1, 0x1fffff, v1
	v_add_u32_e32 v16, v1, v0
	v_cmp_ne_u32_e32 vcc, 0, v7
                                        ; implicit-def: $vgpr0_vgpr1
                                        ; implicit-def: $vgpr2
	s_and_saveexec_b64 s[28:29], vcc
	s_xor_b64 s[28:29], exec, s[28:29]
; %bb.7094:                             ;   in Loop: Header=BB4_6234 Depth=4
	v_cmp_lt_u64_e32 vcc, s[88:89], v[16:17]
	v_add_u32_e32 v0, 15, v19
	v_cndmask_b32_e32 v2, v7, v0, vcc
	v_cndmask_b32_e64 v0, 0, 1, vcc
	v_lshrrev_b64 v[0:1], v0, v[16:17]
; %bb.7095:                             ;   in Loop: Header=BB4_6234 Depth=4
	s_andn2_saveexec_b64 s[28:29], s[28:29]
; %bb.7096:                             ;   in Loop: Header=BB4_6234 Depth=4
	v_mov_b32_e32 v0, v16
	v_mov_b32_e32 v1, v17
	v_bfe_u32 v2, v16, 23, 1
; %bb.7097:                             ;   in Loop: Header=BB4_6234 Depth=4
	s_or_b64 exec, exec, s[28:29]
	v_lshrrev_b64 v[0:1], 21, v[0:1]
	v_cmp_gt_i32_e32 vcc, 32, v2
	v_cndmask_b32_e32 v1, 0, v1, vcc
	v_cndmask_b32_e32 v0, 3, v0, vcc
	v_cmp_ne_u64_e32 vcc, 0, v[0:1]
	v_cmp_ne_u32_e64 s[28:29], 0, v2
	s_or_b64 s[28:29], s[28:29], vcc
                                        ; implicit-def: $vgpr7
	s_and_saveexec_b64 vcc, s[28:29]
	s_xor_b64 s[28:29], exec, vcc
; %bb.7098:                             ;   in Loop: Header=BB4_6234 Depth=4
	v_min_i32_e32 v1, 31, v2
	v_lshl_or_b32 v1, v1, 2, v18
	v_and_or_b32 v7, v0, 3, v1
                                        ; implicit-def: $vgpr18
; %bb.7099:                             ;   in Loop: Header=BB4_6234 Depth=4
	s_andn2_saveexec_b64 s[28:29], s[28:29]
; %bb.7100:                             ;   in Loop: Header=BB4_6234 Depth=4
	v_mov_b32_e32 v7, v18
; %bb.7101:                             ;   in Loop: Header=BB4_6234 Depth=4
	s_or_b64 exec, exec, s[28:29]
.LBB4_7102:                             ;   in Loop: Header=BB4_6234 Depth=4
	s_or_b64 exec, exec, s[38:39]
                                        ; implicit-def: $vgpr18
.LBB4_7103:                             ;   in Loop: Header=BB4_6234 Depth=4
	s_andn2_saveexec_b64 s[28:29], s[36:37]
; %bb.7104:                             ;   in Loop: Header=BB4_6234 Depth=4
	v_or_b32_e32 v7, 0x7b, v18
; %bb.7105:                             ;   in Loop: Header=BB4_6234 Depth=4
	s_or_b64 exec, exec, s[28:29]
                                        ; implicit-def: $vgpr0
.LBB4_7106:                             ;   in Loop: Header=BB4_6234 Depth=4
	s_andn2_saveexec_b64 s[28:29], s[34:35]
	s_cbranch_execz .LBB4_7112
; %bb.7107:                             ;   in Loop: Header=BB4_6234 Depth=4
	v_cmp_ne_u64_e32 vcc, 0, v[16:17]
                                        ; implicit-def: $vgpr7
	s_and_saveexec_b64 s[34:35], vcc
	s_xor_b64 vcc, exec, s[34:35]
; %bb.7108:                             ;   in Loop: Header=BB4_6234 Depth=4
	v_or_b32_sdwa v7, v0, s47 dst_sel:DWORD dst_unused:UNUSED_PAD src0_sel:BYTE_3 src1_sel:DWORD
                                        ; implicit-def: $vgpr0
; %bb.7109:                             ;   in Loop: Header=BB4_6234 Depth=4
	s_andn2_saveexec_b64 s[34:35], vcc
; %bb.7110:                             ;   in Loop: Header=BB4_6234 Depth=4
	v_cmp_lt_i32_e32 vcc, -1, v0
	v_cndmask_b32_e32 v7, -4, v52, vcc
; %bb.7111:                             ;   in Loop: Header=BB4_6234 Depth=4
	s_or_b64 exec, exec, s[34:35]
.LBB4_7112:                             ;   in Loop: Header=BB4_6234 Depth=4
	s_or_b64 exec, exec, s[28:29]
	v_and_b32_e32 v16, 0xff, v46
	v_cmp_ne_u16_e32 vcc, 0, v16
	v_mov_b32_e32 v0, 0
	v_mov_b32_e32 v1, 0
	s_and_saveexec_b64 s[28:29], vcc
	s_cbranch_execz .LBB4_7120
; %bb.7113:                             ;   in Loop: Header=BB4_6234 Depth=4
	v_cmp_ne_u16_e32 vcc, s96, v16
	v_bfrev_b32_e32 v1, 1
	s_and_saveexec_b64 s[34:35], vcc
	s_cbranch_execz .LBB4_7119
; %bb.7114:                             ;   in Loop: Header=BB4_6234 Depth=4
	v_and_b32_e32 v1, 0x7c, v46
	v_and_b32_e32 v2, 3, v46
	v_cmp_ne_u32_e32 vcc, s85, v1
                                        ; implicit-def: $vgpr1
	s_and_saveexec_b64 s[36:37], vcc
	s_xor_b64 s[36:37], exec, s[36:37]
	s_cbranch_execz .LBB4_7116
; %bb.7115:                             ;   in Loop: Header=BB4_6234 Depth=4
	v_bfe_u32 v1, v16, 2, 5
	v_ffbh_u32_e32 v16, v2
	v_min_u32_e32 v16, 32, v16
	v_mov_b32_e32 v47, v17
	v_subrev_u32_e32 v18, 29, v16
	v_lshlrev_b64 v[18:19], v18, v[46:47]
	buffer_load_dword v47, off, s[0:3], s33 offset:212 ; 4-byte Folded Reload
	v_sub_u32_e32 v16, 30, v16
	v_cmp_eq_u32_e32 vcc, 0, v1
	v_cndmask_b32_e32 v1, v1, v16, vcc
	v_lshlrev_b32_e32 v16, 24, v46
	v_and_b32_e32 v18, 3, v18
	v_and_b32_e32 v16, 0x80000000, v16
	v_cndmask_b32_e32 v2, v2, v18, vcc
	v_lshl_add_u32 v1, v1, 23, v16
	v_lshl_or_b32 v1, v2, 21, v1
	v_add_u32_e32 v1, 0x38000000, v1
                                        ; implicit-def: $vgpr2
                                        ; implicit-def: $vgpr46
.LBB4_7116:                             ;   in Loop: Header=BB4_6234 Depth=4
	s_andn2_saveexec_b64 s[36:37], s[36:37]
; %bb.7117:                             ;   in Loop: Header=BB4_6234 Depth=4
	v_mov_b32_e32 v1, -1
	v_cmp_gt_i16_sdwa vcc, sext(v46), v1 src0_sel:BYTE_0 src1_sel:DWORD
	v_mov_b32_e32 v1, 0xff800000
	v_mov_b32_e32 v16, 0x7f800000
	v_cndmask_b32_e32 v1, v1, v16, vcc
	v_cmp_eq_u32_e32 vcc, 0, v2
	v_mov_b32_e32 v2, 0x7f800001
	v_cndmask_b32_e32 v1, v2, v1, vcc
; %bb.7118:                             ;   in Loop: Header=BB4_6234 Depth=4
	s_or_b64 exec, exec, s[36:37]
.LBB4_7119:                             ;   in Loop: Header=BB4_6234 Depth=4
	s_or_b64 exec, exec, s[34:35]
.LBB4_7120:                             ;   in Loop: Header=BB4_6234 Depth=4
	s_or_b64 exec, exec, s[28:29]
	v_cmp_ne_u16_e32 vcc, 0, v60
	s_and_saveexec_b64 s[28:29], vcc
	s_cbranch_execz .LBB4_7128
; %bb.7121:                             ;   in Loop: Header=BB4_6234 Depth=4
	v_cmp_ne_u16_e32 vcc, s97, v60
	v_bfrev_b32_e32 v0, 1
	s_and_saveexec_b64 s[34:35], vcc
	s_cbranch_execz .LBB4_7127
; %bb.7122:                             ;   in Loop: Header=BB4_6234 Depth=4
	v_and_b32_e32 v0, 0x7c, v60
	v_and_b32_e32 v2, 3, v60
	v_cmp_ne_u32_e32 vcc, s85, v0
                                        ; implicit-def: $vgpr0
	s_and_saveexec_b64 s[36:37], vcc
	s_xor_b64 s[36:37], exec, s[36:37]
	s_cbranch_execz .LBB4_7124
; %bb.7123:                             ;   in Loop: Header=BB4_6234 Depth=4
	v_ffbh_u32_e32 v16, v2
	v_min_u32_e32 v16, 32, v16
	v_and_b32_e32 v0, 0xff, v60
	v_mov_b32_e32 v61, v17
	v_subrev_u32_e32 v18, 29, v16
	v_bfe_u32 v0, v0, 2, 5
	v_lshlrev_b64 v[18:19], v18, v[60:61]
	v_sub_u32_e32 v16, 30, v16
	v_cmp_eq_u32_e32 vcc, 0, v0
	v_and_b32_e32 v18, 3, v18
	v_cndmask_b32_e32 v0, v0, v16, vcc
	v_and_b32_sdwa v16, sext(v60), s86 dst_sel:DWORD dst_unused:UNUSED_PAD src0_sel:WORD_0 src1_sel:DWORD
	v_cndmask_b32_e32 v2, v2, v18, vcc
	v_lshl_add_u32 v0, v0, 23, v16
	v_lshl_or_b32 v0, v2, 21, v0
	v_add_u32_e32 v0, 0x38000000, v0
                                        ; implicit-def: $vgpr2
                                        ; implicit-def: $vgpr60
.LBB4_7124:                             ;   in Loop: Header=BB4_6234 Depth=4
	s_andn2_saveexec_b64 s[36:37], s[36:37]
; %bb.7125:                             ;   in Loop: Header=BB4_6234 Depth=4
	v_cmp_lt_i16_e32 vcc, -1, v60
	v_mov_b32_e32 v0, 0xff800000
	v_mov_b32_e32 v16, 0x7f800000
	v_cndmask_b32_e32 v0, v0, v16, vcc
	v_cmp_eq_u32_e32 vcc, 0, v2
	v_mov_b32_e32 v2, 0x7f800001
	v_cndmask_b32_e32 v0, v2, v0, vcc
; %bb.7126:                             ;   in Loop: Header=BB4_6234 Depth=4
	s_or_b64 exec, exec, s[36:37]
.LBB4_7127:                             ;   in Loop: Header=BB4_6234 Depth=4
	s_or_b64 exec, exec, s[34:35]
.LBB4_7128:                             ;   in Loop: Header=BB4_6234 Depth=4
	s_or_b64 exec, exec, s[28:29]
	v_add_f32_e32 v0, v1, v0
	v_and_b32_e32 v1, 0x7f800000, v0
	v_mov_b32_e32 v2, v17
	v_cmp_ne_u64_e32 vcc, s[76:77], v[1:2]
	v_and_b32_e32 v16, 0x7fffff, v0
                                        ; implicit-def: $vgpr18
	s_and_saveexec_b64 s[28:29], vcc
	s_xor_b64 s[34:35], exec, s[28:29]
	s_cbranch_execz .LBB4_7146
; %bb.7129:                             ;   in Loop: Header=BB4_6234 Depth=4
	v_and_b32_e32 v1, 0x7fffffff, v0
	v_mov_b32_e32 v2, v17
	v_cmp_gt_u64_e32 vcc, s[78:79], v[1:2]
	v_and_b32_sdwa v19, v0, s96 dst_sel:DWORD dst_unused:UNUSED_PAD src0_sel:BYTE_3 src1_sel:DWORD
                                        ; implicit-def: $vgpr18
	s_and_saveexec_b64 s[28:29], vcc
	s_xor_b64 s[36:37], exec, s[28:29]
	s_cbranch_execz .LBB4_7143
; %bb.7130:                             ;   in Loop: Header=BB4_6234 Depth=4
	v_cmp_ne_u32_e32 vcc, 0, v0
	v_mov_b32_e32 v18, 0
	s_and_saveexec_b64 s[38:39], vcc
	s_cbranch_execz .LBB4_7142
; %bb.7131:                             ;   in Loop: Header=BB4_6234 Depth=4
	v_bfe_u32 v18, v0, 23, 8
	v_cmp_gt_u32_e64 s[28:29], s46, v18
	v_sub_u32_e32 v0, 0x71, v18
	v_cmp_eq_u32_e32 vcc, 0, v18
	v_cndmask_b32_e64 v0, 0, v0, s[28:29]
	v_mov_b32_e32 v2, 0x70
	v_cndmask_b32_e32 v20, v0, v2, vcc
	v_add_u32_e32 v2, 21, v20
	v_or_b32_e32 v1, 0x800000, v16
	v_lshlrev_b64 v[25:26], v2, -1
	v_cndmask_b32_e32 v0, v1, v16, vcc
	v_mov_b32_e32 v1, v17
	v_add_u32_e32 v2, 20, v20
	v_bfi_b32 v25, v25, 0, v0
	v_lshlrev_b64 v[27:28], v2, 1
	v_lshrrev_b64 v[0:1], v20, v[0:1]
	v_bfi_b32 v26, v26, 0, 0
	v_cmp_eq_u64_e64 s[28:29], v[25:26], v[27:28]
	v_mov_b32_e32 v2, v1
	v_mov_b32_e32 v1, v0
	s_and_saveexec_b64 s[48:49], s[28:29]
; %bb.7132:                             ;   in Loop: Header=BB4_6234 Depth=4
	v_bfe_u32 v1, v0, 21, 1
	v_add_co_u32_e64 v1, s[28:29], v0, v1
	v_add_co_u32_e64 v1, s[28:29], -1, v1
; %bb.7133:                             ;   in Loop: Header=BB4_6234 Depth=4
	s_or_b64 exec, exec, s[48:49]
	v_add_u32_e32 v2, 0xffffff81, v18
	v_mov_b32_e32 v16, 0xffffff82
	v_cndmask_b32_e32 v2, v2, v16, vcc
	v_lshrrev_b32_e32 v16, 23, v0
	v_add3_u32 v20, v20, v2, v16
	v_add_u32_e32 v18, 14, v20
	v_and_b32_e32 v1, 0x1fffff, v1
	v_add_u32_e32 v16, v1, v0
	v_cmp_ne_u32_e32 vcc, 0, v18
                                        ; implicit-def: $vgpr0_vgpr1
                                        ; implicit-def: $vgpr2
	s_and_saveexec_b64 s[28:29], vcc
	s_xor_b64 s[28:29], exec, s[28:29]
; %bb.7134:                             ;   in Loop: Header=BB4_6234 Depth=4
	v_cmp_lt_u64_e32 vcc, s[88:89], v[16:17]
	v_add_u32_e32 v0, 15, v20
	v_cndmask_b32_e32 v2, v18, v0, vcc
	v_cndmask_b32_e64 v0, 0, 1, vcc
	v_lshrrev_b64 v[0:1], v0, v[16:17]
; %bb.7135:                             ;   in Loop: Header=BB4_6234 Depth=4
	s_andn2_saveexec_b64 s[28:29], s[28:29]
; %bb.7136:                             ;   in Loop: Header=BB4_6234 Depth=4
	v_mov_b32_e32 v0, v16
	v_mov_b32_e32 v1, v17
	v_bfe_u32 v2, v16, 23, 1
; %bb.7137:                             ;   in Loop: Header=BB4_6234 Depth=4
	s_or_b64 exec, exec, s[28:29]
	v_lshrrev_b64 v[0:1], 21, v[0:1]
	v_cmp_gt_i32_e32 vcc, 32, v2
	v_cndmask_b32_e32 v1, 0, v1, vcc
	v_cndmask_b32_e32 v0, 3, v0, vcc
	v_cmp_ne_u64_e32 vcc, 0, v[0:1]
	v_cmp_ne_u32_e64 s[28:29], 0, v2
	s_or_b64 s[28:29], s[28:29], vcc
                                        ; implicit-def: $vgpr18
	s_and_saveexec_b64 vcc, s[28:29]
	s_xor_b64 s[28:29], exec, vcc
; %bb.7138:                             ;   in Loop: Header=BB4_6234 Depth=4
	v_min_i32_e32 v1, 31, v2
	v_lshl_or_b32 v1, v1, 2, v19
	v_and_or_b32 v18, v0, 3, v1
                                        ; implicit-def: $vgpr19
; %bb.7139:                             ;   in Loop: Header=BB4_6234 Depth=4
	s_andn2_saveexec_b64 s[28:29], s[28:29]
; %bb.7140:                             ;   in Loop: Header=BB4_6234 Depth=4
	v_mov_b32_e32 v18, v19
; %bb.7141:                             ;   in Loop: Header=BB4_6234 Depth=4
	s_or_b64 exec, exec, s[28:29]
.LBB4_7142:                             ;   in Loop: Header=BB4_6234 Depth=4
	s_or_b64 exec, exec, s[38:39]
                                        ; implicit-def: $vgpr19
.LBB4_7143:                             ;   in Loop: Header=BB4_6234 Depth=4
	s_andn2_saveexec_b64 s[28:29], s[36:37]
; %bb.7144:                             ;   in Loop: Header=BB4_6234 Depth=4
	v_or_b32_e32 v18, 0x7b, v19
; %bb.7145:                             ;   in Loop: Header=BB4_6234 Depth=4
	s_or_b64 exec, exec, s[28:29]
                                        ; implicit-def: $vgpr0
.LBB4_7146:                             ;   in Loop: Header=BB4_6234 Depth=4
	s_andn2_saveexec_b64 s[28:29], s[34:35]
	s_cbranch_execz .LBB4_7152
; %bb.7147:                             ;   in Loop: Header=BB4_6234 Depth=4
	v_cmp_ne_u64_e32 vcc, 0, v[16:17]
                                        ; implicit-def: $vgpr18
	s_and_saveexec_b64 s[34:35], vcc
	s_xor_b64 vcc, exec, s[34:35]
; %bb.7148:                             ;   in Loop: Header=BB4_6234 Depth=4
	v_or_b32_sdwa v18, v0, s47 dst_sel:DWORD dst_unused:UNUSED_PAD src0_sel:BYTE_3 src1_sel:DWORD
                                        ; implicit-def: $vgpr0
; %bb.7149:                             ;   in Loop: Header=BB4_6234 Depth=4
	s_andn2_saveexec_b64 s[34:35], vcc
; %bb.7150:                             ;   in Loop: Header=BB4_6234 Depth=4
	v_cmp_lt_i32_e32 vcc, -1, v0
	v_cndmask_b32_e32 v18, -4, v52, vcc
; %bb.7151:                             ;   in Loop: Header=BB4_6234 Depth=4
	s_or_b64 exec, exec, s[34:35]
.LBB4_7152:                             ;   in Loop: Header=BB4_6234 Depth=4
	s_or_b64 exec, exec, s[28:29]
	v_and_b32_e32 v16, 0xff, v45
	v_cmp_ne_u16_e32 vcc, 0, v16
	v_mov_b32_e32 v0, 0
	v_mov_b32_e32 v1, 0
	s_and_saveexec_b64 s[28:29], vcc
	s_cbranch_execz .LBB4_7160
; %bb.7153:                             ;   in Loop: Header=BB4_6234 Depth=4
	v_cmp_ne_u16_e32 vcc, s96, v16
	v_bfrev_b32_e32 v1, 1
	s_and_saveexec_b64 s[34:35], vcc
	s_cbranch_execz .LBB4_7159
; %bb.7154:                             ;   in Loop: Header=BB4_6234 Depth=4
	v_and_b32_e32 v1, 0x7c, v45
	v_and_b32_e32 v2, 3, v45
	v_cmp_ne_u32_e32 vcc, s85, v1
                                        ; implicit-def: $vgpr1
	s_and_saveexec_b64 s[36:37], vcc
	s_xor_b64 s[36:37], exec, s[36:37]
	s_cbranch_execz .LBB4_7156
; %bb.7155:                             ;   in Loop: Header=BB4_6234 Depth=4
	v_bfe_u32 v1, v16, 2, 5
	v_ffbh_u32_e32 v16, v2
	v_min_u32_e32 v16, 32, v16
	v_mov_b32_e32 v46, v17
	v_subrev_u32_e32 v19, 29, v16
	v_lshlrev_b64 v[19:20], v19, v[45:46]
	v_sub_u32_e32 v16, 30, v16
	v_cmp_eq_u32_e32 vcc, 0, v1
	v_cndmask_b32_e32 v1, v1, v16, vcc
	v_lshlrev_b32_e32 v16, 24, v45
	v_and_b32_e32 v19, 3, v19
	v_and_b32_e32 v16, 0x80000000, v16
	v_cndmask_b32_e32 v2, v2, v19, vcc
	v_lshl_add_u32 v1, v1, 23, v16
	v_lshl_or_b32 v1, v2, 21, v1
	v_add_u32_e32 v1, 0x38000000, v1
                                        ; implicit-def: $vgpr2
                                        ; implicit-def: $vgpr45
.LBB4_7156:                             ;   in Loop: Header=BB4_6234 Depth=4
	s_andn2_saveexec_b64 s[36:37], s[36:37]
; %bb.7157:                             ;   in Loop: Header=BB4_6234 Depth=4
	v_mov_b32_e32 v1, -1
	v_cmp_gt_i16_sdwa vcc, sext(v45), v1 src0_sel:BYTE_0 src1_sel:DWORD
	v_mov_b32_e32 v1, 0xff800000
	v_mov_b32_e32 v16, 0x7f800000
	v_cndmask_b32_e32 v1, v1, v16, vcc
	v_cmp_eq_u32_e32 vcc, 0, v2
	v_mov_b32_e32 v2, 0x7f800001
	v_cndmask_b32_e32 v1, v2, v1, vcc
; %bb.7158:                             ;   in Loop: Header=BB4_6234 Depth=4
	s_or_b64 exec, exec, s[36:37]
.LBB4_7159:                             ;   in Loop: Header=BB4_6234 Depth=4
	s_or_b64 exec, exec, s[34:35]
.LBB4_7160:                             ;   in Loop: Header=BB4_6234 Depth=4
	s_or_b64 exec, exec, s[28:29]
	v_cmp_ne_u16_e32 vcc, 0, v38
	s_and_saveexec_b64 s[28:29], vcc
	s_cbranch_execz .LBB4_7168
; %bb.7161:                             ;   in Loop: Header=BB4_6234 Depth=4
	v_cmp_ne_u16_e32 vcc, s97, v38
	v_bfrev_b32_e32 v0, 1
	s_and_saveexec_b64 s[34:35], vcc
	s_cbranch_execz .LBB4_7167
; %bb.7162:                             ;   in Loop: Header=BB4_6234 Depth=4
	v_and_b32_e32 v0, 0x7c, v38
	v_and_b32_e32 v2, 3, v38
	v_cmp_ne_u32_e32 vcc, s85, v0
                                        ; implicit-def: $vgpr0
	s_and_saveexec_b64 s[36:37], vcc
	s_xor_b64 s[36:37], exec, s[36:37]
	s_cbranch_execz .LBB4_7164
; %bb.7163:                             ;   in Loop: Header=BB4_6234 Depth=4
	v_ffbh_u32_e32 v16, v2
	v_min_u32_e32 v16, 32, v16
	v_and_b32_e32 v0, 0xff, v38
	v_mov_b32_e32 v39, v17
	v_subrev_u32_e32 v19, 29, v16
	v_bfe_u32 v0, v0, 2, 5
	v_lshlrev_b64 v[19:20], v19, v[38:39]
	v_sub_u32_e32 v16, 30, v16
	v_cmp_eq_u32_e32 vcc, 0, v0
	v_and_b32_e32 v19, 3, v19
	v_cndmask_b32_e32 v0, v0, v16, vcc
	v_and_b32_sdwa v16, sext(v38), s86 dst_sel:DWORD dst_unused:UNUSED_PAD src0_sel:WORD_0 src1_sel:DWORD
	v_cndmask_b32_e32 v2, v2, v19, vcc
	v_lshl_add_u32 v0, v0, 23, v16
	v_lshl_or_b32 v0, v2, 21, v0
	v_add_u32_e32 v0, 0x38000000, v0
                                        ; implicit-def: $vgpr2
                                        ; implicit-def: $vgpr38
.LBB4_7164:                             ;   in Loop: Header=BB4_6234 Depth=4
	s_andn2_saveexec_b64 s[36:37], s[36:37]
; %bb.7165:                             ;   in Loop: Header=BB4_6234 Depth=4
	v_cmp_lt_i16_e32 vcc, -1, v38
	v_mov_b32_e32 v0, 0xff800000
	v_mov_b32_e32 v16, 0x7f800000
	v_cndmask_b32_e32 v0, v0, v16, vcc
	v_cmp_eq_u32_e32 vcc, 0, v2
	v_mov_b32_e32 v2, 0x7f800001
	v_cndmask_b32_e32 v0, v2, v0, vcc
; %bb.7166:                             ;   in Loop: Header=BB4_6234 Depth=4
	s_or_b64 exec, exec, s[36:37]
.LBB4_7167:                             ;   in Loop: Header=BB4_6234 Depth=4
	s_or_b64 exec, exec, s[34:35]
.LBB4_7168:                             ;   in Loop: Header=BB4_6234 Depth=4
	s_or_b64 exec, exec, s[28:29]
	v_add_f32_e32 v0, v1, v0
	v_and_b32_e32 v1, 0x7f800000, v0
	v_mov_b32_e32 v2, v17
	v_cmp_ne_u64_e32 vcc, s[76:77], v[1:2]
	v_and_b32_e32 v16, 0x7fffff, v0
                                        ; implicit-def: $vgpr19
	s_and_saveexec_b64 s[28:29], vcc
	s_xor_b64 s[34:35], exec, s[28:29]
	s_cbranch_execz .LBB4_7186
; %bb.7169:                             ;   in Loop: Header=BB4_6234 Depth=4
	v_and_b32_e32 v1, 0x7fffffff, v0
	v_mov_b32_e32 v2, v17
	v_cmp_gt_u64_e32 vcc, s[78:79], v[1:2]
	v_and_b32_sdwa v20, v0, s96 dst_sel:DWORD dst_unused:UNUSED_PAD src0_sel:BYTE_3 src1_sel:DWORD
                                        ; implicit-def: $vgpr19
	s_and_saveexec_b64 s[28:29], vcc
	s_xor_b64 s[36:37], exec, s[28:29]
	s_cbranch_execz .LBB4_7183
; %bb.7170:                             ;   in Loop: Header=BB4_6234 Depth=4
	v_cmp_ne_u32_e32 vcc, 0, v0
	v_mov_b32_e32 v19, 0
	s_and_saveexec_b64 s[38:39], vcc
	s_cbranch_execz .LBB4_7182
; %bb.7171:                             ;   in Loop: Header=BB4_6234 Depth=4
	v_bfe_u32 v19, v0, 23, 8
	v_cmp_gt_u32_e64 s[28:29], s46, v19
	v_sub_u32_e32 v0, 0x71, v19
	v_cmp_eq_u32_e32 vcc, 0, v19
	v_cndmask_b32_e64 v0, 0, v0, s[28:29]
	v_mov_b32_e32 v2, 0x70
	v_cndmask_b32_e32 v21, v0, v2, vcc
	v_add_u32_e32 v2, 21, v21
	v_or_b32_e32 v1, 0x800000, v16
	v_lshlrev_b64 v[25:26], v2, -1
	v_cndmask_b32_e32 v0, v1, v16, vcc
	v_mov_b32_e32 v1, v17
	v_add_u32_e32 v2, 20, v21
	v_bfi_b32 v25, v25, 0, v0
	v_lshlrev_b64 v[27:28], v2, 1
	v_lshrrev_b64 v[0:1], v21, v[0:1]
	v_bfi_b32 v26, v26, 0, 0
	v_cmp_eq_u64_e64 s[28:29], v[25:26], v[27:28]
	v_mov_b32_e32 v2, v1
	v_mov_b32_e32 v1, v0
	s_and_saveexec_b64 s[48:49], s[28:29]
; %bb.7172:                             ;   in Loop: Header=BB4_6234 Depth=4
	v_bfe_u32 v1, v0, 21, 1
	v_add_co_u32_e64 v1, s[28:29], v0, v1
	v_add_co_u32_e64 v1, s[28:29], -1, v1
; %bb.7173:                             ;   in Loop: Header=BB4_6234 Depth=4
	s_or_b64 exec, exec, s[48:49]
	v_add_u32_e32 v2, 0xffffff81, v19
	v_mov_b32_e32 v16, 0xffffff82
	v_cndmask_b32_e32 v2, v2, v16, vcc
	v_lshrrev_b32_e32 v16, 23, v0
	v_add3_u32 v21, v21, v2, v16
	v_add_u32_e32 v19, 14, v21
	v_and_b32_e32 v1, 0x1fffff, v1
	v_add_u32_e32 v16, v1, v0
	v_cmp_ne_u32_e32 vcc, 0, v19
                                        ; implicit-def: $vgpr0_vgpr1
                                        ; implicit-def: $vgpr2
	s_and_saveexec_b64 s[28:29], vcc
	s_xor_b64 s[28:29], exec, s[28:29]
; %bb.7174:                             ;   in Loop: Header=BB4_6234 Depth=4
	v_cmp_lt_u64_e32 vcc, s[88:89], v[16:17]
	v_add_u32_e32 v0, 15, v21
	v_cndmask_b32_e32 v2, v19, v0, vcc
	v_cndmask_b32_e64 v0, 0, 1, vcc
	v_lshrrev_b64 v[0:1], v0, v[16:17]
; %bb.7175:                             ;   in Loop: Header=BB4_6234 Depth=4
	s_andn2_saveexec_b64 s[28:29], s[28:29]
; %bb.7176:                             ;   in Loop: Header=BB4_6234 Depth=4
	v_mov_b32_e32 v0, v16
	v_mov_b32_e32 v1, v17
	v_bfe_u32 v2, v16, 23, 1
; %bb.7177:                             ;   in Loop: Header=BB4_6234 Depth=4
	s_or_b64 exec, exec, s[28:29]
	v_lshrrev_b64 v[0:1], 21, v[0:1]
	v_cmp_gt_i32_e32 vcc, 32, v2
	v_cndmask_b32_e32 v1, 0, v1, vcc
	v_cndmask_b32_e32 v0, 3, v0, vcc
	v_cmp_ne_u64_e32 vcc, 0, v[0:1]
	v_cmp_ne_u32_e64 s[28:29], 0, v2
	s_or_b64 s[28:29], s[28:29], vcc
                                        ; implicit-def: $vgpr19
	s_and_saveexec_b64 vcc, s[28:29]
	s_xor_b64 s[28:29], exec, vcc
; %bb.7178:                             ;   in Loop: Header=BB4_6234 Depth=4
	v_min_i32_e32 v1, 31, v2
	v_lshl_or_b32 v1, v1, 2, v20
	v_and_or_b32 v19, v0, 3, v1
                                        ; implicit-def: $vgpr20
; %bb.7179:                             ;   in Loop: Header=BB4_6234 Depth=4
	s_andn2_saveexec_b64 s[28:29], s[28:29]
; %bb.7180:                             ;   in Loop: Header=BB4_6234 Depth=4
	v_mov_b32_e32 v19, v20
; %bb.7181:                             ;   in Loop: Header=BB4_6234 Depth=4
	s_or_b64 exec, exec, s[28:29]
.LBB4_7182:                             ;   in Loop: Header=BB4_6234 Depth=4
	s_or_b64 exec, exec, s[38:39]
                                        ; implicit-def: $vgpr20
.LBB4_7183:                             ;   in Loop: Header=BB4_6234 Depth=4
	s_andn2_saveexec_b64 s[28:29], s[36:37]
; %bb.7184:                             ;   in Loop: Header=BB4_6234 Depth=4
	v_or_b32_e32 v19, 0x7b, v20
; %bb.7185:                             ;   in Loop: Header=BB4_6234 Depth=4
	s_or_b64 exec, exec, s[28:29]
                                        ; implicit-def: $vgpr0
.LBB4_7186:                             ;   in Loop: Header=BB4_6234 Depth=4
	s_andn2_saveexec_b64 s[28:29], s[34:35]
	s_cbranch_execz .LBB4_7192
; %bb.7187:                             ;   in Loop: Header=BB4_6234 Depth=4
	v_cmp_ne_u64_e32 vcc, 0, v[16:17]
                                        ; implicit-def: $vgpr19
	s_and_saveexec_b64 s[34:35], vcc
	s_xor_b64 vcc, exec, s[34:35]
; %bb.7188:                             ;   in Loop: Header=BB4_6234 Depth=4
	v_or_b32_sdwa v19, v0, s47 dst_sel:DWORD dst_unused:UNUSED_PAD src0_sel:BYTE_3 src1_sel:DWORD
                                        ; implicit-def: $vgpr0
; %bb.7189:                             ;   in Loop: Header=BB4_6234 Depth=4
	s_andn2_saveexec_b64 s[34:35], vcc
; %bb.7190:                             ;   in Loop: Header=BB4_6234 Depth=4
	v_cmp_lt_i32_e32 vcc, -1, v0
	v_cndmask_b32_e32 v19, -4, v52, vcc
; %bb.7191:                             ;   in Loop: Header=BB4_6234 Depth=4
	s_or_b64 exec, exec, s[34:35]
.LBB4_7192:                             ;   in Loop: Header=BB4_6234 Depth=4
	s_or_b64 exec, exec, s[28:29]
	v_and_b32_e32 v16, 0xff, v44
	v_cmp_ne_u16_e32 vcc, 0, v16
	v_mov_b32_e32 v0, 0
	v_mov_b32_e32 v1, 0
	s_and_saveexec_b64 s[28:29], vcc
	s_cbranch_execz .LBB4_7200
; %bb.7193:                             ;   in Loop: Header=BB4_6234 Depth=4
	v_cmp_ne_u16_e32 vcc, s96, v16
	v_bfrev_b32_e32 v1, 1
	s_and_saveexec_b64 s[34:35], vcc
	s_cbranch_execz .LBB4_7199
; %bb.7194:                             ;   in Loop: Header=BB4_6234 Depth=4
	v_and_b32_e32 v1, 0x7c, v44
	v_and_b32_e32 v2, 3, v44
	v_cmp_ne_u32_e32 vcc, s85, v1
                                        ; implicit-def: $vgpr1
	s_and_saveexec_b64 s[36:37], vcc
	s_xor_b64 s[36:37], exec, s[36:37]
	s_cbranch_execz .LBB4_7196
; %bb.7195:                             ;   in Loop: Header=BB4_6234 Depth=4
	v_bfe_u32 v1, v16, 2, 5
	v_ffbh_u32_e32 v16, v2
	v_min_u32_e32 v16, 32, v16
	v_mov_b32_e32 v45, v17
	v_subrev_u32_e32 v20, 29, v16
	v_lshlrev_b64 v[20:21], v20, v[44:45]
	v_sub_u32_e32 v16, 30, v16
	v_cmp_eq_u32_e32 vcc, 0, v1
	v_cndmask_b32_e32 v1, v1, v16, vcc
	v_lshlrev_b32_e32 v16, 24, v44
	v_and_b32_e32 v20, 3, v20
	v_and_b32_e32 v16, 0x80000000, v16
	v_cndmask_b32_e32 v2, v2, v20, vcc
	v_lshl_add_u32 v1, v1, 23, v16
	v_lshl_or_b32 v1, v2, 21, v1
	v_add_u32_e32 v1, 0x38000000, v1
                                        ; implicit-def: $vgpr2
                                        ; implicit-def: $vgpr44
.LBB4_7196:                             ;   in Loop: Header=BB4_6234 Depth=4
	s_andn2_saveexec_b64 s[36:37], s[36:37]
; %bb.7197:                             ;   in Loop: Header=BB4_6234 Depth=4
	v_mov_b32_e32 v1, -1
	v_cmp_gt_i16_sdwa vcc, sext(v44), v1 src0_sel:BYTE_0 src1_sel:DWORD
	v_mov_b32_e32 v1, 0xff800000
	v_mov_b32_e32 v16, 0x7f800000
	v_cndmask_b32_e32 v1, v1, v16, vcc
	v_cmp_eq_u32_e32 vcc, 0, v2
	v_mov_b32_e32 v2, 0x7f800001
	v_cndmask_b32_e32 v1, v2, v1, vcc
; %bb.7198:                             ;   in Loop: Header=BB4_6234 Depth=4
	s_or_b64 exec, exec, s[36:37]
.LBB4_7199:                             ;   in Loop: Header=BB4_6234 Depth=4
	s_or_b64 exec, exec, s[34:35]
.LBB4_7200:                             ;   in Loop: Header=BB4_6234 Depth=4
	s_or_b64 exec, exec, s[28:29]
	v_cmp_ne_u16_e32 vcc, 0, v59
	s_and_saveexec_b64 s[28:29], vcc
	s_cbranch_execz .LBB4_7208
; %bb.7201:                             ;   in Loop: Header=BB4_6234 Depth=4
	v_cmp_ne_u16_e32 vcc, s97, v59
	v_bfrev_b32_e32 v0, 1
	s_and_saveexec_b64 s[34:35], vcc
	s_cbranch_execz .LBB4_7207
; %bb.7202:                             ;   in Loop: Header=BB4_6234 Depth=4
	v_and_b32_e32 v0, 0x7c, v59
	v_and_b32_e32 v2, 3, v59
	v_cmp_ne_u32_e32 vcc, s85, v0
                                        ; implicit-def: $vgpr0
	s_and_saveexec_b64 s[36:37], vcc
	s_xor_b64 s[36:37], exec, s[36:37]
	s_cbranch_execz .LBB4_7204
; %bb.7203:                             ;   in Loop: Header=BB4_6234 Depth=4
	v_ffbh_u32_e32 v16, v2
	v_min_u32_e32 v16, 32, v16
	v_and_b32_e32 v0, 0xff, v59
	v_mov_b32_e32 v60, v17
	v_subrev_u32_e32 v20, 29, v16
	v_bfe_u32 v0, v0, 2, 5
	v_lshlrev_b64 v[20:21], v20, v[59:60]
	v_sub_u32_e32 v16, 30, v16
	v_cmp_eq_u32_e32 vcc, 0, v0
	v_and_b32_e32 v20, 3, v20
	v_cndmask_b32_e32 v0, v0, v16, vcc
	v_and_b32_sdwa v16, sext(v59), s86 dst_sel:DWORD dst_unused:UNUSED_PAD src0_sel:WORD_0 src1_sel:DWORD
	v_cndmask_b32_e32 v2, v2, v20, vcc
	v_lshl_add_u32 v0, v0, 23, v16
	v_lshl_or_b32 v0, v2, 21, v0
	v_add_u32_e32 v0, 0x38000000, v0
                                        ; implicit-def: $vgpr2
                                        ; implicit-def: $vgpr59
.LBB4_7204:                             ;   in Loop: Header=BB4_6234 Depth=4
	s_andn2_saveexec_b64 s[36:37], s[36:37]
; %bb.7205:                             ;   in Loop: Header=BB4_6234 Depth=4
	v_cmp_lt_i16_e32 vcc, -1, v59
	v_mov_b32_e32 v0, 0xff800000
	v_mov_b32_e32 v16, 0x7f800000
	v_cndmask_b32_e32 v0, v0, v16, vcc
	v_cmp_eq_u32_e32 vcc, 0, v2
	v_mov_b32_e32 v2, 0x7f800001
	v_cndmask_b32_e32 v0, v2, v0, vcc
; %bb.7206:                             ;   in Loop: Header=BB4_6234 Depth=4
	s_or_b64 exec, exec, s[36:37]
.LBB4_7207:                             ;   in Loop: Header=BB4_6234 Depth=4
	s_or_b64 exec, exec, s[34:35]
.LBB4_7208:                             ;   in Loop: Header=BB4_6234 Depth=4
	s_or_b64 exec, exec, s[28:29]
	v_add_f32_e32 v0, v1, v0
	v_and_b32_e32 v1, 0x7f800000, v0
	v_mov_b32_e32 v2, v17
	v_cmp_ne_u64_e32 vcc, s[76:77], v[1:2]
	v_and_b32_e32 v16, 0x7fffff, v0
                                        ; implicit-def: $vgpr20
	s_and_saveexec_b64 s[28:29], vcc
	s_xor_b64 s[34:35], exec, s[28:29]
	s_cbranch_execz .LBB4_7226
; %bb.7209:                             ;   in Loop: Header=BB4_6234 Depth=4
	v_and_b32_e32 v1, 0x7fffffff, v0
	v_mov_b32_e32 v2, v17
	v_cmp_gt_u64_e32 vcc, s[78:79], v[1:2]
	v_and_b32_sdwa v21, v0, s96 dst_sel:DWORD dst_unused:UNUSED_PAD src0_sel:BYTE_3 src1_sel:DWORD
                                        ; implicit-def: $vgpr20
	s_and_saveexec_b64 s[28:29], vcc
	s_xor_b64 s[36:37], exec, s[28:29]
	s_cbranch_execz .LBB4_7223
; %bb.7210:                             ;   in Loop: Header=BB4_6234 Depth=4
	v_cmp_ne_u32_e32 vcc, 0, v0
	v_mov_b32_e32 v20, 0
	s_and_saveexec_b64 s[38:39], vcc
	s_cbranch_execz .LBB4_7222
; %bb.7211:                             ;   in Loop: Header=BB4_6234 Depth=4
	v_bfe_u32 v20, v0, 23, 8
	v_cmp_gt_u32_e64 s[28:29], s46, v20
	v_sub_u32_e32 v0, 0x71, v20
	v_cmp_eq_u32_e32 vcc, 0, v20
	v_cndmask_b32_e64 v0, 0, v0, s[28:29]
	v_mov_b32_e32 v2, 0x70
	v_cndmask_b32_e32 v25, v0, v2, vcc
	v_add_u32_e32 v2, 21, v25
	v_or_b32_e32 v1, 0x800000, v16
	v_lshlrev_b64 v[26:27], v2, -1
	v_cndmask_b32_e32 v0, v1, v16, vcc
	v_mov_b32_e32 v1, v17
	v_add_u32_e32 v2, 20, v25
	v_bfi_b32 v26, v26, 0, v0
	v_lshlrev_b64 v[28:29], v2, 1
	v_lshrrev_b64 v[0:1], v25, v[0:1]
	v_bfi_b32 v27, v27, 0, 0
	v_cmp_eq_u64_e64 s[28:29], v[26:27], v[28:29]
	v_mov_b32_e32 v2, v1
	v_mov_b32_e32 v1, v0
	s_and_saveexec_b64 s[48:49], s[28:29]
; %bb.7212:                             ;   in Loop: Header=BB4_6234 Depth=4
	v_bfe_u32 v1, v0, 21, 1
	v_add_co_u32_e64 v1, s[28:29], v0, v1
	v_add_co_u32_e64 v1, s[28:29], -1, v1
; %bb.7213:                             ;   in Loop: Header=BB4_6234 Depth=4
	s_or_b64 exec, exec, s[48:49]
	v_add_u32_e32 v2, 0xffffff81, v20
	v_mov_b32_e32 v16, 0xffffff82
	v_cndmask_b32_e32 v2, v2, v16, vcc
	v_lshrrev_b32_e32 v16, 23, v0
	v_add3_u32 v25, v25, v2, v16
	v_add_u32_e32 v20, 14, v25
	v_and_b32_e32 v1, 0x1fffff, v1
	v_add_u32_e32 v16, v1, v0
	v_cmp_ne_u32_e32 vcc, 0, v20
                                        ; implicit-def: $vgpr0_vgpr1
                                        ; implicit-def: $vgpr2
	s_and_saveexec_b64 s[28:29], vcc
	s_xor_b64 s[28:29], exec, s[28:29]
; %bb.7214:                             ;   in Loop: Header=BB4_6234 Depth=4
	v_cmp_lt_u64_e32 vcc, s[88:89], v[16:17]
	v_add_u32_e32 v0, 15, v25
	v_cndmask_b32_e32 v2, v20, v0, vcc
	v_cndmask_b32_e64 v0, 0, 1, vcc
	v_lshrrev_b64 v[0:1], v0, v[16:17]
; %bb.7215:                             ;   in Loop: Header=BB4_6234 Depth=4
	s_andn2_saveexec_b64 s[28:29], s[28:29]
; %bb.7216:                             ;   in Loop: Header=BB4_6234 Depth=4
	v_mov_b32_e32 v0, v16
	v_mov_b32_e32 v1, v17
	v_bfe_u32 v2, v16, 23, 1
; %bb.7217:                             ;   in Loop: Header=BB4_6234 Depth=4
	s_or_b64 exec, exec, s[28:29]
	v_lshrrev_b64 v[0:1], 21, v[0:1]
	v_cmp_gt_i32_e32 vcc, 32, v2
	v_cndmask_b32_e32 v1, 0, v1, vcc
	v_cndmask_b32_e32 v0, 3, v0, vcc
	v_cmp_ne_u64_e32 vcc, 0, v[0:1]
	v_cmp_ne_u32_e64 s[28:29], 0, v2
	s_or_b64 s[28:29], s[28:29], vcc
                                        ; implicit-def: $vgpr20
	s_and_saveexec_b64 vcc, s[28:29]
	s_xor_b64 s[28:29], exec, vcc
; %bb.7218:                             ;   in Loop: Header=BB4_6234 Depth=4
	v_min_i32_e32 v1, 31, v2
	v_lshl_or_b32 v1, v1, 2, v21
	v_and_or_b32 v20, v0, 3, v1
                                        ; implicit-def: $vgpr21
; %bb.7219:                             ;   in Loop: Header=BB4_6234 Depth=4
	s_andn2_saveexec_b64 s[28:29], s[28:29]
; %bb.7220:                             ;   in Loop: Header=BB4_6234 Depth=4
	v_mov_b32_e32 v20, v21
; %bb.7221:                             ;   in Loop: Header=BB4_6234 Depth=4
	s_or_b64 exec, exec, s[28:29]
.LBB4_7222:                             ;   in Loop: Header=BB4_6234 Depth=4
	s_or_b64 exec, exec, s[38:39]
                                        ; implicit-def: $vgpr21
.LBB4_7223:                             ;   in Loop: Header=BB4_6234 Depth=4
	s_andn2_saveexec_b64 s[28:29], s[36:37]
; %bb.7224:                             ;   in Loop: Header=BB4_6234 Depth=4
	v_or_b32_e32 v20, 0x7b, v21
; %bb.7225:                             ;   in Loop: Header=BB4_6234 Depth=4
	s_or_b64 exec, exec, s[28:29]
                                        ; implicit-def: $vgpr0
.LBB4_7226:                             ;   in Loop: Header=BB4_6234 Depth=4
	s_andn2_saveexec_b64 s[28:29], s[34:35]
	s_cbranch_execz .LBB4_7232
; %bb.7227:                             ;   in Loop: Header=BB4_6234 Depth=4
	v_cmp_ne_u64_e32 vcc, 0, v[16:17]
                                        ; implicit-def: $vgpr20
	s_and_saveexec_b64 s[34:35], vcc
	s_xor_b64 vcc, exec, s[34:35]
; %bb.7228:                             ;   in Loop: Header=BB4_6234 Depth=4
	v_or_b32_sdwa v20, v0, s47 dst_sel:DWORD dst_unused:UNUSED_PAD src0_sel:BYTE_3 src1_sel:DWORD
                                        ; implicit-def: $vgpr0
; %bb.7229:                             ;   in Loop: Header=BB4_6234 Depth=4
	s_andn2_saveexec_b64 s[34:35], vcc
; %bb.7230:                             ;   in Loop: Header=BB4_6234 Depth=4
	v_cmp_lt_i32_e32 vcc, -1, v0
	v_cndmask_b32_e32 v20, -4, v52, vcc
; %bb.7231:                             ;   in Loop: Header=BB4_6234 Depth=4
	s_or_b64 exec, exec, s[34:35]
.LBB4_7232:                             ;   in Loop: Header=BB4_6234 Depth=4
	s_or_b64 exec, exec, s[28:29]
	v_and_b32_e32 v16, 0xff, v43
	v_cmp_ne_u16_e32 vcc, 0, v16
	v_mov_b32_e32 v0, 0
	v_mov_b32_e32 v1, 0
	s_and_saveexec_b64 s[28:29], vcc
	s_cbranch_execz .LBB4_7240
; %bb.7233:                             ;   in Loop: Header=BB4_6234 Depth=4
	v_cmp_ne_u16_e32 vcc, s96, v16
	v_bfrev_b32_e32 v1, 1
	s_and_saveexec_b64 s[34:35], vcc
	s_cbranch_execz .LBB4_7239
; %bb.7234:                             ;   in Loop: Header=BB4_6234 Depth=4
	v_and_b32_e32 v1, 0x7c, v43
	v_and_b32_e32 v2, 3, v43
	v_cmp_ne_u32_e32 vcc, s85, v1
                                        ; implicit-def: $vgpr1
	s_and_saveexec_b64 s[36:37], vcc
	s_xor_b64 s[36:37], exec, s[36:37]
	s_cbranch_execz .LBB4_7236
; %bb.7235:                             ;   in Loop: Header=BB4_6234 Depth=4
	v_bfe_u32 v1, v16, 2, 5
	v_ffbh_u32_e32 v16, v2
	v_min_u32_e32 v16, 32, v16
	v_mov_b32_e32 v44, v17
	v_subrev_u32_e32 v21, 29, v16
	v_lshlrev_b64 v[25:26], v21, v[43:44]
	v_sub_u32_e32 v16, 30, v16
	v_cmp_eq_u32_e32 vcc, 0, v1
	v_cndmask_b32_e32 v1, v1, v16, vcc
	v_lshlrev_b32_e32 v16, 24, v43
	v_and_b32_e32 v21, 3, v25
	v_and_b32_e32 v16, 0x80000000, v16
	v_cndmask_b32_e32 v2, v2, v21, vcc
	v_lshl_add_u32 v1, v1, 23, v16
	v_lshl_or_b32 v1, v2, 21, v1
	v_add_u32_e32 v1, 0x38000000, v1
                                        ; implicit-def: $vgpr2
                                        ; implicit-def: $vgpr43
.LBB4_7236:                             ;   in Loop: Header=BB4_6234 Depth=4
	s_andn2_saveexec_b64 s[36:37], s[36:37]
; %bb.7237:                             ;   in Loop: Header=BB4_6234 Depth=4
	v_mov_b32_e32 v1, -1
	v_cmp_gt_i16_sdwa vcc, sext(v43), v1 src0_sel:BYTE_0 src1_sel:DWORD
	v_mov_b32_e32 v1, 0xff800000
	v_mov_b32_e32 v16, 0x7f800000
	v_cndmask_b32_e32 v1, v1, v16, vcc
	v_cmp_eq_u32_e32 vcc, 0, v2
	v_mov_b32_e32 v2, 0x7f800001
	v_cndmask_b32_e32 v1, v2, v1, vcc
; %bb.7238:                             ;   in Loop: Header=BB4_6234 Depth=4
	s_or_b64 exec, exec, s[36:37]
.LBB4_7239:                             ;   in Loop: Header=BB4_6234 Depth=4
	s_or_b64 exec, exec, s[34:35]
.LBB4_7240:                             ;   in Loop: Header=BB4_6234 Depth=4
	s_or_b64 exec, exec, s[28:29]
	v_cmp_ne_u16_e32 vcc, 0, v50
	s_and_saveexec_b64 s[28:29], vcc
	s_cbranch_execz .LBB4_7248
; %bb.7241:                             ;   in Loop: Header=BB4_6234 Depth=4
	v_cmp_ne_u16_e32 vcc, s97, v50
	v_bfrev_b32_e32 v0, 1
	s_and_saveexec_b64 s[34:35], vcc
	s_cbranch_execz .LBB4_7247
; %bb.7242:                             ;   in Loop: Header=BB4_6234 Depth=4
	v_and_b32_e32 v0, 0x7c, v50
	v_and_b32_e32 v2, 3, v50
	v_cmp_ne_u32_e32 vcc, s85, v0
                                        ; implicit-def: $vgpr0
	s_and_saveexec_b64 s[36:37], vcc
	s_xor_b64 s[36:37], exec, s[36:37]
	s_cbranch_execz .LBB4_7244
; %bb.7243:                             ;   in Loop: Header=BB4_6234 Depth=4
	v_ffbh_u32_e32 v16, v2
	v_min_u32_e32 v16, 32, v16
	v_and_b32_e32 v0, 0xff, v50
	v_mov_b32_e32 v51, v17
	v_subrev_u32_e32 v21, 29, v16
	v_bfe_u32 v0, v0, 2, 5
	v_lshlrev_b64 v[25:26], v21, v[50:51]
	v_sub_u32_e32 v16, 30, v16
	v_cmp_eq_u32_e32 vcc, 0, v0
	v_and_b32_e32 v21, 3, v25
	v_cndmask_b32_e32 v0, v0, v16, vcc
	v_and_b32_sdwa v16, sext(v50), s86 dst_sel:DWORD dst_unused:UNUSED_PAD src0_sel:WORD_0 src1_sel:DWORD
	v_cndmask_b32_e32 v2, v2, v21, vcc
	v_lshl_add_u32 v0, v0, 23, v16
	v_lshl_or_b32 v0, v2, 21, v0
	v_add_u32_e32 v0, 0x38000000, v0
                                        ; implicit-def: $vgpr2
                                        ; implicit-def: $vgpr50
.LBB4_7244:                             ;   in Loop: Header=BB4_6234 Depth=4
	s_andn2_saveexec_b64 s[36:37], s[36:37]
; %bb.7245:                             ;   in Loop: Header=BB4_6234 Depth=4
	v_cmp_lt_i16_e32 vcc, -1, v50
	v_mov_b32_e32 v0, 0xff800000
	v_mov_b32_e32 v16, 0x7f800000
	v_cndmask_b32_e32 v0, v0, v16, vcc
	v_cmp_eq_u32_e32 vcc, 0, v2
	v_mov_b32_e32 v2, 0x7f800001
	v_cndmask_b32_e32 v0, v2, v0, vcc
; %bb.7246:                             ;   in Loop: Header=BB4_6234 Depth=4
	s_or_b64 exec, exec, s[36:37]
.LBB4_7247:                             ;   in Loop: Header=BB4_6234 Depth=4
	s_or_b64 exec, exec, s[34:35]
.LBB4_7248:                             ;   in Loop: Header=BB4_6234 Depth=4
	s_or_b64 exec, exec, s[28:29]
	v_add_f32_e32 v0, v1, v0
	v_and_b32_e32 v1, 0x7f800000, v0
	v_mov_b32_e32 v2, v17
	v_cmp_ne_u64_e32 vcc, s[76:77], v[1:2]
	v_and_b32_e32 v16, 0x7fffff, v0
                                        ; implicit-def: $vgpr21
	s_and_saveexec_b64 s[28:29], vcc
	s_xor_b64 s[34:35], exec, s[28:29]
	s_cbranch_execz .LBB4_7266
; %bb.7249:                             ;   in Loop: Header=BB4_6234 Depth=4
	v_and_b32_e32 v1, 0x7fffffff, v0
	v_mov_b32_e32 v2, v17
	v_cmp_gt_u64_e32 vcc, s[78:79], v[1:2]
	v_and_b32_sdwa v25, v0, s96 dst_sel:DWORD dst_unused:UNUSED_PAD src0_sel:BYTE_3 src1_sel:DWORD
                                        ; implicit-def: $vgpr21
	s_and_saveexec_b64 s[28:29], vcc
	s_xor_b64 s[36:37], exec, s[28:29]
	s_cbranch_execz .LBB4_7263
; %bb.7250:                             ;   in Loop: Header=BB4_6234 Depth=4
	v_cmp_ne_u32_e32 vcc, 0, v0
	v_mov_b32_e32 v21, 0
	s_and_saveexec_b64 s[38:39], vcc
	s_cbranch_execz .LBB4_7262
; %bb.7251:                             ;   in Loop: Header=BB4_6234 Depth=4
	v_bfe_u32 v21, v0, 23, 8
	v_cmp_gt_u32_e64 s[28:29], s46, v21
	v_sub_u32_e32 v0, 0x71, v21
	v_cmp_eq_u32_e32 vcc, 0, v21
	v_cndmask_b32_e64 v0, 0, v0, s[28:29]
	v_mov_b32_e32 v2, 0x70
	v_cndmask_b32_e32 v26, v0, v2, vcc
	v_add_u32_e32 v2, 21, v26
	v_or_b32_e32 v1, 0x800000, v16
	v_lshlrev_b64 v[27:28], v2, -1
	v_cndmask_b32_e32 v0, v1, v16, vcc
	v_mov_b32_e32 v1, v17
	v_add_u32_e32 v2, 20, v26
	v_bfi_b32 v27, v27, 0, v0
	v_lshlrev_b64 v[29:30], v2, 1
	v_lshrrev_b64 v[0:1], v26, v[0:1]
	v_bfi_b32 v28, v28, 0, 0
	v_cmp_eq_u64_e64 s[28:29], v[27:28], v[29:30]
	v_mov_b32_e32 v2, v1
	v_mov_b32_e32 v1, v0
	s_and_saveexec_b64 s[48:49], s[28:29]
; %bb.7252:                             ;   in Loop: Header=BB4_6234 Depth=4
	v_bfe_u32 v1, v0, 21, 1
	v_add_co_u32_e64 v1, s[28:29], v0, v1
	v_add_co_u32_e64 v1, s[28:29], -1, v1
; %bb.7253:                             ;   in Loop: Header=BB4_6234 Depth=4
	s_or_b64 exec, exec, s[48:49]
	v_add_u32_e32 v2, 0xffffff81, v21
	v_mov_b32_e32 v16, 0xffffff82
	v_cndmask_b32_e32 v2, v2, v16, vcc
	v_lshrrev_b32_e32 v16, 23, v0
	v_add3_u32 v26, v26, v2, v16
	v_add_u32_e32 v21, 14, v26
	v_and_b32_e32 v1, 0x1fffff, v1
	v_add_u32_e32 v16, v1, v0
	v_cmp_ne_u32_e32 vcc, 0, v21
                                        ; implicit-def: $vgpr0_vgpr1
                                        ; implicit-def: $vgpr2
	s_and_saveexec_b64 s[28:29], vcc
	s_xor_b64 s[28:29], exec, s[28:29]
; %bb.7254:                             ;   in Loop: Header=BB4_6234 Depth=4
	v_cmp_lt_u64_e32 vcc, s[88:89], v[16:17]
	v_add_u32_e32 v0, 15, v26
	v_cndmask_b32_e32 v2, v21, v0, vcc
	v_cndmask_b32_e64 v0, 0, 1, vcc
	v_lshrrev_b64 v[0:1], v0, v[16:17]
; %bb.7255:                             ;   in Loop: Header=BB4_6234 Depth=4
	s_andn2_saveexec_b64 s[28:29], s[28:29]
; %bb.7256:                             ;   in Loop: Header=BB4_6234 Depth=4
	v_mov_b32_e32 v0, v16
	v_mov_b32_e32 v1, v17
	v_bfe_u32 v2, v16, 23, 1
; %bb.7257:                             ;   in Loop: Header=BB4_6234 Depth=4
	s_or_b64 exec, exec, s[28:29]
	v_lshrrev_b64 v[0:1], 21, v[0:1]
	v_cmp_gt_i32_e32 vcc, 32, v2
	v_cndmask_b32_e32 v1, 0, v1, vcc
	v_cndmask_b32_e32 v0, 3, v0, vcc
	v_cmp_ne_u64_e32 vcc, 0, v[0:1]
	v_cmp_ne_u32_e64 s[28:29], 0, v2
	s_or_b64 s[28:29], s[28:29], vcc
                                        ; implicit-def: $vgpr21
	s_and_saveexec_b64 vcc, s[28:29]
	s_xor_b64 s[28:29], exec, vcc
; %bb.7258:                             ;   in Loop: Header=BB4_6234 Depth=4
	v_min_i32_e32 v1, 31, v2
	v_lshl_or_b32 v1, v1, 2, v25
	v_and_or_b32 v21, v0, 3, v1
                                        ; implicit-def: $vgpr25
; %bb.7259:                             ;   in Loop: Header=BB4_6234 Depth=4
	s_andn2_saveexec_b64 s[28:29], s[28:29]
; %bb.7260:                             ;   in Loop: Header=BB4_6234 Depth=4
	v_mov_b32_e32 v21, v25
; %bb.7261:                             ;   in Loop: Header=BB4_6234 Depth=4
	s_or_b64 exec, exec, s[28:29]
.LBB4_7262:                             ;   in Loop: Header=BB4_6234 Depth=4
	s_or_b64 exec, exec, s[38:39]
                                        ; implicit-def: $vgpr25
.LBB4_7263:                             ;   in Loop: Header=BB4_6234 Depth=4
	s_andn2_saveexec_b64 s[28:29], s[36:37]
; %bb.7264:                             ;   in Loop: Header=BB4_6234 Depth=4
	v_or_b32_e32 v21, 0x7b, v25
; %bb.7265:                             ;   in Loop: Header=BB4_6234 Depth=4
	s_or_b64 exec, exec, s[28:29]
                                        ; implicit-def: $vgpr0
.LBB4_7266:                             ;   in Loop: Header=BB4_6234 Depth=4
	s_andn2_saveexec_b64 s[28:29], s[34:35]
	s_cbranch_execz .LBB4_7272
; %bb.7267:                             ;   in Loop: Header=BB4_6234 Depth=4
	v_cmp_ne_u64_e32 vcc, 0, v[16:17]
                                        ; implicit-def: $vgpr21
	s_and_saveexec_b64 s[34:35], vcc
	s_xor_b64 vcc, exec, s[34:35]
; %bb.7268:                             ;   in Loop: Header=BB4_6234 Depth=4
	v_or_b32_sdwa v21, v0, s47 dst_sel:DWORD dst_unused:UNUSED_PAD src0_sel:BYTE_3 src1_sel:DWORD
                                        ; implicit-def: $vgpr0
; %bb.7269:                             ;   in Loop: Header=BB4_6234 Depth=4
	s_andn2_saveexec_b64 s[34:35], vcc
; %bb.7270:                             ;   in Loop: Header=BB4_6234 Depth=4
	v_cmp_lt_i32_e32 vcc, -1, v0
	v_cndmask_b32_e32 v21, -4, v52, vcc
; %bb.7271:                             ;   in Loop: Header=BB4_6234 Depth=4
	s_or_b64 exec, exec, s[34:35]
.LBB4_7272:                             ;   in Loop: Header=BB4_6234 Depth=4
	s_or_b64 exec, exec, s[28:29]
	v_and_b32_e32 v16, 0xff, v42
	v_cmp_ne_u16_e32 vcc, 0, v16
	v_mov_b32_e32 v0, 0
	v_mov_b32_e32 v1, 0
	s_and_saveexec_b64 s[28:29], vcc
	s_cbranch_execz .LBB4_7280
; %bb.7273:                             ;   in Loop: Header=BB4_6234 Depth=4
	v_cmp_ne_u16_e32 vcc, s96, v16
	v_bfrev_b32_e32 v1, 1
	s_and_saveexec_b64 s[34:35], vcc
	s_cbranch_execz .LBB4_7279
; %bb.7274:                             ;   in Loop: Header=BB4_6234 Depth=4
	v_and_b32_e32 v1, 0x7c, v42
	v_and_b32_e32 v2, 3, v42
	v_cmp_ne_u32_e32 vcc, s85, v1
                                        ; implicit-def: $vgpr1
	s_and_saveexec_b64 s[36:37], vcc
	s_xor_b64 s[36:37], exec, s[36:37]
	s_cbranch_execz .LBB4_7276
; %bb.7275:                             ;   in Loop: Header=BB4_6234 Depth=4
	v_bfe_u32 v1, v16, 2, 5
	v_ffbh_u32_e32 v16, v2
	v_min_u32_e32 v16, 32, v16
	v_mov_b32_e32 v43, v17
	v_subrev_u32_e32 v25, 29, v16
	v_lshlrev_b64 v[25:26], v25, v[42:43]
	v_sub_u32_e32 v16, 30, v16
	v_cmp_eq_u32_e32 vcc, 0, v1
	v_cndmask_b32_e32 v1, v1, v16, vcc
	v_lshlrev_b32_e32 v16, 24, v42
	v_and_b32_e32 v25, 3, v25
	v_and_b32_e32 v16, 0x80000000, v16
	v_cndmask_b32_e32 v2, v2, v25, vcc
	v_lshl_add_u32 v1, v1, 23, v16
	v_lshl_or_b32 v1, v2, 21, v1
	v_add_u32_e32 v1, 0x38000000, v1
                                        ; implicit-def: $vgpr2
                                        ; implicit-def: $vgpr42
.LBB4_7276:                             ;   in Loop: Header=BB4_6234 Depth=4
	s_andn2_saveexec_b64 s[36:37], s[36:37]
; %bb.7277:                             ;   in Loop: Header=BB4_6234 Depth=4
	v_mov_b32_e32 v1, -1
	v_cmp_gt_i16_sdwa vcc, sext(v42), v1 src0_sel:BYTE_0 src1_sel:DWORD
	v_mov_b32_e32 v1, 0xff800000
	v_mov_b32_e32 v16, 0x7f800000
	v_cndmask_b32_e32 v1, v1, v16, vcc
	v_cmp_eq_u32_e32 vcc, 0, v2
	v_mov_b32_e32 v2, 0x7f800001
	v_cndmask_b32_e32 v1, v2, v1, vcc
; %bb.7278:                             ;   in Loop: Header=BB4_6234 Depth=4
	s_or_b64 exec, exec, s[36:37]
.LBB4_7279:                             ;   in Loop: Header=BB4_6234 Depth=4
	s_or_b64 exec, exec, s[34:35]
.LBB4_7280:                             ;   in Loop: Header=BB4_6234 Depth=4
	s_or_b64 exec, exec, s[28:29]
	v_cmp_ne_u16_e32 vcc, 0, v15
	s_and_saveexec_b64 s[28:29], vcc
	s_cbranch_execz .LBB4_7288
; %bb.7281:                             ;   in Loop: Header=BB4_6234 Depth=4
	v_cmp_ne_u16_e32 vcc, s97, v15
	v_bfrev_b32_e32 v0, 1
	s_and_saveexec_b64 s[34:35], vcc
	s_cbranch_execz .LBB4_7287
; %bb.7282:                             ;   in Loop: Header=BB4_6234 Depth=4
	v_and_b32_e32 v0, 0x7c, v15
	v_and_b32_e32 v2, 3, v15
	v_cmp_ne_u32_e32 vcc, s85, v0
                                        ; implicit-def: $vgpr0
	s_and_saveexec_b64 s[36:37], vcc
	s_xor_b64 s[36:37], exec, s[36:37]
	s_cbranch_execz .LBB4_7284
; %bb.7283:                             ;   in Loop: Header=BB4_6234 Depth=4
	v_ffbh_u32_e32 v25, v2
	v_min_u32_e32 v27, 32, v25
	v_and_b32_e32 v0, 0xff, v15
	v_mov_b32_e32 v16, v17
	v_subrev_u32_e32 v25, 29, v27
	v_bfe_u32 v0, v0, 2, 5
	v_lshlrev_b64 v[25:26], v25, v[15:16]
	v_sub_u32_e32 v16, 30, v27
	v_cmp_eq_u32_e32 vcc, 0, v0
	v_and_b32_e32 v25, 3, v25
	v_cndmask_b32_e32 v0, v0, v16, vcc
	v_and_b32_sdwa v15, sext(v15), s86 dst_sel:DWORD dst_unused:UNUSED_PAD src0_sel:WORD_0 src1_sel:DWORD
	v_cndmask_b32_e32 v2, v2, v25, vcc
	v_lshl_add_u32 v0, v0, 23, v15
	v_lshl_or_b32 v0, v2, 21, v0
	v_add_u32_e32 v0, 0x38000000, v0
                                        ; implicit-def: $vgpr2
                                        ; implicit-def: $vgpr15
.LBB4_7284:                             ;   in Loop: Header=BB4_6234 Depth=4
	s_andn2_saveexec_b64 s[36:37], s[36:37]
; %bb.7285:                             ;   in Loop: Header=BB4_6234 Depth=4
	v_cmp_lt_i16_e32 vcc, -1, v15
	v_mov_b32_e32 v0, 0xff800000
	v_mov_b32_e32 v15, 0x7f800000
	v_cndmask_b32_e32 v0, v0, v15, vcc
	v_cmp_eq_u32_e32 vcc, 0, v2
	v_mov_b32_e32 v2, 0x7f800001
	v_cndmask_b32_e32 v0, v2, v0, vcc
; %bb.7286:                             ;   in Loop: Header=BB4_6234 Depth=4
	s_or_b64 exec, exec, s[36:37]
.LBB4_7287:                             ;   in Loop: Header=BB4_6234 Depth=4
	s_or_b64 exec, exec, s[34:35]
.LBB4_7288:                             ;   in Loop: Header=BB4_6234 Depth=4
	s_or_b64 exec, exec, s[28:29]
	v_add_f32_e32 v0, v1, v0
	v_and_b32_e32 v1, 0x7f800000, v0
	v_mov_b32_e32 v2, v17
	v_cmp_ne_u64_e32 vcc, s[76:77], v[1:2]
	v_and_b32_e32 v16, 0x7fffff, v0
                                        ; implicit-def: $vgpr25
	s_and_saveexec_b64 s[28:29], vcc
	s_xor_b64 s[34:35], exec, s[28:29]
	s_cbranch_execz .LBB4_7306
; %bb.7289:                             ;   in Loop: Header=BB4_6234 Depth=4
	v_and_b32_e32 v1, 0x7fffffff, v0
	v_mov_b32_e32 v2, v17
	v_cmp_gt_u64_e32 vcc, s[78:79], v[1:2]
	v_and_b32_sdwa v15, v0, s96 dst_sel:DWORD dst_unused:UNUSED_PAD src0_sel:BYTE_3 src1_sel:DWORD
                                        ; implicit-def: $vgpr25
	s_and_saveexec_b64 s[28:29], vcc
	s_xor_b64 s[36:37], exec, s[28:29]
	s_cbranch_execz .LBB4_7303
; %bb.7290:                             ;   in Loop: Header=BB4_6234 Depth=4
	v_cmp_ne_u32_e32 vcc, 0, v0
	v_mov_b32_e32 v25, 0
	s_and_saveexec_b64 s[38:39], vcc
	s_cbranch_execz .LBB4_7302
; %bb.7291:                             ;   in Loop: Header=BB4_6234 Depth=4
	v_bfe_u32 v25, v0, 23, 8
	v_cmp_gt_u32_e64 s[28:29], s46, v25
	v_sub_u32_e32 v0, 0x71, v25
	v_cmp_eq_u32_e32 vcc, 0, v25
	v_cndmask_b32_e64 v0, 0, v0, s[28:29]
	v_mov_b32_e32 v2, 0x70
	v_cndmask_b32_e32 v26, v0, v2, vcc
	v_add_u32_e32 v2, 21, v26
	v_or_b32_e32 v1, 0x800000, v16
	v_lshlrev_b64 v[27:28], v2, -1
	v_cndmask_b32_e32 v0, v1, v16, vcc
	v_mov_b32_e32 v1, v17
	v_add_u32_e32 v2, 20, v26
	v_bfi_b32 v27, v27, 0, v0
	v_lshlrev_b64 v[29:30], v2, 1
	v_lshrrev_b64 v[0:1], v26, v[0:1]
	v_bfi_b32 v28, v28, 0, 0
	v_cmp_eq_u64_e64 s[28:29], v[27:28], v[29:30]
	v_mov_b32_e32 v2, v1
	v_mov_b32_e32 v1, v0
	s_and_saveexec_b64 s[48:49], s[28:29]
; %bb.7292:                             ;   in Loop: Header=BB4_6234 Depth=4
	v_bfe_u32 v1, v0, 21, 1
	v_add_co_u32_e64 v1, s[28:29], v0, v1
	v_add_co_u32_e64 v1, s[28:29], -1, v1
; %bb.7293:                             ;   in Loop: Header=BB4_6234 Depth=4
	s_or_b64 exec, exec, s[48:49]
	v_add_u32_e32 v2, 0xffffff81, v25
	v_mov_b32_e32 v16, 0xffffff82
	v_cndmask_b32_e32 v2, v2, v16, vcc
	v_lshrrev_b32_e32 v16, 23, v0
	v_add3_u32 v26, v26, v2, v16
	v_add_u32_e32 v25, 14, v26
	v_and_b32_e32 v1, 0x1fffff, v1
	v_add_u32_e32 v16, v1, v0
	v_cmp_ne_u32_e32 vcc, 0, v25
                                        ; implicit-def: $vgpr0_vgpr1
                                        ; implicit-def: $vgpr2
	s_and_saveexec_b64 s[28:29], vcc
	s_xor_b64 s[28:29], exec, s[28:29]
; %bb.7294:                             ;   in Loop: Header=BB4_6234 Depth=4
	v_cmp_lt_u64_e32 vcc, s[88:89], v[16:17]
	v_add_u32_e32 v0, 15, v26
	v_cndmask_b32_e32 v2, v25, v0, vcc
	v_cndmask_b32_e64 v0, 0, 1, vcc
	v_lshrrev_b64 v[0:1], v0, v[16:17]
; %bb.7295:                             ;   in Loop: Header=BB4_6234 Depth=4
	s_andn2_saveexec_b64 s[28:29], s[28:29]
; %bb.7296:                             ;   in Loop: Header=BB4_6234 Depth=4
	v_mov_b32_e32 v0, v16
	v_mov_b32_e32 v1, v17
	v_bfe_u32 v2, v16, 23, 1
; %bb.7297:                             ;   in Loop: Header=BB4_6234 Depth=4
	s_or_b64 exec, exec, s[28:29]
	v_lshrrev_b64 v[0:1], 21, v[0:1]
	v_cmp_gt_i32_e32 vcc, 32, v2
	v_cndmask_b32_e32 v1, 0, v1, vcc
	v_cndmask_b32_e32 v0, 3, v0, vcc
	v_cmp_ne_u64_e32 vcc, 0, v[0:1]
	v_cmp_ne_u32_e64 s[28:29], 0, v2
	s_or_b64 s[28:29], s[28:29], vcc
                                        ; implicit-def: $vgpr25
	s_and_saveexec_b64 vcc, s[28:29]
	s_xor_b64 s[28:29], exec, vcc
; %bb.7298:                             ;   in Loop: Header=BB4_6234 Depth=4
	v_min_i32_e32 v1, 31, v2
	v_lshl_or_b32 v1, v1, 2, v15
	v_and_or_b32 v25, v0, 3, v1
                                        ; implicit-def: $vgpr15
; %bb.7299:                             ;   in Loop: Header=BB4_6234 Depth=4
	s_andn2_saveexec_b64 s[28:29], s[28:29]
; %bb.7300:                             ;   in Loop: Header=BB4_6234 Depth=4
	v_mov_b32_e32 v25, v15
; %bb.7301:                             ;   in Loop: Header=BB4_6234 Depth=4
	s_or_b64 exec, exec, s[28:29]
.LBB4_7302:                             ;   in Loop: Header=BB4_6234 Depth=4
	s_or_b64 exec, exec, s[38:39]
                                        ; implicit-def: $vgpr15
.LBB4_7303:                             ;   in Loop: Header=BB4_6234 Depth=4
	s_andn2_saveexec_b64 s[28:29], s[36:37]
; %bb.7304:                             ;   in Loop: Header=BB4_6234 Depth=4
	v_or_b32_e32 v25, 0x7b, v15
; %bb.7305:                             ;   in Loop: Header=BB4_6234 Depth=4
	s_or_b64 exec, exec, s[28:29]
                                        ; implicit-def: $vgpr0
.LBB4_7306:                             ;   in Loop: Header=BB4_6234 Depth=4
	s_andn2_saveexec_b64 s[28:29], s[34:35]
	s_cbranch_execz .LBB4_7312
; %bb.7307:                             ;   in Loop: Header=BB4_6234 Depth=4
	v_cmp_ne_u64_e32 vcc, 0, v[16:17]
                                        ; implicit-def: $vgpr25
	s_and_saveexec_b64 s[34:35], vcc
	s_xor_b64 vcc, exec, s[34:35]
; %bb.7308:                             ;   in Loop: Header=BB4_6234 Depth=4
	v_or_b32_sdwa v25, v0, s47 dst_sel:DWORD dst_unused:UNUSED_PAD src0_sel:BYTE_3 src1_sel:DWORD
                                        ; implicit-def: $vgpr0
; %bb.7309:                             ;   in Loop: Header=BB4_6234 Depth=4
	s_andn2_saveexec_b64 s[34:35], vcc
; %bb.7310:                             ;   in Loop: Header=BB4_6234 Depth=4
	v_cmp_lt_i32_e32 vcc, -1, v0
	v_cndmask_b32_e32 v25, -4, v52, vcc
; %bb.7311:                             ;   in Loop: Header=BB4_6234 Depth=4
	s_or_b64 exec, exec, s[34:35]
.LBB4_7312:                             ;   in Loop: Header=BB4_6234 Depth=4
	s_or_b64 exec, exec, s[28:29]
	v_and_b32_e32 v15, 0xff, v41
	v_cmp_ne_u16_e32 vcc, 0, v15
	v_mov_b32_e32 v0, 0
	v_mov_b32_e32 v1, 0
	s_and_saveexec_b64 s[28:29], vcc
	s_cbranch_execz .LBB4_7320
; %bb.7313:                             ;   in Loop: Header=BB4_6234 Depth=4
	v_cmp_ne_u16_e32 vcc, s96, v15
	v_bfrev_b32_e32 v1, 1
	s_and_saveexec_b64 s[34:35], vcc
	s_cbranch_execz .LBB4_7319
; %bb.7314:                             ;   in Loop: Header=BB4_6234 Depth=4
	v_and_b32_e32 v1, 0x7c, v41
	v_and_b32_e32 v2, 3, v41
	v_cmp_ne_u32_e32 vcc, s85, v1
                                        ; implicit-def: $vgpr1
	s_and_saveexec_b64 s[36:37], vcc
	s_xor_b64 s[36:37], exec, s[36:37]
	s_cbranch_execz .LBB4_7316
; %bb.7315:                             ;   in Loop: Header=BB4_6234 Depth=4
	v_bfe_u32 v1, v15, 2, 5
	v_ffbh_u32_e32 v15, v2
	v_min_u32_e32 v26, 32, v15
	v_mov_b32_e32 v42, v17
	v_subrev_u32_e32 v15, 29, v26
	v_lshlrev_b64 v[15:16], v15, v[41:42]
	v_cmp_eq_u32_e32 vcc, 0, v1
	v_and_b32_e32 v15, 3, v15
	v_sub_u32_e32 v16, 30, v26
	v_cndmask_b32_e32 v2, v2, v15, vcc
	v_lshlrev_b32_e32 v15, 24, v41
	v_cndmask_b32_e32 v1, v1, v16, vcc
	v_and_b32_e32 v15, 0x80000000, v15
	v_lshl_add_u32 v1, v1, 23, v15
	v_lshl_or_b32 v1, v2, 21, v1
	v_add_u32_e32 v1, 0x38000000, v1
                                        ; implicit-def: $vgpr2
                                        ; implicit-def: $vgpr41
.LBB4_7316:                             ;   in Loop: Header=BB4_6234 Depth=4
	s_andn2_saveexec_b64 s[36:37], s[36:37]
; %bb.7317:                             ;   in Loop: Header=BB4_6234 Depth=4
	v_mov_b32_e32 v1, -1
	v_cmp_gt_i16_sdwa vcc, sext(v41), v1 src0_sel:BYTE_0 src1_sel:DWORD
	v_mov_b32_e32 v1, 0xff800000
	v_mov_b32_e32 v15, 0x7f800000
	v_cndmask_b32_e32 v1, v1, v15, vcc
	v_cmp_eq_u32_e32 vcc, 0, v2
	v_mov_b32_e32 v2, 0x7f800001
	v_cndmask_b32_e32 v1, v2, v1, vcc
; %bb.7318:                             ;   in Loop: Header=BB4_6234 Depth=4
	s_or_b64 exec, exec, s[36:37]
.LBB4_7319:                             ;   in Loop: Header=BB4_6234 Depth=4
	s_or_b64 exec, exec, s[34:35]
.LBB4_7320:                             ;   in Loop: Header=BB4_6234 Depth=4
	s_or_b64 exec, exec, s[28:29]
	v_cmp_ne_u16_e32 vcc, 0, v56
	s_and_saveexec_b64 s[28:29], vcc
	s_cbranch_execz .LBB4_7328
; %bb.7321:                             ;   in Loop: Header=BB4_6234 Depth=4
	v_cmp_ne_u16_e32 vcc, s97, v56
	v_bfrev_b32_e32 v0, 1
	s_and_saveexec_b64 s[34:35], vcc
	s_cbranch_execz .LBB4_7327
; %bb.7322:                             ;   in Loop: Header=BB4_6234 Depth=4
	v_and_b32_e32 v0, 0x7c, v56
	v_and_b32_e32 v2, 3, v56
	v_cmp_ne_u32_e32 vcc, s85, v0
                                        ; implicit-def: $vgpr0
	s_and_saveexec_b64 s[36:37], vcc
	s_xor_b64 s[36:37], exec, s[36:37]
	s_cbranch_execz .LBB4_7324
; %bb.7323:                             ;   in Loop: Header=BB4_6234 Depth=4
	v_ffbh_u32_e32 v15, v2
	v_min_u32_e32 v26, 32, v15
	v_mov_b32_e32 v57, v17
	v_subrev_u32_e32 v15, 29, v26
	v_and_b32_e32 v0, 0xff, v56
	v_lshlrev_b64 v[15:16], v15, v[56:57]
	v_bfe_u32 v0, v0, 2, 5
	v_sub_u32_e32 v16, 30, v26
	v_and_b32_e32 v15, 3, v15
	v_cmp_eq_u32_e32 vcc, 0, v0
	v_cndmask_b32_e32 v0, v0, v16, vcc
	v_cndmask_b32_e32 v2, v2, v15, vcc
	v_and_b32_sdwa v15, sext(v56), s86 dst_sel:DWORD dst_unused:UNUSED_PAD src0_sel:WORD_0 src1_sel:DWORD
	v_lshl_add_u32 v0, v0, 23, v15
	v_lshl_or_b32 v0, v2, 21, v0
	v_add_u32_e32 v0, 0x38000000, v0
                                        ; implicit-def: $vgpr2
                                        ; implicit-def: $vgpr56
.LBB4_7324:                             ;   in Loop: Header=BB4_6234 Depth=4
	s_andn2_saveexec_b64 s[36:37], s[36:37]
; %bb.7325:                             ;   in Loop: Header=BB4_6234 Depth=4
	v_cmp_lt_i16_e32 vcc, -1, v56
	v_mov_b32_e32 v0, 0xff800000
	v_mov_b32_e32 v15, 0x7f800000
	v_cndmask_b32_e32 v0, v0, v15, vcc
	v_cmp_eq_u32_e32 vcc, 0, v2
	v_mov_b32_e32 v2, 0x7f800001
	v_cndmask_b32_e32 v0, v2, v0, vcc
; %bb.7326:                             ;   in Loop: Header=BB4_6234 Depth=4
	s_or_b64 exec, exec, s[36:37]
.LBB4_7327:                             ;   in Loop: Header=BB4_6234 Depth=4
	s_or_b64 exec, exec, s[34:35]
.LBB4_7328:                             ;   in Loop: Header=BB4_6234 Depth=4
	s_or_b64 exec, exec, s[28:29]
	v_add_f32_e32 v0, v1, v0
	v_and_b32_e32 v1, 0x7f800000, v0
	v_mov_b32_e32 v2, v17
	v_cmp_ne_u64_e32 vcc, s[76:77], v[1:2]
	v_and_b32_e32 v16, 0x7fffff, v0
                                        ; implicit-def: $vgpr26
	s_and_saveexec_b64 s[28:29], vcc
	s_xor_b64 s[34:35], exec, s[28:29]
	s_cbranch_execz .LBB4_7346
; %bb.7329:                             ;   in Loop: Header=BB4_6234 Depth=4
	v_and_b32_e32 v1, 0x7fffffff, v0
	v_mov_b32_e32 v2, v17
	v_cmp_gt_u64_e32 vcc, s[78:79], v[1:2]
	v_and_b32_sdwa v15, v0, s96 dst_sel:DWORD dst_unused:UNUSED_PAD src0_sel:BYTE_3 src1_sel:DWORD
                                        ; implicit-def: $vgpr26
	s_and_saveexec_b64 s[28:29], vcc
	s_xor_b64 s[36:37], exec, s[28:29]
	s_cbranch_execz .LBB4_7343
; %bb.7330:                             ;   in Loop: Header=BB4_6234 Depth=4
	v_cmp_ne_u32_e32 vcc, 0, v0
	v_mov_b32_e32 v26, 0
	s_and_saveexec_b64 s[38:39], vcc
	s_cbranch_execz .LBB4_7342
; %bb.7331:                             ;   in Loop: Header=BB4_6234 Depth=4
	v_bfe_u32 v26, v0, 23, 8
	v_cmp_gt_u32_e64 s[28:29], s46, v26
	v_sub_u32_e32 v0, 0x71, v26
	v_cmp_eq_u32_e32 vcc, 0, v26
	v_cndmask_b32_e64 v0, 0, v0, s[28:29]
	v_mov_b32_e32 v2, 0x70
	v_cndmask_b32_e32 v27, v0, v2, vcc
	v_add_u32_e32 v2, 21, v27
	v_or_b32_e32 v1, 0x800000, v16
	v_lshlrev_b64 v[28:29], v2, -1
	v_cndmask_b32_e32 v0, v1, v16, vcc
	v_mov_b32_e32 v1, v17
	v_add_u32_e32 v2, 20, v27
	v_bfi_b32 v28, v28, 0, v0
	v_lshlrev_b64 v[30:31], v2, 1
	v_lshrrev_b64 v[0:1], v27, v[0:1]
	v_bfi_b32 v29, v29, 0, 0
	v_cmp_eq_u64_e64 s[28:29], v[28:29], v[30:31]
	v_mov_b32_e32 v2, v1
	v_mov_b32_e32 v1, v0
	s_and_saveexec_b64 s[48:49], s[28:29]
; %bb.7332:                             ;   in Loop: Header=BB4_6234 Depth=4
	v_bfe_u32 v1, v0, 21, 1
	v_add_co_u32_e64 v1, s[28:29], v0, v1
	v_add_co_u32_e64 v1, s[28:29], -1, v1
; %bb.7333:                             ;   in Loop: Header=BB4_6234 Depth=4
	s_or_b64 exec, exec, s[48:49]
	v_add_u32_e32 v2, 0xffffff81, v26
	v_mov_b32_e32 v16, 0xffffff82
	v_cndmask_b32_e32 v2, v2, v16, vcc
	v_lshrrev_b32_e32 v16, 23, v0
	v_add3_u32 v27, v27, v2, v16
	v_add_u32_e32 v26, 14, v27
	v_and_b32_e32 v1, 0x1fffff, v1
	v_add_u32_e32 v16, v1, v0
	v_cmp_ne_u32_e32 vcc, 0, v26
                                        ; implicit-def: $vgpr0_vgpr1
                                        ; implicit-def: $vgpr2
	s_and_saveexec_b64 s[28:29], vcc
	s_xor_b64 s[28:29], exec, s[28:29]
; %bb.7334:                             ;   in Loop: Header=BB4_6234 Depth=4
	v_cmp_lt_u64_e32 vcc, s[88:89], v[16:17]
	v_add_u32_e32 v0, 15, v27
	v_cndmask_b32_e32 v2, v26, v0, vcc
	v_cndmask_b32_e64 v0, 0, 1, vcc
	v_lshrrev_b64 v[0:1], v0, v[16:17]
; %bb.7335:                             ;   in Loop: Header=BB4_6234 Depth=4
	s_andn2_saveexec_b64 s[28:29], s[28:29]
; %bb.7336:                             ;   in Loop: Header=BB4_6234 Depth=4
	v_mov_b32_e32 v0, v16
	v_mov_b32_e32 v1, v17
	v_bfe_u32 v2, v16, 23, 1
; %bb.7337:                             ;   in Loop: Header=BB4_6234 Depth=4
	s_or_b64 exec, exec, s[28:29]
	v_lshrrev_b64 v[0:1], 21, v[0:1]
	v_cmp_gt_i32_e32 vcc, 32, v2
	v_cndmask_b32_e32 v1, 0, v1, vcc
	v_cndmask_b32_e32 v0, 3, v0, vcc
	v_cmp_ne_u64_e32 vcc, 0, v[0:1]
	v_cmp_ne_u32_e64 s[28:29], 0, v2
	s_or_b64 s[28:29], s[28:29], vcc
                                        ; implicit-def: $vgpr26
	s_and_saveexec_b64 vcc, s[28:29]
	s_xor_b64 s[28:29], exec, vcc
; %bb.7338:                             ;   in Loop: Header=BB4_6234 Depth=4
	v_min_i32_e32 v1, 31, v2
	v_lshl_or_b32 v1, v1, 2, v15
	v_and_or_b32 v26, v0, 3, v1
                                        ; implicit-def: $vgpr15
; %bb.7339:                             ;   in Loop: Header=BB4_6234 Depth=4
	s_andn2_saveexec_b64 s[28:29], s[28:29]
; %bb.7340:                             ;   in Loop: Header=BB4_6234 Depth=4
	v_mov_b32_e32 v26, v15
; %bb.7341:                             ;   in Loop: Header=BB4_6234 Depth=4
	s_or_b64 exec, exec, s[28:29]
.LBB4_7342:                             ;   in Loop: Header=BB4_6234 Depth=4
	s_or_b64 exec, exec, s[38:39]
                                        ; implicit-def: $vgpr15
.LBB4_7343:                             ;   in Loop: Header=BB4_6234 Depth=4
	s_andn2_saveexec_b64 s[28:29], s[36:37]
; %bb.7344:                             ;   in Loop: Header=BB4_6234 Depth=4
	v_or_b32_e32 v26, 0x7b, v15
; %bb.7345:                             ;   in Loop: Header=BB4_6234 Depth=4
	s_or_b64 exec, exec, s[28:29]
                                        ; implicit-def: $vgpr0
.LBB4_7346:                             ;   in Loop: Header=BB4_6234 Depth=4
	s_andn2_saveexec_b64 s[28:29], s[34:35]
	s_cbranch_execz .LBB4_7352
; %bb.7347:                             ;   in Loop: Header=BB4_6234 Depth=4
	v_cmp_ne_u64_e32 vcc, 0, v[16:17]
                                        ; implicit-def: $vgpr26
	s_and_saveexec_b64 s[34:35], vcc
	s_xor_b64 vcc, exec, s[34:35]
; %bb.7348:                             ;   in Loop: Header=BB4_6234 Depth=4
	v_or_b32_sdwa v26, v0, s47 dst_sel:DWORD dst_unused:UNUSED_PAD src0_sel:BYTE_3 src1_sel:DWORD
                                        ; implicit-def: $vgpr0
; %bb.7349:                             ;   in Loop: Header=BB4_6234 Depth=4
	s_andn2_saveexec_b64 s[34:35], vcc
; %bb.7350:                             ;   in Loop: Header=BB4_6234 Depth=4
	v_cmp_lt_i32_e32 vcc, -1, v0
	v_cndmask_b32_e32 v26, -4, v52, vcc
; %bb.7351:                             ;   in Loop: Header=BB4_6234 Depth=4
	s_or_b64 exec, exec, s[34:35]
.LBB4_7352:                             ;   in Loop: Header=BB4_6234 Depth=4
	s_or_b64 exec, exec, s[28:29]
	v_and_b32_e32 v16, 0xff, v14
	v_cmp_ne_u16_e32 vcc, 0, v16
	v_mov_b32_e32 v0, 0
	v_mov_b32_e32 v1, 0
	s_and_saveexec_b64 s[28:29], vcc
	s_cbranch_execz .LBB4_7360
; %bb.7353:                             ;   in Loop: Header=BB4_6234 Depth=4
	v_cmp_ne_u16_e32 vcc, s96, v16
	v_bfrev_b32_e32 v1, 1
	s_and_saveexec_b64 s[34:35], vcc
	s_cbranch_execz .LBB4_7359
; %bb.7354:                             ;   in Loop: Header=BB4_6234 Depth=4
	v_and_b32_e32 v1, 0x7c, v14
	v_and_b32_e32 v2, 3, v14
	v_cmp_ne_u32_e32 vcc, s85, v1
                                        ; implicit-def: $vgpr1
	s_and_saveexec_b64 s[36:37], vcc
	s_xor_b64 s[36:37], exec, s[36:37]
	s_cbranch_execz .LBB4_7356
; %bb.7355:                             ;   in Loop: Header=BB4_6234 Depth=4
	v_bfe_u32 v1, v16, 2, 5
	v_ffbh_u32_e32 v16, v2
	v_min_u32_e32 v27, 32, v16
	v_mov_b32_e32 v15, v17
	v_subrev_u32_e32 v16, 29, v27
	v_lshlrev_b64 v[15:16], v16, v[14:15]
	v_sub_u32_e32 v16, 30, v27
	v_cmp_eq_u32_e32 vcc, 0, v1
	v_lshlrev_b32_e32 v14, 24, v14
	v_and_b32_e32 v15, 3, v15
	v_cndmask_b32_e32 v1, v1, v16, vcc
	v_and_b32_e32 v14, 0x80000000, v14
	v_cndmask_b32_e32 v2, v2, v15, vcc
	v_lshl_add_u32 v1, v1, 23, v14
	v_lshl_or_b32 v1, v2, 21, v1
	v_add_u32_e32 v1, 0x38000000, v1
                                        ; implicit-def: $vgpr2
                                        ; implicit-def: $vgpr14
.LBB4_7356:                             ;   in Loop: Header=BB4_6234 Depth=4
	s_andn2_saveexec_b64 s[36:37], s[36:37]
; %bb.7357:                             ;   in Loop: Header=BB4_6234 Depth=4
	v_mov_b32_e32 v1, -1
	v_cmp_gt_i16_sdwa vcc, sext(v14), v1 src0_sel:BYTE_0 src1_sel:DWORD
	v_mov_b32_e32 v1, 0xff800000
	v_mov_b32_e32 v14, 0x7f800000
	v_cndmask_b32_e32 v1, v1, v14, vcc
	v_cmp_eq_u32_e32 vcc, 0, v2
	v_mov_b32_e32 v2, 0x7f800001
	v_cndmask_b32_e32 v1, v2, v1, vcc
; %bb.7358:                             ;   in Loop: Header=BB4_6234 Depth=4
	s_or_b64 exec, exec, s[36:37]
.LBB4_7359:                             ;   in Loop: Header=BB4_6234 Depth=4
	s_or_b64 exec, exec, s[34:35]
.LBB4_7360:                             ;   in Loop: Header=BB4_6234 Depth=4
	s_or_b64 exec, exec, s[28:29]
	v_cmp_ne_u16_e32 vcc, 0, v40
	s_and_saveexec_b64 s[28:29], vcc
	s_cbranch_execz .LBB4_7368
; %bb.7361:                             ;   in Loop: Header=BB4_6234 Depth=4
	v_cmp_ne_u16_e32 vcc, s97, v40
	v_bfrev_b32_e32 v0, 1
	s_and_saveexec_b64 s[34:35], vcc
	s_cbranch_execz .LBB4_7367
; %bb.7362:                             ;   in Loop: Header=BB4_6234 Depth=4
	v_and_b32_e32 v0, 0x7c, v40
	v_and_b32_e32 v2, 3, v40
	v_cmp_ne_u32_e32 vcc, s85, v0
                                        ; implicit-def: $vgpr0
	s_and_saveexec_b64 s[36:37], vcc
	s_xor_b64 s[36:37], exec, s[36:37]
	s_cbranch_execz .LBB4_7364
; %bb.7363:                             ;   in Loop: Header=BB4_6234 Depth=4
	v_ffbh_u32_e32 v14, v2
	v_min_u32_e32 v16, 32, v14
	v_mov_b32_e32 v41, v17
	v_subrev_u32_e32 v14, 29, v16
	v_and_b32_e32 v0, 0xff, v40
	v_lshlrev_b64 v[14:15], v14, v[40:41]
	v_bfe_u32 v0, v0, 2, 5
	v_sub_u32_e32 v15, 30, v16
	v_and_b32_e32 v14, 3, v14
	v_cmp_eq_u32_e32 vcc, 0, v0
	v_cndmask_b32_e32 v0, v0, v15, vcc
	v_cndmask_b32_e32 v2, v2, v14, vcc
	v_and_b32_sdwa v14, sext(v40), s86 dst_sel:DWORD dst_unused:UNUSED_PAD src0_sel:WORD_0 src1_sel:DWORD
	v_lshl_add_u32 v0, v0, 23, v14
	v_lshl_or_b32 v0, v2, 21, v0
	v_add_u32_e32 v0, 0x38000000, v0
                                        ; implicit-def: $vgpr2
                                        ; implicit-def: $vgpr40
.LBB4_7364:                             ;   in Loop: Header=BB4_6234 Depth=4
	s_andn2_saveexec_b64 s[36:37], s[36:37]
; %bb.7365:                             ;   in Loop: Header=BB4_6234 Depth=4
	v_cmp_lt_i16_e32 vcc, -1, v40
	v_mov_b32_e32 v0, 0xff800000
	v_mov_b32_e32 v14, 0x7f800000
	v_cndmask_b32_e32 v0, v0, v14, vcc
	v_cmp_eq_u32_e32 vcc, 0, v2
	v_mov_b32_e32 v2, 0x7f800001
	v_cndmask_b32_e32 v0, v2, v0, vcc
; %bb.7366:                             ;   in Loop: Header=BB4_6234 Depth=4
	s_or_b64 exec, exec, s[36:37]
.LBB4_7367:                             ;   in Loop: Header=BB4_6234 Depth=4
	s_or_b64 exec, exec, s[34:35]
.LBB4_7368:                             ;   in Loop: Header=BB4_6234 Depth=4
	s_or_b64 exec, exec, s[28:29]
	v_add_f32_e32 v0, v1, v0
	v_and_b32_e32 v1, 0x7f800000, v0
	v_mov_b32_e32 v2, v17
	v_cmp_ne_u64_e32 vcc, s[76:77], v[1:2]
	v_and_b32_e32 v16, 0x7fffff, v0
                                        ; implicit-def: $vgpr1
	s_and_saveexec_b64 s[28:29], vcc
	s_xor_b64 s[34:35], exec, s[28:29]
	s_cbranch_execz .LBB4_7386
; %bb.7369:                             ;   in Loop: Header=BB4_6234 Depth=4
	v_and_b32_e32 v1, 0x7fffffff, v0
	v_mov_b32_e32 v2, v17
	v_cmp_gt_u64_e32 vcc, s[78:79], v[1:2]
	v_and_b32_sdwa v14, v0, s96 dst_sel:DWORD dst_unused:UNUSED_PAD src0_sel:BYTE_3 src1_sel:DWORD
                                        ; implicit-def: $vgpr1
	s_and_saveexec_b64 s[28:29], vcc
	s_xor_b64 s[36:37], exec, s[28:29]
	s_cbranch_execz .LBB4_7383
; %bb.7370:                             ;   in Loop: Header=BB4_6234 Depth=4
	v_cmp_ne_u32_e32 vcc, 0, v0
	v_mov_b32_e32 v1, 0
	s_and_saveexec_b64 s[38:39], vcc
	s_cbranch_execz .LBB4_7382
; %bb.7371:                             ;   in Loop: Header=BB4_6234 Depth=4
	v_bfe_u32 v15, v0, 23, 8
	v_cmp_gt_u32_e64 s[28:29], s46, v15
	v_sub_u32_e32 v0, 0x71, v15
	v_cmp_eq_u32_e32 vcc, 0, v15
	v_cndmask_b32_e64 v0, 0, v0, s[28:29]
	v_mov_b32_e32 v2, 0x70
	v_cndmask_b32_e32 v27, v0, v2, vcc
	v_add_u32_e32 v2, 21, v27
	v_or_b32_e32 v1, 0x800000, v16
	v_lshlrev_b64 v[28:29], v2, -1
	v_cndmask_b32_e32 v0, v1, v16, vcc
	v_mov_b32_e32 v1, v17
	v_add_u32_e32 v2, 20, v27
	v_bfi_b32 v28, v28, 0, v0
	v_lshlrev_b64 v[30:31], v2, 1
	v_lshrrev_b64 v[0:1], v27, v[0:1]
	v_bfi_b32 v29, v29, 0, 0
	v_cmp_eq_u64_e64 s[28:29], v[28:29], v[30:31]
	v_mov_b32_e32 v2, v1
	v_mov_b32_e32 v1, v0
	s_and_saveexec_b64 s[48:49], s[28:29]
; %bb.7372:                             ;   in Loop: Header=BB4_6234 Depth=4
	v_bfe_u32 v1, v0, 21, 1
	v_add_co_u32_e64 v1, s[28:29], v0, v1
	v_add_co_u32_e64 v1, s[28:29], -1, v1
; %bb.7373:                             ;   in Loop: Header=BB4_6234 Depth=4
	s_or_b64 exec, exec, s[48:49]
	v_add_u32_e32 v2, 0xffffff81, v15
	v_mov_b32_e32 v15, 0xffffff82
	v_cndmask_b32_e32 v2, v2, v15, vcc
	v_lshrrev_b32_e32 v15, 23, v0
	v_add3_u32 v27, v27, v2, v15
	v_add_u32_e32 v15, 14, v27
	v_and_b32_e32 v1, 0x1fffff, v1
	v_add_u32_e32 v16, v1, v0
	v_cmp_ne_u32_e32 vcc, 0, v15
                                        ; implicit-def: $vgpr0_vgpr1
                                        ; implicit-def: $vgpr2
	s_and_saveexec_b64 s[28:29], vcc
	s_xor_b64 s[28:29], exec, s[28:29]
; %bb.7374:                             ;   in Loop: Header=BB4_6234 Depth=4
	v_cmp_lt_u64_e32 vcc, s[88:89], v[16:17]
	v_add_u32_e32 v0, 15, v27
	v_cndmask_b32_e32 v2, v15, v0, vcc
	v_cndmask_b32_e64 v0, 0, 1, vcc
	v_lshrrev_b64 v[0:1], v0, v[16:17]
; %bb.7375:                             ;   in Loop: Header=BB4_6234 Depth=4
	s_andn2_saveexec_b64 s[28:29], s[28:29]
; %bb.7376:                             ;   in Loop: Header=BB4_6234 Depth=4
	v_mov_b32_e32 v0, v16
	v_mov_b32_e32 v1, v17
	v_bfe_u32 v2, v16, 23, 1
; %bb.7377:                             ;   in Loop: Header=BB4_6234 Depth=4
	s_or_b64 exec, exec, s[28:29]
	v_lshrrev_b64 v[0:1], 21, v[0:1]
	v_cmp_gt_i32_e32 vcc, 32, v2
	v_cndmask_b32_e32 v1, 0, v1, vcc
	v_cndmask_b32_e32 v0, 3, v0, vcc
	v_cmp_ne_u64_e32 vcc, 0, v[0:1]
	v_cmp_ne_u32_e64 s[28:29], 0, v2
	s_or_b64 s[28:29], s[28:29], vcc
                                        ; implicit-def: $vgpr1
	s_and_saveexec_b64 vcc, s[28:29]
	s_xor_b64 s[28:29], exec, vcc
; %bb.7378:                             ;   in Loop: Header=BB4_6234 Depth=4
	v_min_i32_e32 v1, 31, v2
	v_lshl_or_b32 v1, v1, 2, v14
	v_and_or_b32 v1, v0, 3, v1
                                        ; implicit-def: $vgpr14
; %bb.7379:                             ;   in Loop: Header=BB4_6234 Depth=4
	s_andn2_saveexec_b64 s[28:29], s[28:29]
; %bb.7380:                             ;   in Loop: Header=BB4_6234 Depth=4
	v_mov_b32_e32 v1, v14
; %bb.7381:                             ;   in Loop: Header=BB4_6234 Depth=4
	s_or_b64 exec, exec, s[28:29]
.LBB4_7382:                             ;   in Loop: Header=BB4_6234 Depth=4
	s_or_b64 exec, exec, s[38:39]
                                        ; implicit-def: $vgpr14
.LBB4_7383:                             ;   in Loop: Header=BB4_6234 Depth=4
	s_andn2_saveexec_b64 s[28:29], s[36:37]
; %bb.7384:                             ;   in Loop: Header=BB4_6234 Depth=4
	v_or_b32_e32 v1, 0x7b, v14
; %bb.7385:                             ;   in Loop: Header=BB4_6234 Depth=4
	s_or_b64 exec, exec, s[28:29]
                                        ; implicit-def: $vgpr0
.LBB4_7386:                             ;   in Loop: Header=BB4_6234 Depth=4
	s_andn2_saveexec_b64 s[28:29], s[34:35]
	s_cbranch_execz .LBB4_6233
; %bb.7387:                             ;   in Loop: Header=BB4_6234 Depth=4
	v_cmp_ne_u64_e32 vcc, 0, v[16:17]
                                        ; implicit-def: $vgpr1
	s_and_saveexec_b64 s[34:35], vcc
	s_xor_b64 vcc, exec, s[34:35]
; %bb.7388:                             ;   in Loop: Header=BB4_6234 Depth=4
	v_or_b32_sdwa v1, v0, s47 dst_sel:DWORD dst_unused:UNUSED_PAD src0_sel:BYTE_3 src1_sel:DWORD
                                        ; implicit-def: $vgpr0
; %bb.7389:                             ;   in Loop: Header=BB4_6234 Depth=4
	s_andn2_saveexec_b64 s[34:35], vcc
	s_cbranch_execz .LBB4_6232
; %bb.7390:                             ;   in Loop: Header=BB4_6234 Depth=4
	v_cmp_lt_i32_e32 vcc, -1, v0
	v_cndmask_b32_e32 v1, -4, v52, vcc
	s_branch .LBB4_6232
.LBB4_7391:                             ;   in Loop: Header=BB4_3084 Depth=3
	s_or_b64 exec, exec, s[30:31]
	buffer_load_dword v6, off, s[0:3], s33 offset:228 ; 4-byte Folded Reload
	buffer_load_dword v7, off, s[0:3], s33 offset:236 ; 4-byte Folded Reload
	buffer_load_dword v2, off, s[0:3], s33 offset:244 ; 4-byte Folded Reload
	buffer_load_dword v3, off, s[0:3], s33 offset:248 ; 4-byte Folded Reload
	buffer_load_dword v1, off, s[0:3], s33 offset:252 ; 4-byte Folded Reload
.LBB4_7392:                             ;   in Loop: Header=BB4_3084 Depth=3
	s_or_b64 exec, exec, s[42:43]
	s_waitcnt vmcnt(0)
	v_lshlrev_b32_e32 v0, 10, v1
	v_cmp_ne_u32_e32 vcc, v7, v0
	s_and_b64 exec, exec, vcc
	s_cbranch_execz .LBB4_7474
; %bb.7393:                             ;   in Loop: Header=BB4_3084 Depth=3
	v_lshlrev_b32_e32 v1, 6, v3
	v_sub_u32_e32 v1, v2, v1
	v_lshlrev_b32_e32 v2, 6, v23
	v_sub_u32_e32 v1, v1, v2
	v_add_u32_e32 v0, v0, v1
	v_sub_u32_e32 v10, v7, v0
	v_cmp_lt_i32_e32 vcc, 0, v10
	s_and_b64 exec, exec, vcc
	s_cbranch_execz .LBB4_7474
; %bb.7394:                             ;   in Loop: Header=BB4_3084 Depth=3
	v_add_u32_e32 v6, v0, v6
	s_trap 2
	ds_read_b128 v[0:3], v0
	v_ashrrev_i32_e32 v7, 31, v6
	s_mov_b64 s[42:43], 0
	s_waitcnt lgkmcnt(0)
	v_add_co_u32_e32 v0, vcc, v0, v6
	ds_read_b64 v[4:5], v0
	v_addc_co_u32_e32 v1, vcc, v1, v7, vcc
	v_add_co_u32_e32 v2, vcc, v2, v6
	v_addc_co_u32_e32 v3, vcc, v3, v7, vcc
	s_waitcnt lgkmcnt(0)
	v_add_co_u32_e32 v4, vcc, v4, v6
	v_addc_co_u32_e32 v5, vcc, v5, v7, vcc
	s_branch .LBB4_7397
.LBB4_7395:                             ;   in Loop: Header=BB4_7397 Depth=4
	s_or_b64 exec, exec, s[30:31]
.LBB4_7396:                             ;   in Loop: Header=BB4_7397 Depth=4
	s_or_b64 exec, exec, s[28:29]
	buffer_load_dword v6, off, s[0:3], s33 offset:108 ; 4-byte Folded Reload
	s_waitcnt vmcnt(0)
	v_add_co_u32_e32 v0, vcc, v0, v6
	v_addc_co_u32_e32 v1, vcc, 0, v1, vcc
	v_add_co_u32_e32 v2, vcc, v2, v6
	v_addc_co_u32_e32 v3, vcc, 0, v3, vcc
	v_sub_u32_e32 v10, v10, v6
	v_cmp_gt_i32_e32 vcc, 1, v10
	flat_store_byte v[4:5], v7 glc slc
	s_or_b64 s[42:43], vcc, s[42:43]
	v_add_co_u32_e32 v4, vcc, v4, v6
	v_addc_co_u32_e32 v5, vcc, 0, v5, vcc
	s_andn2_b64 exec, exec, s[42:43]
	s_cbranch_execz .LBB4_7474
.LBB4_7397:                             ;   Parent Loop BB4_47 Depth=1
                                        ;     Parent Loop BB4_3081 Depth=2
                                        ;       Parent Loop BB4_3084 Depth=3
                                        ; =>      This Inner Loop Header: Depth=4
	s_trap 2
	ds_read_b64 v[6:7], v0
	v_mov_b32_e32 v8, 0
	s_waitcnt lgkmcnt(0)
	v_cmp_eq_u32_sdwa vcc, v6, v17 src0_sel:BYTE_0 src1_sel:DWORD
	v_readfirstlane_b32 s28, v6
	v_readfirstlane_b32 s29, v7
	v_mov_b32_e32 v7, 0
	s_and_b64 vcc, exec, vcc
	s_cbranch_vccnz .LBB4_7403
; %bb.7398:                             ;   in Loop: Header=BB4_7397 Depth=4
	s_bfe_i32 s31, s28, 0x80000
	s_and_b32 vcc_lo, 0xffff, s31
	s_cmpk_eq_u32 vcc_lo, 0xff80
	v_bfrev_b32_e32 v8, 1
	s_cbranch_scc1 .LBB4_7403
; %bb.7399:                             ;   in Loop: Header=BB4_7397 Depth=4
	s_and_b32 s30, s28, 3
	s_and_b32 s34, s28, 0x7c
	s_mov_b64 vcc, -1
	s_cmpk_lg_i32 s34, 0x7c
	s_sext_i32_i16 s31, s31
                                        ; implicit-def: $sgpr34
	s_cbranch_scc0 .LBB4_7401
; %bb.7400:                             ;   in Loop: Header=BB4_7397 Depth=4
	s_flbit_i32_b32 vcc_hi, s30
	s_min_u32 vcc_hi, vcc_hi, 32
	s_sub_i32 s34, vcc_hi, 29
	s_bfe_u32 vcc_lo, s28, 0x50002
	s_lshl_b64 s[28:29], s[28:29], s34
	s_sub_i32 s29, 30, vcc_hi
	s_and_b32 s28, s28, 3
	s_cmp_eq_u32 vcc_lo, 0
	s_cselect_b32 s29, s29, vcc_lo
	s_cselect_b32 s28, s28, s30
	s_and_b32 vcc_lo, s31, 0x80000000
	s_lshl_b32 s29, s29, 23
	s_add_i32 s29, s29, vcc_lo
	s_lshl_b32 s28, s28, 21
	s_or_b32 s28, s29, s28
	s_add_i32 s34, s28, 0x38000000
	s_mov_b64 vcc, 0
.LBB4_7401:                             ;   in Loop: Header=BB4_7397 Depth=4
	s_andn2_b64 vcc, exec, vcc
	v_mov_b32_e32 v8, s34
	s_cbranch_vccnz .LBB4_7403
; %bb.7402:                             ;   in Loop: Header=BB4_7397 Depth=4
	s_cmp_eq_u32 s30, 0
	s_cselect_b64 vcc, -1, 0
	s_cmp_gt_i32 s31, -1
	s_cselect_b64 s[28:29], -1, 0
	v_mov_b32_e32 v6, 0xff800000
	v_mov_b32_e32 v8, 0x7f800000
	v_cndmask_b32_e64 v6, v6, v8, s[28:29]
	v_mov_b32_e32 v8, 0x7f800001
	v_cndmask_b32_e32 v8, v8, v6, vcc
.LBB4_7403:                             ;   in Loop: Header=BB4_7397 Depth=4
	flat_load_sbyte v6, v[0:1] glc slc
	s_waitcnt vmcnt(0) lgkmcnt(0)
	v_cmp_ne_u16_e32 vcc, 0, v6
	s_and_saveexec_b64 s[28:29], vcc
	s_cbranch_execz .LBB4_7411
; %bb.7404:                             ;   in Loop: Header=BB4_7397 Depth=4
	v_cmp_ne_u16_e32 vcc, s97, v6
	v_bfrev_b32_e32 v7, 1
	s_and_saveexec_b64 s[30:31], vcc
	s_cbranch_execz .LBB4_7410
; %bb.7405:                             ;   in Loop: Header=BB4_7397 Depth=4
	v_and_b32_e32 v7, 0x7c, v6
	v_and_b32_e32 v9, 3, v6
	v_cmp_ne_u32_e32 vcc, s85, v7
                                        ; implicit-def: $vgpr7
	s_and_saveexec_b64 s[34:35], vcc
	s_xor_b64 s[34:35], exec, s[34:35]
	s_cbranch_execz .LBB4_7407
; %bb.7406:                             ;   in Loop: Header=BB4_7397 Depth=4
	v_and_b32_e32 v11, 0xff, v6
	v_bfe_u32 v13, v11, 2, 5
	v_ffbh_u32_e32 v11, v9
	v_min_u32_e32 v14, 32, v11
	v_mov_b32_e32 v7, v17
	v_subrev_u32_e32 v11, 29, v14
	v_lshlrev_b64 v[11:12], v11, v[6:7]
	v_sub_u32_e32 v7, 30, v14
	v_cmp_eq_u32_e32 vcc, 0, v13
	v_and_b32_e32 v11, 3, v11
	v_cndmask_b32_e32 v7, v13, v7, vcc
	v_and_b32_sdwa v6, sext(v6), s86 dst_sel:DWORD dst_unused:UNUSED_PAD src0_sel:WORD_0 src1_sel:DWORD
	v_cndmask_b32_e32 v9, v9, v11, vcc
	v_lshl_add_u32 v6, v7, 23, v6
	v_lshl_or_b32 v6, v9, 21, v6
	v_add_u32_e32 v7, 0x38000000, v6
                                        ; implicit-def: $vgpr9
                                        ; implicit-def: $vgpr6
.LBB4_7407:                             ;   in Loop: Header=BB4_7397 Depth=4
	s_andn2_saveexec_b64 s[34:35], s[34:35]
; %bb.7408:                             ;   in Loop: Header=BB4_7397 Depth=4
	v_cmp_lt_i16_e32 vcc, -1, v6
	v_mov_b32_e32 v6, 0xff800000
	v_mov_b32_e32 v7, 0x7f800000
	v_cndmask_b32_e32 v6, v6, v7, vcc
	v_cmp_eq_u32_e32 vcc, 0, v9
	v_mov_b32_e32 v7, 0x7f800001
	v_cndmask_b32_e32 v7, v7, v6, vcc
; %bb.7409:                             ;   in Loop: Header=BB4_7397 Depth=4
	s_or_b64 exec, exec, s[34:35]
.LBB4_7410:                             ;   in Loop: Header=BB4_7397 Depth=4
	s_or_b64 exec, exec, s[30:31]
.LBB4_7411:                             ;   in Loop: Header=BB4_7397 Depth=4
	s_or_b64 exec, exec, s[28:29]
	v_mul_f32_e32 v7, v8, v7
	v_and_b32_e32 v8, 0x7f800000, v7
	v_mov_b32_e32 v9, v17
	v_cmp_ne_u64_e32 vcc, s[76:77], v[8:9]
	v_and_b32_e32 v16, 0x7fffff, v7
                                        ; implicit-def: $vgpr6
	s_and_saveexec_b64 s[28:29], vcc
	s_xor_b64 s[30:31], exec, s[28:29]
	s_cbranch_execz .LBB4_7429
; %bb.7412:                             ;   in Loop: Header=BB4_7397 Depth=4
	v_and_b32_e32 v8, 0x7fffffff, v7
	v_mov_b32_e32 v9, v17
	v_cmp_gt_u64_e32 vcc, s[78:79], v[8:9]
	v_and_b32_sdwa v9, v7, s96 dst_sel:DWORD dst_unused:UNUSED_PAD src0_sel:BYTE_3 src1_sel:DWORD
                                        ; implicit-def: $vgpr6
	s_and_saveexec_b64 s[28:29], vcc
	s_xor_b64 s[34:35], exec, s[28:29]
	s_cbranch_execz .LBB4_7426
; %bb.7413:                             ;   in Loop: Header=BB4_7397 Depth=4
	v_cmp_ne_u32_e32 vcc, 0, v7
	v_mov_b32_e32 v6, 0
	s_and_saveexec_b64 s[36:37], vcc
	s_cbranch_execz .LBB4_7425
; %bb.7414:                             ;   in Loop: Header=BB4_7397 Depth=4
	v_bfe_u32 v11, v7, 23, 8
	v_cmp_gt_u32_e64 s[28:29], s46, v11
	v_sub_u32_e32 v6, 0x71, v11
	v_cmp_eq_u32_e32 vcc, 0, v11
	v_cndmask_b32_e64 v6, 0, v6, s[28:29]
	v_mov_b32_e32 v8, 0x70
	v_cndmask_b32_e32 v12, v6, v8, vcc
	v_add_u32_e32 v8, 21, v12
	v_or_b32_e32 v7, 0x800000, v16
	v_lshlrev_b64 v[13:14], v8, -1
	v_cndmask_b32_e32 v6, v7, v16, vcc
	v_mov_b32_e32 v7, v17
	v_add_u32_e32 v8, 20, v12
	v_bfi_b32 v13, v13, 0, v6
	v_lshlrev_b64 v[15:16], v8, 1
	v_lshrrev_b64 v[6:7], v12, v[6:7]
	v_bfi_b32 v14, v14, 0, 0
	v_cmp_eq_u64_e64 s[28:29], v[13:14], v[15:16]
	v_mov_b32_e32 v8, v7
	v_mov_b32_e32 v7, v6
	s_and_saveexec_b64 s[38:39], s[28:29]
; %bb.7415:                             ;   in Loop: Header=BB4_7397 Depth=4
	v_bfe_u32 v7, v6, 21, 1
	v_add_co_u32_e64 v7, s[28:29], v6, v7
	v_add_co_u32_e64 v7, s[28:29], -1, v7
; %bb.7416:                             ;   in Loop: Header=BB4_7397 Depth=4
	s_or_b64 exec, exec, s[38:39]
	v_add_u32_e32 v8, 0xffffff81, v11
	v_mov_b32_e32 v11, 0xffffff82
	v_cndmask_b32_e32 v8, v8, v11, vcc
	v_lshrrev_b32_e32 v11, 23, v6
	v_add3_u32 v12, v12, v8, v11
	v_add_u32_e32 v8, 14, v12
	v_and_b32_e32 v7, 0x1fffff, v7
	v_add_u32_e32 v16, v7, v6
	v_cmp_ne_u32_e32 vcc, 0, v8
                                        ; implicit-def: $vgpr6_vgpr7
                                        ; implicit-def: $vgpr11
	s_and_saveexec_b64 s[28:29], vcc
	s_xor_b64 s[28:29], exec, s[28:29]
; %bb.7417:                             ;   in Loop: Header=BB4_7397 Depth=4
	v_cmp_lt_u64_e32 vcc, s[88:89], v[16:17]
	v_add_u32_e32 v6, 15, v12
	v_cndmask_b32_e32 v11, v8, v6, vcc
	v_cndmask_b32_e64 v6, 0, 1, vcc
	v_lshrrev_b64 v[6:7], v6, v[16:17]
; %bb.7418:                             ;   in Loop: Header=BB4_7397 Depth=4
	s_andn2_saveexec_b64 s[28:29], s[28:29]
; %bb.7419:                             ;   in Loop: Header=BB4_7397 Depth=4
	v_mov_b32_e32 v6, v16
	v_mov_b32_e32 v7, v17
	v_bfe_u32 v11, v16, 23, 1
; %bb.7420:                             ;   in Loop: Header=BB4_7397 Depth=4
	s_or_b64 exec, exec, s[28:29]
	v_lshrrev_b64 v[6:7], 21, v[6:7]
	v_cmp_gt_i32_e32 vcc, 32, v11
	v_cndmask_b32_e32 v8, 0, v7, vcc
	v_cndmask_b32_e32 v7, 3, v6, vcc
	v_cmp_ne_u64_e32 vcc, 0, v[7:8]
	v_cmp_ne_u32_e64 s[28:29], 0, v11
	s_or_b64 s[28:29], s[28:29], vcc
                                        ; implicit-def: $vgpr6
	s_and_saveexec_b64 vcc, s[28:29]
	s_xor_b64 s[28:29], exec, vcc
; %bb.7421:                             ;   in Loop: Header=BB4_7397 Depth=4
	v_min_i32_e32 v6, 31, v11
	v_lshl_or_b32 v6, v6, 2, v9
	v_and_or_b32 v6, v7, 3, v6
                                        ; implicit-def: $vgpr9
; %bb.7422:                             ;   in Loop: Header=BB4_7397 Depth=4
	s_andn2_saveexec_b64 s[28:29], s[28:29]
; %bb.7423:                             ;   in Loop: Header=BB4_7397 Depth=4
	v_mov_b32_e32 v6, v9
; %bb.7424:                             ;   in Loop: Header=BB4_7397 Depth=4
	s_or_b64 exec, exec, s[28:29]
.LBB4_7425:                             ;   in Loop: Header=BB4_7397 Depth=4
	s_or_b64 exec, exec, s[36:37]
                                        ; implicit-def: $vgpr9
.LBB4_7426:                             ;   in Loop: Header=BB4_7397 Depth=4
	s_andn2_saveexec_b64 s[28:29], s[34:35]
; %bb.7427:                             ;   in Loop: Header=BB4_7397 Depth=4
	v_or_b32_e32 v6, 0x7b, v9
; %bb.7428:                             ;   in Loop: Header=BB4_7397 Depth=4
	s_or_b64 exec, exec, s[28:29]
                                        ; implicit-def: $vgpr7
.LBB4_7429:                             ;   in Loop: Header=BB4_7397 Depth=4
	s_andn2_saveexec_b64 s[28:29], s[30:31]
	s_cbranch_execz .LBB4_7435
; %bb.7430:                             ;   in Loop: Header=BB4_7397 Depth=4
	v_cmp_ne_u64_e32 vcc, 0, v[16:17]
                                        ; implicit-def: $vgpr6
	s_and_saveexec_b64 s[30:31], vcc
	s_xor_b64 vcc, exec, s[30:31]
; %bb.7431:                             ;   in Loop: Header=BB4_7397 Depth=4
	v_or_b32_sdwa v6, v7, s47 dst_sel:DWORD dst_unused:UNUSED_PAD src0_sel:BYTE_3 src1_sel:DWORD
                                        ; implicit-def: $vgpr7
; %bb.7432:                             ;   in Loop: Header=BB4_7397 Depth=4
	s_andn2_saveexec_b64 s[30:31], vcc
; %bb.7433:                             ;   in Loop: Header=BB4_7397 Depth=4
	v_cmp_lt_i32_e32 vcc, -1, v7
	v_cndmask_b32_e32 v6, -4, v52, vcc
; %bb.7434:                             ;   in Loop: Header=BB4_7397 Depth=4
	s_or_b64 exec, exec, s[30:31]
.LBB4_7435:                             ;   in Loop: Header=BB4_7397 Depth=4
	s_or_b64 exec, exec, s[28:29]
	flat_load_sbyte v8, v[2:3] glc slc
	v_and_b32_e32 v12, 0xff, v6
	v_cmp_ne_u16_e32 vcc, 0, v12
	v_mov_b32_e32 v9, 0
	v_mov_b32_e32 v7, 0
	s_and_saveexec_b64 s[28:29], vcc
	s_cbranch_execz .LBB4_7443
; %bb.7436:                             ;   in Loop: Header=BB4_7397 Depth=4
	v_cmp_ne_u16_e32 vcc, s96, v12
	v_bfrev_b32_e32 v7, 1
	s_and_saveexec_b64 s[30:31], vcc
	s_cbranch_execz .LBB4_7442
; %bb.7437:                             ;   in Loop: Header=BB4_7397 Depth=4
	v_and_b32_e32 v7, 0x7c, v6
	v_and_b32_e32 v11, 3, v6
	v_cmp_ne_u32_e32 vcc, s85, v7
                                        ; implicit-def: $vgpr7
	s_and_saveexec_b64 s[34:35], vcc
	s_xor_b64 s[34:35], exec, s[34:35]
	s_cbranch_execz .LBB4_7439
; %bb.7438:                             ;   in Loop: Header=BB4_7397 Depth=4
	v_bfe_u32 v14, v12, 2, 5
	v_ffbh_u32_e32 v12, v11
	v_min_u32_e32 v15, 32, v12
	v_mov_b32_e32 v7, v17
	v_subrev_u32_e32 v12, 29, v15
	v_lshlrev_b64 v[12:13], v12, v[6:7]
	v_sub_u32_e32 v7, 30, v15
	v_cmp_eq_u32_e32 vcc, 0, v14
	v_lshlrev_b32_e32 v6, 24, v6
	v_and_b32_e32 v12, 3, v12
	v_cndmask_b32_e32 v7, v14, v7, vcc
	v_and_b32_e32 v6, 0x80000000, v6
	v_cndmask_b32_e32 v11, v11, v12, vcc
	v_lshl_add_u32 v6, v7, 23, v6
	v_lshl_or_b32 v6, v11, 21, v6
	v_add_u32_e32 v7, 0x38000000, v6
                                        ; implicit-def: $vgpr11
                                        ; implicit-def: $vgpr6
.LBB4_7439:                             ;   in Loop: Header=BB4_7397 Depth=4
	s_andn2_saveexec_b64 s[34:35], s[34:35]
; %bb.7440:                             ;   in Loop: Header=BB4_7397 Depth=4
	v_mov_b32_e32 v7, -1
	v_cmp_gt_i16_sdwa vcc, sext(v6), v7 src0_sel:BYTE_0 src1_sel:DWORD
	v_mov_b32_e32 v6, 0xff800000
	v_mov_b32_e32 v7, 0x7f800000
	v_cndmask_b32_e32 v6, v6, v7, vcc
	v_cmp_eq_u32_e32 vcc, 0, v11
	v_mov_b32_e32 v7, 0x7f800001
	v_cndmask_b32_e32 v7, v7, v6, vcc
; %bb.7441:                             ;   in Loop: Header=BB4_7397 Depth=4
	s_or_b64 exec, exec, s[34:35]
.LBB4_7442:                             ;   in Loop: Header=BB4_7397 Depth=4
	s_or_b64 exec, exec, s[30:31]
.LBB4_7443:                             ;   in Loop: Header=BB4_7397 Depth=4
	s_or_b64 exec, exec, s[28:29]
	s_waitcnt vmcnt(0) lgkmcnt(0)
	v_cmp_ne_u16_e32 vcc, 0, v8
	s_and_saveexec_b64 s[28:29], vcc
	s_cbranch_execz .LBB4_7451
; %bb.7444:                             ;   in Loop: Header=BB4_7397 Depth=4
	v_cmp_ne_u16_e32 vcc, s97, v8
	v_bfrev_b32_e32 v9, 1
	s_and_saveexec_b64 s[30:31], vcc
	s_cbranch_execz .LBB4_7450
; %bb.7445:                             ;   in Loop: Header=BB4_7397 Depth=4
	v_and_b32_e32 v9, 0x7c, v8
	v_and_b32_e32 v6, 3, v8
	v_cmp_ne_u32_e32 vcc, s85, v9
                                        ; implicit-def: $vgpr9
	s_and_saveexec_b64 s[34:35], vcc
	s_xor_b64 s[34:35], exec, s[34:35]
	s_cbranch_execz .LBB4_7447
; %bb.7446:                             ;   in Loop: Header=BB4_7397 Depth=4
	v_ffbh_u32_e32 v13, v6
	v_and_b32_e32 v9, 0xff, v8
	v_min_u32_e32 v13, 32, v13
	v_bfe_u32 v11, v9, 2, 5
	v_mov_b32_e32 v9, v17
	v_subrev_u32_e32 v14, 29, v13
	v_and_b32_sdwa v12, sext(v8), s86 dst_sel:DWORD dst_unused:UNUSED_PAD src0_sel:WORD_0 src1_sel:DWORD
	v_lshlrev_b64 v[8:9], v14, v[8:9]
	v_sub_u32_e32 v9, 30, v13
	v_cmp_eq_u32_e32 vcc, 0, v11
	v_and_b32_e32 v8, 3, v8
	v_cndmask_b32_e32 v9, v11, v9, vcc
	v_cndmask_b32_e32 v6, v6, v8, vcc
	v_lshl_add_u32 v8, v9, 23, v12
	v_lshl_or_b32 v6, v6, 21, v8
	v_add_u32_e32 v9, 0x38000000, v6
                                        ; implicit-def: $vgpr8
                                        ; implicit-def: $vgpr6
.LBB4_7447:                             ;   in Loop: Header=BB4_7397 Depth=4
	s_andn2_saveexec_b64 s[34:35], s[34:35]
; %bb.7448:                             ;   in Loop: Header=BB4_7397 Depth=4
	v_cmp_lt_i16_e32 vcc, -1, v8
	v_mov_b32_e32 v8, 0xff800000
	v_mov_b32_e32 v9, 0x7f800000
	v_cndmask_b32_e32 v8, v8, v9, vcc
	v_cmp_eq_u32_e32 vcc, 0, v6
	v_mov_b32_e32 v6, 0x7f800001
	v_cndmask_b32_e32 v9, v6, v8, vcc
; %bb.7449:                             ;   in Loop: Header=BB4_7397 Depth=4
	s_or_b64 exec, exec, s[34:35]
.LBB4_7450:                             ;   in Loop: Header=BB4_7397 Depth=4
	s_or_b64 exec, exec, s[30:31]
.LBB4_7451:                             ;   in Loop: Header=BB4_7397 Depth=4
	s_or_b64 exec, exec, s[28:29]
	v_add_f32_e32 v6, v7, v9
	v_and_b32_e32 v7, 0x7f800000, v6
	v_mov_b32_e32 v8, v17
	v_cmp_ne_u64_e32 vcc, s[76:77], v[7:8]
	v_and_b32_e32 v16, 0x7fffff, v6
                                        ; implicit-def: $vgpr7
	s_and_saveexec_b64 s[28:29], vcc
	s_xor_b64 s[30:31], exec, s[28:29]
	s_cbranch_execz .LBB4_7469
; %bb.7452:                             ;   in Loop: Header=BB4_7397 Depth=4
	v_and_b32_e32 v7, 0x7fffffff, v6
	v_mov_b32_e32 v8, v17
	v_cmp_gt_u64_e32 vcc, s[78:79], v[7:8]
	v_and_b32_sdwa v9, v6, s96 dst_sel:DWORD dst_unused:UNUSED_PAD src0_sel:BYTE_3 src1_sel:DWORD
                                        ; implicit-def: $vgpr7
	s_and_saveexec_b64 s[28:29], vcc
	s_xor_b64 s[34:35], exec, s[28:29]
	s_cbranch_execz .LBB4_7466
; %bb.7453:                             ;   in Loop: Header=BB4_7397 Depth=4
	v_cmp_ne_u32_e32 vcc, 0, v6
	v_mov_b32_e32 v7, 0
	s_and_saveexec_b64 s[36:37], vcc
	s_cbranch_execz .LBB4_7465
; %bb.7454:                             ;   in Loop: Header=BB4_7397 Depth=4
	v_bfe_u32 v11, v6, 23, 8
	v_cmp_gt_u32_e64 s[28:29], s46, v11
	v_sub_u32_e32 v6, 0x71, v11
	v_cmp_eq_u32_e32 vcc, 0, v11
	v_cndmask_b32_e64 v6, 0, v6, s[28:29]
	v_mov_b32_e32 v8, 0x70
	v_cndmask_b32_e32 v12, v6, v8, vcc
	v_add_u32_e32 v8, 21, v12
	v_or_b32_e32 v7, 0x800000, v16
	v_lshlrev_b64 v[13:14], v8, -1
	v_cndmask_b32_e32 v6, v7, v16, vcc
	v_mov_b32_e32 v7, v17
	v_add_u32_e32 v8, 20, v12
	v_bfi_b32 v13, v13, 0, v6
	v_lshlrev_b64 v[15:16], v8, 1
	v_lshrrev_b64 v[6:7], v12, v[6:7]
	v_bfi_b32 v14, v14, 0, 0
	v_cmp_eq_u64_e64 s[28:29], v[13:14], v[15:16]
	v_mov_b32_e32 v8, v7
	v_mov_b32_e32 v7, v6
	s_and_saveexec_b64 s[38:39], s[28:29]
; %bb.7455:                             ;   in Loop: Header=BB4_7397 Depth=4
	v_bfe_u32 v7, v6, 21, 1
	v_add_co_u32_e64 v7, s[28:29], v6, v7
	v_add_co_u32_e64 v7, s[28:29], -1, v7
; %bb.7456:                             ;   in Loop: Header=BB4_7397 Depth=4
	s_or_b64 exec, exec, s[38:39]
	v_add_u32_e32 v8, 0xffffff81, v11
	v_mov_b32_e32 v11, 0xffffff82
	v_cndmask_b32_e32 v8, v8, v11, vcc
	v_lshrrev_b32_e32 v11, 23, v6
	v_add3_u32 v12, v12, v8, v11
	v_add_u32_e32 v11, 14, v12
	v_and_b32_e32 v7, 0x1fffff, v7
	v_add_u32_e32 v16, v7, v6
	v_cmp_ne_u32_e32 vcc, 0, v11
                                        ; implicit-def: $vgpr6_vgpr7
                                        ; implicit-def: $vgpr8
	s_and_saveexec_b64 s[28:29], vcc
	s_xor_b64 s[28:29], exec, s[28:29]
; %bb.7457:                             ;   in Loop: Header=BB4_7397 Depth=4
	v_cmp_lt_u64_e32 vcc, s[88:89], v[16:17]
	v_add_u32_e32 v6, 15, v12
	v_cndmask_b32_e32 v8, v11, v6, vcc
	v_cndmask_b32_e64 v6, 0, 1, vcc
	v_lshrrev_b64 v[6:7], v6, v[16:17]
; %bb.7458:                             ;   in Loop: Header=BB4_7397 Depth=4
	s_andn2_saveexec_b64 s[28:29], s[28:29]
; %bb.7459:                             ;   in Loop: Header=BB4_7397 Depth=4
	v_mov_b32_e32 v6, v16
	v_mov_b32_e32 v7, v17
	v_bfe_u32 v8, v16, 23, 1
; %bb.7460:                             ;   in Loop: Header=BB4_7397 Depth=4
	s_or_b64 exec, exec, s[28:29]
	v_lshrrev_b64 v[6:7], 21, v[6:7]
	v_cmp_gt_i32_e32 vcc, 32, v8
	v_cndmask_b32_e32 v7, 0, v7, vcc
	v_cndmask_b32_e32 v6, 3, v6, vcc
	v_cmp_ne_u64_e32 vcc, 0, v[6:7]
	v_cmp_ne_u32_e64 s[28:29], 0, v8
	s_or_b64 s[28:29], s[28:29], vcc
                                        ; implicit-def: $vgpr7
	s_and_saveexec_b64 vcc, s[28:29]
	s_xor_b64 s[28:29], exec, vcc
; %bb.7461:                             ;   in Loop: Header=BB4_7397 Depth=4
	v_min_i32_e32 v7, 31, v8
	v_lshl_or_b32 v7, v7, 2, v9
	v_and_or_b32 v7, v6, 3, v7
                                        ; implicit-def: $vgpr9
; %bb.7462:                             ;   in Loop: Header=BB4_7397 Depth=4
	s_andn2_saveexec_b64 s[28:29], s[28:29]
; %bb.7463:                             ;   in Loop: Header=BB4_7397 Depth=4
	v_mov_b32_e32 v7, v9
; %bb.7464:                             ;   in Loop: Header=BB4_7397 Depth=4
	s_or_b64 exec, exec, s[28:29]
.LBB4_7465:                             ;   in Loop: Header=BB4_7397 Depth=4
	s_or_b64 exec, exec, s[36:37]
                                        ; implicit-def: $vgpr9
.LBB4_7466:                             ;   in Loop: Header=BB4_7397 Depth=4
	s_andn2_saveexec_b64 s[28:29], s[34:35]
; %bb.7467:                             ;   in Loop: Header=BB4_7397 Depth=4
	v_or_b32_e32 v7, 0x7b, v9
; %bb.7468:                             ;   in Loop: Header=BB4_7397 Depth=4
	s_or_b64 exec, exec, s[28:29]
                                        ; implicit-def: $vgpr6
.LBB4_7469:                             ;   in Loop: Header=BB4_7397 Depth=4
	s_andn2_saveexec_b64 s[28:29], s[30:31]
	s_cbranch_execz .LBB4_7396
; %bb.7470:                             ;   in Loop: Header=BB4_7397 Depth=4
	v_cmp_ne_u64_e32 vcc, 0, v[16:17]
                                        ; implicit-def: $vgpr7
	s_and_saveexec_b64 s[30:31], vcc
	s_xor_b64 vcc, exec, s[30:31]
; %bb.7471:                             ;   in Loop: Header=BB4_7397 Depth=4
	v_or_b32_sdwa v7, v6, s47 dst_sel:DWORD dst_unused:UNUSED_PAD src0_sel:BYTE_3 src1_sel:DWORD
                                        ; implicit-def: $vgpr6
; %bb.7472:                             ;   in Loop: Header=BB4_7397 Depth=4
	s_andn2_saveexec_b64 s[30:31], vcc
	s_cbranch_execz .LBB4_7395
; %bb.7473:                             ;   in Loop: Header=BB4_7397 Depth=4
	v_cmp_lt_i32_e32 vcc, -1, v6
	v_cndmask_b32_e32 v7, -4, v52, vcc
	s_branch .LBB4_7395
.LBB4_7474:                             ;   in Loop: Header=BB4_3084 Depth=3
	s_or_b64 exec, exec, s[40:41]
	buffer_load_dword v0, off, s[0:3], s33 offset:148 ; 4-byte Folded Reload
	s_waitcnt vmcnt(0)
	v_cmp_lt_i32_e64 s[28:29], 0, v0
	s_and_saveexec_b64 s[40:41], s[12:13]
	s_cbranch_execz .LBB4_3159
.LBB4_7475:                             ;   in Loop: Header=BB4_3084 Depth=3
	s_and_saveexec_b64 s[42:43], s[58:59]
	s_xor_b64 s[42:43], exec, s[42:43]
	s_cbranch_execz .LBB4_7490
; %bb.7476:                             ;   in Loop: Header=BB4_3084 Depth=3
	s_and_saveexec_b64 s[30:31], s[6:7]
	s_cbranch_execz .LBB4_7489
; %bb.7477:                             ;   in Loop: Header=BB4_3084 Depth=3
	s_mov_b64 s[36:37], exec
	v_mbcnt_lo_u32_b32 v0, s36, 0
	v_mbcnt_hi_u32_b32 v0, s37, v0
	v_cmp_eq_u32_e32 vcc, 0, v0
	s_waitcnt vmcnt(0) lgkmcnt(0)
	buffer_wbinvl1_vol
	s_and_saveexec_b64 s[34:35], vcc
	s_cbranch_execz .LBB4_7479
; %bb.7478:                             ;   in Loop: Header=BB4_3084 Depth=3
	s_bcnt1_i32_b64 vcc_lo, s[36:37]
	v_mov_b32_e32 v0, vcc_lo
	v_mov_b32_e32 v1, v17
	ds_add_u64 v0, v[0:1]
	s_trap 2
.LBB4_7479:                             ;   in Loop: Header=BB4_3084 Depth=3
	s_or_b64 exec, exec, s[34:35]
	s_trap 2
	ds_read_b64 v[0:1], v0
	s_waitcnt lgkmcnt(0)
	buffer_load_dword v2, off, s[0:3], s33 offset:76 ; 4-byte Folded Reload
	buffer_load_dword v3, off, s[0:3], s33 offset:80 ; 4-byte Folded Reload
	;; [unrolled: 1-line block ×3, first 2 shown]
	s_waitcnt vmcnt(0)
	v_add_co_u32_e32 v2, vcc, v2, v4
	v_addc_co_u32_e32 v3, vcc, 0, v3, vcc
	buffer_store_dword v2, off, s[0:3], s33 offset:76 ; 4-byte Folded Spill
	s_nop 0
	buffer_store_dword v3, off, s[0:3], s33 offset:80 ; 4-byte Folded Spill
	v_cmp_lt_u64_e32 vcc, v[0:1], v[2:3]
	s_and_saveexec_b64 s[34:35], vcc
	s_cbranch_execz .LBB4_7488
; %bb.7480:                             ;   in Loop: Header=BB4_3084 Depth=3
	s_mov_b32 s54, 0
	s_mov_b64 s[36:37], 0
                                        ; implicit-def: $sgpr38_sgpr39
                                        ; implicit-def: $sgpr48_sgpr49
	s_branch .LBB4_7482
.LBB4_7481:                             ;   in Loop: Header=BB4_7482 Depth=4
	s_or_b64 exec, exec, s[52:53]
	s_and_b64 vcc, exec, vcc
	s_or_b64 s[36:37], vcc, s[36:37]
	s_andn2_b64 vcc, s[38:39], exec
	s_and_b64 s[38:39], s[48:49], exec
	s_or_b64 s[38:39], vcc, s[38:39]
	s_andn2_b64 exec, exec, s[36:37]
	s_cbranch_execz .LBB4_7486
.LBB4_7482:                             ;   Parent Loop BB4_47 Depth=1
                                        ;     Parent Loop BB4_3081 Depth=2
                                        ;       Parent Loop BB4_3084 Depth=3
                                        ; =>      This Inner Loop Header: Depth=4
	s_add_i32 s54, s54, 1
	s_cmpk_lg_i32 s54, 0x2710
	s_cselect_b64 s[50:51], -1, 0
	s_and_b64 vcc, exec, s[50:51]
	s_cbranch_vccz .LBB4_7484
; %bb.7483:                             ;   in Loop: Header=BB4_7482 Depth=4
	s_mov_b64 vcc, -1
	s_or_b64 s[48:49], s[48:49], exec
	s_and_saveexec_b64 s[52:53], s[50:51]
	s_cbranch_execz .LBB4_7481
	s_branch .LBB4_7485
.LBB4_7484:                             ;   in Loop: Header=BB4_7482 Depth=4
	s_trap 2
	ds_read_b64 v[0:1], v0
	s_andn2_b64 s[50:51], s[50:51], exec
	s_mov_b32 s54, 0
	s_waitcnt vmcnt(0) lgkmcnt(0)
	flat_load_dword v0, v[0:1] glc
	s_waitcnt vmcnt(0) lgkmcnt(0)
	buffer_wbinvl1_vol
	v_cmp_eq_u32_e32 vcc, 0, v0
	s_and_b64 vcc, vcc, exec
	s_or_b64 s[50:51], s[50:51], vcc
	s_mov_b64 vcc, -1
	s_or_b64 s[48:49], s[48:49], exec
	s_and_saveexec_b64 s[52:53], s[50:51]
	s_cbranch_execz .LBB4_7481
.LBB4_7485:                             ;   in Loop: Header=BB4_7482 Depth=4
	s_sleep 1
	s_trap 2
	ds_read_b64 v[0:1], v0
	s_waitcnt lgkmcnt(0)
	buffer_load_dword v2, off, s[0:3], s33 offset:76 ; 4-byte Folded Reload
	buffer_load_dword v3, off, s[0:3], s33 offset:80 ; 4-byte Folded Reload
	s_andn2_b64 s[48:49], s[48:49], exec
	s_waitcnt vmcnt(0)
	v_cmp_ge_u64_e32 vcc, v[0:1], v[2:3]
	s_orn2_b64 vcc, vcc, exec
	s_branch .LBB4_7481
.LBB4_7486:                             ;   in Loop: Header=BB4_3084 Depth=3
	s_or_b64 exec, exec, s[36:37]
	s_and_saveexec_b64 vcc, s[38:39]
	s_xor_b64 vcc, exec, vcc
	s_cbranch_execz .LBB4_7488
; %bb.7487:                             ;   in Loop: Header=BB4_3084 Depth=3
	v_mov_b32_e32 v0, 1
	ds_write_b32 v0, v0
	s_trap 2
.LBB4_7488:                             ;   in Loop: Header=BB4_3084 Depth=3
	s_or_b64 exec, exec, s[34:35]
	;;#ASMSTART
	s_wakeup
	;;#ASMEND
.LBB4_7489:                             ;   in Loop: Header=BB4_3084 Depth=3
	s_or_b64 exec, exec, s[30:31]
.LBB4_7490:                             ;   in Loop: Header=BB4_3084 Depth=3
	s_andn2_saveexec_b64 s[42:43], s[42:43]
	s_cbranch_execz .LBB4_7492
; %bb.7491:                             ;   in Loop: Header=BB4_3084 Depth=3
	s_waitcnt vmcnt(0) lgkmcnt(0)
	buffer_wbinvl1_vol
	s_barrier
.LBB4_7492:                             ;   in Loop: Header=BB4_3084 Depth=3
	s_or_b64 exec, exec, s[42:43]
	s_or_b64 exec, exec, s[40:41]
                                        ; implicit-def: $vgpr0
	s_and_saveexec_b64 s[40:41], s[18:19]
	s_xor_b64 s[40:41], exec, s[40:41]
	s_cbranch_execnz .LBB4_3160
.LBB4_7493:                             ;   in Loop: Header=BB4_3084 Depth=3
	s_andn2_saveexec_b64 s[28:29], s[40:41]
	s_cbranch_execz .LBB4_7512
.LBB4_7494:                             ;   in Loop: Header=BB4_3084 Depth=3
	s_and_saveexec_b64 s[40:41], s[58:59]
	s_xor_b64 s[40:41], exec, s[40:41]
	s_cbranch_execz .LBB4_7509
; %bb.7495:                             ;   in Loop: Header=BB4_3084 Depth=3
	s_and_saveexec_b64 s[42:43], s[6:7]
	s_cbranch_execz .LBB4_7508
; %bb.7496:                             ;   in Loop: Header=BB4_3084 Depth=3
	s_mov_b64 s[34:35], exec
	v_mbcnt_lo_u32_b32 v0, s34, 0
	v_mbcnt_hi_u32_b32 v0, s35, v0
	v_cmp_eq_u32_e32 vcc, 0, v0
	;;#ASMSTART
	s_waitcnt lgkmcnt(0) vmcnt(0)
	;;#ASMEND
	s_and_saveexec_b64 s[30:31], vcc
	s_cbranch_execz .LBB4_7498
; %bb.7497:                             ;   in Loop: Header=BB4_3084 Depth=3
	s_bcnt1_i32_b64 vcc_lo, s[34:35]
	v_mov_b32_e32 v0, vcc_lo
	v_mov_b32_e32 v1, v17
	s_waitcnt lgkmcnt(0)
	ds_add_u64 v0, v[0:1]
	s_trap 2
.LBB4_7498:                             ;   in Loop: Header=BB4_3084 Depth=3
	s_or_b64 exec, exec, s[30:31]
	s_trap 2
	ds_read_b64 v[0:1], v0
	s_waitcnt lgkmcnt(0)
	buffer_load_dword v2, off, s[0:3], s33 offset:76 ; 4-byte Folded Reload
	buffer_load_dword v3, off, s[0:3], s33 offset:80 ; 4-byte Folded Reload
	;; [unrolled: 1-line block ×3, first 2 shown]
	s_waitcnt vmcnt(0)
	v_add_co_u32_e32 v2, vcc, v2, v4
	v_addc_co_u32_e32 v3, vcc, 0, v3, vcc
	buffer_store_dword v2, off, s[0:3], s33 offset:76 ; 4-byte Folded Spill
	s_nop 0
	buffer_store_dword v3, off, s[0:3], s33 offset:80 ; 4-byte Folded Spill
	v_cmp_lt_u64_e32 vcc, v[0:1], v[2:3]
	s_and_saveexec_b64 s[30:31], vcc
	s_cbranch_execz .LBB4_7507
; %bb.7499:                             ;   in Loop: Header=BB4_3084 Depth=3
	s_mov_b32 s52, 0
	s_mov_b64 s[34:35], 0
                                        ; implicit-def: $sgpr36_sgpr37
                                        ; implicit-def: $sgpr38_sgpr39
	s_branch .LBB4_7501
.LBB4_7500:                             ;   in Loop: Header=BB4_7501 Depth=4
	s_or_b64 exec, exec, s[50:51]
	s_and_b64 vcc, exec, vcc
	s_or_b64 s[34:35], vcc, s[34:35]
	s_andn2_b64 vcc, s[36:37], exec
	s_and_b64 s[36:37], s[38:39], exec
	s_or_b64 s[36:37], vcc, s[36:37]
	s_andn2_b64 exec, exec, s[34:35]
	s_cbranch_execz .LBB4_7505
.LBB4_7501:                             ;   Parent Loop BB4_47 Depth=1
                                        ;     Parent Loop BB4_3081 Depth=2
                                        ;       Parent Loop BB4_3084 Depth=3
                                        ; =>      This Inner Loop Header: Depth=4
	s_add_i32 s52, s52, 1
	s_cmpk_lg_i32 s52, 0x2710
	s_cselect_b64 s[48:49], -1, 0
	s_and_b64 vcc, exec, s[48:49]
	s_cbranch_vccz .LBB4_7503
; %bb.7502:                             ;   in Loop: Header=BB4_7501 Depth=4
	s_mov_b64 vcc, -1
	s_or_b64 s[38:39], s[38:39], exec
	s_and_saveexec_b64 s[50:51], s[48:49]
	s_cbranch_execz .LBB4_7500
	s_branch .LBB4_7504
.LBB4_7503:                             ;   in Loop: Header=BB4_7501 Depth=4
	s_trap 2
	ds_read_b64 v[0:1], v0
	s_andn2_b64 s[48:49], s[48:49], exec
	s_mov_b32 s52, 0
	s_waitcnt vmcnt(0) lgkmcnt(0)
	flat_load_dword v0, v[0:1] glc
	s_waitcnt vmcnt(0) lgkmcnt(0)
	buffer_wbinvl1_vol
	v_cmp_eq_u32_e32 vcc, 0, v0
	s_and_b64 vcc, vcc, exec
	s_or_b64 s[48:49], s[48:49], vcc
	s_mov_b64 vcc, -1
	s_or_b64 s[38:39], s[38:39], exec
	s_and_saveexec_b64 s[50:51], s[48:49]
	s_cbranch_execz .LBB4_7500
.LBB4_7504:                             ;   in Loop: Header=BB4_7501 Depth=4
	s_sleep 1
	s_trap 2
	ds_read_b64 v[0:1], v0
	s_waitcnt lgkmcnt(0)
	buffer_load_dword v2, off, s[0:3], s33 offset:76 ; 4-byte Folded Reload
	buffer_load_dword v3, off, s[0:3], s33 offset:80 ; 4-byte Folded Reload
	s_andn2_b64 s[38:39], s[38:39], exec
	s_waitcnt vmcnt(0)
	v_cmp_ge_u64_e32 vcc, v[0:1], v[2:3]
	s_orn2_b64 vcc, vcc, exec
	s_branch .LBB4_7500
.LBB4_7505:                             ;   in Loop: Header=BB4_3084 Depth=3
	s_or_b64 exec, exec, s[34:35]
	s_and_saveexec_b64 vcc, s[36:37]
	s_xor_b64 vcc, exec, vcc
	s_cbranch_execz .LBB4_7507
; %bb.7506:                             ;   in Loop: Header=BB4_3084 Depth=3
	v_mov_b32_e32 v0, 1
	ds_write_b32 v0, v0
	s_trap 2
.LBB4_7507:                             ;   in Loop: Header=BB4_3084 Depth=3
	s_or_b64 exec, exec, s[30:31]
	;;#ASMSTART
	s_wakeup
	;;#ASMEND
.LBB4_7508:                             ;   in Loop: Header=BB4_3084 Depth=3
	s_or_b64 exec, exec, s[42:43]
.LBB4_7509:                             ;   in Loop: Header=BB4_3084 Depth=3
	s_andn2_saveexec_b64 s[40:41], s[40:41]
	s_cbranch_execz .LBB4_7511
; %bb.7510:                             ;   in Loop: Header=BB4_3084 Depth=3
	;;#ASMSTART
	s_waitcnt lgkmcnt(0) vmcnt(0)
	;;#ASMEND
	s_waitcnt vmcnt(0) lgkmcnt(0)
	s_barrier
.LBB4_7511:                             ;   in Loop: Header=BB4_3084 Depth=3
	s_or_b64 exec, exec, s[40:41]
	buffer_load_dword v0, off, s[0:3], s33 offset:72 ; 4-byte Folded Reload
	s_waitcnt vmcnt(0)
	v_and_b32_e32 v0, 16, v0
.LBB4_7512:                             ;   in Loop: Header=BB4_3084 Depth=3
	s_or_b64 exec, exec, s[28:29]
	v_cmp_ne_u32_e32 vcc, 0, v0
	s_xor_b64 s[28:29], s[20:21], -1
	s_and_b64 s[40:41], vcc, s[28:29]
	s_and_saveexec_b64 s[28:29], s[40:41]
	s_cbranch_execz .LBB4_7514
; %bb.7513:                             ;   in Loop: Header=BB4_3084 Depth=3
	buffer_load_dword v0, off, s[0:3], s33 offset:140 ; 4-byte Folded Reload
	buffer_load_dword v1, off, s[0:3], s33 offset:144 ; 4-byte Folded Reload
	v_mov_b32_e32 v2, 1
	s_waitcnt vmcnt(0)
	flat_store_dword v[0:1], v2
.LBB4_7514:                             ;   in Loop: Header=BB4_3084 Depth=3
	s_or_b64 exec, exec, s[28:29]
	buffer_load_dword v0, off, s[0:3], s33 offset:72 ; 4-byte Folded Reload
	s_waitcnt vmcnt(0)
	v_and_b32_e32 v0, 48, v0
	v_cmp_ne_u32_e32 vcc, 0, v0
	s_and_saveexec_b64 s[28:29], vcc
	s_cbranch_execz .LBB4_3083
; %bb.7515:                             ;   in Loop: Header=BB4_3084 Depth=3
	buffer_load_dword v2, off, s[0:3], s33 offset:84 ; 4-byte Folded Reload
	buffer_load_dword v3, off, s[0:3], s33 offset:88 ; 4-byte Folded Reload
	;; [unrolled: 1-line block ×4, first 2 shown]
	s_waitcnt vmcnt(0)
	v_add_co_u32_e32 v2, vcc, 2, v2
	v_addc_co_u32_e32 v3, vcc, 0, v3, vcc
	buffer_store_dword v2, off, s[0:3], s33 offset:84 ; 4-byte Folded Spill
	s_nop 0
	buffer_store_dword v3, off, s[0:3], s33 offset:88 ; 4-byte Folded Spill
	flat_store_dwordx2 v[0:1], v[2:3]
	s_branch .LBB4_3083
.LBB4_7516:                             ;   in Loop: Header=BB4_3081 Depth=2
	s_or_b64 exec, exec, s[92:93]
.LBB4_7517:                             ;   in Loop: Header=BB4_3081 Depth=2
	s_or_b64 exec, exec, s[90:91]
	v_cmp_gt_i32_e32 vcc, 2, v0
	s_and_saveexec_b64 s[40:41], vcc
	s_cbranch_execz .LBB4_3080
; %bb.7518:                             ;   in Loop: Header=BB4_3081 Depth=2
	buffer_load_dword v9, off, s[0:3], s33 offset:100 ; 4-byte Folded Reload
	buffer_load_dword v10, off, s[0:3], s33 offset:104 ; 4-byte Folded Reload
	v_cmp_eq_u32_e64 s[90:91], 0, v0
	s_mov_b64 s[42:43], 0
	s_branch .LBB4_7520
.LBB4_7519:                             ;   in Loop: Header=BB4_7520 Depth=3
	s_or_b64 exec, exec, s[28:29]
	v_add_u32_e32 v22, v9, v22
	s_mov_b64 s[90:91], 0
	s_andn2_b64 exec, exec, s[42:43]
	s_cbranch_execz .LBB4_3079
.LBB4_7520:                             ;   Parent Loop BB4_47 Depth=1
                                        ;     Parent Loop BB4_3081 Depth=2
                                        ; =>    This Loop Header: Depth=3
                                        ;         Child Loop BB4_7526 Depth 4
                                        ;         Child Loop BB4_7554 Depth 4
	;; [unrolled: 1-line block ×3, first 2 shown]
	v_sub_u32_e32 v0, v47, v22
	s_waitcnt vmcnt(0)
	v_min_i32_e32 v9, v9, v0
	buffer_load_dword v0, off, s[0:3], s33 offset:72 ; 4-byte Folded Reload
	s_waitcnt vmcnt(0)
	v_and_b32_e32 v0, 12, v0
	v_cmp_ne_u32_e32 vcc, 0, v0
	s_and_saveexec_b64 s[92:93], vcc
	s_cbranch_execz .LBB4_7546
; %bb.7521:                             ;   in Loop: Header=BB4_7520 Depth=3
	buffer_load_dword v0, off, s[0:3], s33 offset:72 ; 4-byte Folded Reload
	s_waitcnt vmcnt(0)
	v_and_b32_e32 v8, 8, v0
	buffer_load_dword v0, off, s[0:3], s33 offset:56 ; 4-byte Folded Reload
	buffer_load_dword v1, off, s[0:3], s33 offset:60 ; 4-byte Folded Reload
	s_waitcnt vmcnt(0)
	v_add_co_u32_e32 v2, vcc, v0, v8
	v_addc_co_u32_e32 v3, vcc, 0, v1, vcc
	buffer_load_dword v0, off, s[0:3], s33 offset:84 ; 4-byte Folded Reload
	buffer_load_dword v1, off, s[0:3], s33 offset:88 ; 4-byte Folded Reload
	s_waitcnt vmcnt(0)
	v_add_co_u32_e32 v0, vcc, 2, v0
	v_addc_co_u32_e32 v1, vcc, 0, v1, vcc
	v_cmp_lt_u64_e32 vcc, v[2:3], v[0:1]
	s_and_saveexec_b64 s[94:95], vcc
	s_cbranch_execz .LBB4_7533
; %bb.7522:                             ;   in Loop: Header=BB4_7520 Depth=3
	buffer_load_dword v2, off, s[0:3], s33 offset:72 ; 4-byte Folded Reload
	s_mov_b32 s69, 0
	s_mov_b64 s[30:31], 0
                                        ; implicit-def: $sgpr34_sgpr35
                                        ; implicit-def: $sgpr36_sgpr37
                                        ; implicit-def: $sgpr38_sgpr39
	s_waitcnt vmcnt(0)
	v_and_b32_e32 v2, 64, v2
	v_cmp_eq_u32_e32 vcc, 0, v2
	s_branch .LBB4_7526
.LBB4_7523:                             ;   in Loop: Header=BB4_7526 Depth=4
	buffer_load_dword v3, off, s[0:3], s33 offset:56 ; 4-byte Folded Reload
	buffer_load_dword v4, off, s[0:3], s33 offset:60 ; 4-byte Folded Reload
	s_or_b64 s[52:53], s[52:53], exec
	s_waitcnt vmcnt(1)
	v_add_co_u32_e64 v3, s[28:29], v3, v8
	s_waitcnt vmcnt(0)
	v_addc_co_u32_e64 v4, s[28:29], 0, v4, s[28:29]
	v_cmp_ge_u64_e64 s[28:29], v[3:4], v[0:1]
	s_orn2_b64 s[50:51], s[28:29], exec
.LBB4_7524:                             ;   in Loop: Header=BB4_7526 Depth=4
	s_or_b64 exec, exec, s[64:65]
	s_andn2_b64 s[28:29], s[38:39], exec
	s_and_b64 s[38:39], s[52:53], exec
	s_or_b64 s[38:39], s[28:29], s[38:39]
	s_andn2_b64 s[28:29], s[36:37], exec
	s_and_b64 s[36:37], s[50:51], exec
	s_or_b64 s[36:37], s[28:29], s[36:37]
.LBB4_7525:                             ;   in Loop: Header=BB4_7526 Depth=4
	s_or_b64 exec, exec, s[48:49]
	s_and_b64 s[28:29], exec, s[36:37]
	s_or_b64 s[30:31], s[28:29], s[30:31]
	s_andn2_b64 s[28:29], s[34:35], exec
	s_and_b64 s[34:35], s[38:39], exec
	s_or_b64 s[34:35], s[28:29], s[34:35]
	s_andn2_b64 exec, exec, s[30:31]
	s_cbranch_execz .LBB4_7530
.LBB4_7526:                             ;   Parent Loop BB4_47 Depth=1
                                        ;     Parent Loop BB4_3081 Depth=2
                                        ;       Parent Loop BB4_7520 Depth=3
                                        ; =>      This Inner Loop Header: Depth=4
	s_sleep 1
	buffer_load_dword v2, off, s[0:3], s33 offset:64 ; 4-byte Folded Reload
	buffer_load_dword v3, off, s[0:3], s33 offset:68 ; 4-byte Folded Reload
	s_or_b64 s[38:39], s[38:39], exec
	s_or_b64 s[36:37], s[36:37], exec
	s_waitcnt vmcnt(0)
	flat_load_dwordx2 v[2:3], v[2:3] glc
	s_waitcnt vmcnt(0) lgkmcnt(0)
	buffer_store_dword v2, off, s[0:3], s33 offset:56 ; 4-byte Folded Spill
	s_nop 0
	buffer_store_dword v3, off, s[0:3], s33 offset:60 ; 4-byte Folded Spill
                                        ; implicit-def: $vgpr2
	s_and_saveexec_b64 s[48:49], vcc
	s_cbranch_execz .LBB4_7525
; %bb.7527:                             ;   in Loop: Header=BB4_7526 Depth=4
	s_cmpk_lt_i32 s69, 0x270f
	s_cselect_b64 s[54:55], -1, 0
	s_cmpk_gt_i32 s69, 0x270e
	s_mov_b64 s[50:51], -1
	s_cbranch_scc0 .LBB4_7529
; %bb.7528:                             ;   in Loop: Header=BB4_7526 Depth=4
	s_trap 2
	ds_read_b64 v[2:3], v0
	s_andn2_b64 s[54:55], s[54:55], exec
	s_mov_b32 s69, 0
	s_mov_b64 s[52:53], 0
	s_waitcnt vmcnt(0) lgkmcnt(0)
	flat_load_dword v2, v[2:3] glc
	s_waitcnt vmcnt(0) lgkmcnt(0)
	buffer_wbinvl1_vol
	v_cmp_eq_u32_e64 s[28:29], 0, v2
	s_and_b64 s[28:29], s[28:29], exec
	s_or_b64 s[54:55], s[54:55], s[28:29]
	s_and_saveexec_b64 s[64:65], s[54:55]
	s_cbranch_execz .LBB4_7524
	s_branch .LBB4_7523
.LBB4_7529:                             ;   in Loop: Header=BB4_7526 Depth=4
	s_add_i32 s69, s69, 1
	s_mov_b64 s[52:53], -1
                                        ; implicit-def: $vgpr2
	s_and_saveexec_b64 s[64:65], s[54:55]
	s_cbranch_execz .LBB4_7524
	s_branch .LBB4_7523
.LBB4_7530:                             ;   in Loop: Header=BB4_7520 Depth=3
	s_or_b64 exec, exec, s[30:31]
	s_xor_b64 s[28:29], s[34:35], -1
	s_and_saveexec_b64 vcc, s[28:29]
	s_xor_b64 s[28:29], exec, vcc
	s_cbranch_execz .LBB4_7532
; %bb.7531:                             ;   in Loop: Header=BB4_7520 Depth=3
	ds_write_b32 v0, v2
	s_trap 2
	buffer_load_dword v2, off, s[0:3], s33 offset:72 ; 4-byte Folded Reload
	s_waitcnt vmcnt(0)
	v_or_b32_e32 v2, 64, v2
	buffer_store_dword v2, off, s[0:3], s33 offset:72 ; 4-byte Folded Spill
.LBB4_7532:                             ;   in Loop: Header=BB4_7520 Depth=3
	s_or_b64 exec, exec, s[28:29]
.LBB4_7533:                             ;   in Loop: Header=BB4_7520 Depth=3
	s_or_b64 exec, exec, s[94:95]
	;;#ASMSTART
	s_wakeup
	;;#ASMEND
	buffer_load_dword v2, off, s[0:3], s33 offset:72 ; 4-byte Folded Reload
	s_waitcnt vmcnt(0)
	v_and_b32_e32 v2, 0x108, v2
	v_cmp_ne_u32_e32 vcc, s9, v2
                                        ; implicit-def: $vgpr2_vgpr3
	s_and_saveexec_b64 s[28:29], vcc
	s_xor_b64 s[28:29], exec, s[28:29]
	s_cbranch_execz .LBB4_7535
; %bb.7534:                             ;   in Loop: Header=BB4_7520 Depth=3
	buffer_load_dword v2, off, s[0:3], s33 offset:84 ; 4-byte Folded Reload
	buffer_load_dword v3, off, s[0:3], s33 offset:88 ; 4-byte Folded Reload
	s_waitcnt vmcnt(0)
	v_mov_b32_e32 v3, v17
                                        ; implicit-def: $vgpr4_vgpr5
                                        ; kill: killed $vgpr4_vgpr5
	v_and_b32_e32 v2, 7, v2
.LBB4_7535:                             ;   in Loop: Header=BB4_7520 Depth=3
	s_andn2_saveexec_b64 s[28:29], s[28:29]
	s_cbranch_execz .LBB4_7537
; %bb.7536:                             ;   in Loop: Header=BB4_7520 Depth=3
	buffer_load_dword v2, off, s[0:3], s33 offset:84 ; 4-byte Folded Reload
	buffer_load_dword v3, off, s[0:3], s33 offset:88 ; 4-byte Folded Reload
	;; [unrolled: 1-line block ×6, first 2 shown]
	s_waitcnt vmcnt(0)
	v_mov_b32_e32 v6, v9
	v_ashrrev_i32_e32 v7, 31, v6
	v_and_b32_e32 v2, 7, v2
	v_mad_u64_u32 v[4:5], s[94:95], v2, 24, v[3:4]
	v_mov_b32_e32 v3, v17
	flat_store_dwordx2 v[4:5], v[6:7] offset:8
.LBB4_7537:                             ;   in Loop: Header=BB4_7520 Depth=3
	s_or_b64 exec, exec, s[28:29]
	buffer_load_dword v4, off, s[0:3], s33 offset:72 ; 4-byte Folded Reload
	s_mov_b64 s[28:29], -1
	s_waitcnt vmcnt(0)
	v_and_b32_e32 v4, 0x100, v4
	v_cmp_ne_u32_e32 vcc, 0, v4
                                        ; implicit-def: $vgpr4_vgpr5
	s_and_saveexec_b64 s[94:95], vcc
	s_cbranch_execz .LBB4_7541
; %bb.7538:                             ;   in Loop: Header=BB4_7520 Depth=3
	buffer_load_dword v4, off, s[0:3], s33 offset:124 ; 4-byte Folded Reload
	buffer_load_dword v5, off, s[0:3], s33 offset:128 ; 4-byte Folded Reload
	;; [unrolled: 1-line block ×4, first 2 shown]
	s_waitcnt vmcnt(0)
	v_mad_u64_u32 v[6:7], s[28:29], v2, 24, v[4:5]
	v_mov_b32_e32 v4, v7
	v_mad_u64_u32 v[4:5], s[28:29], v3, 24, v[4:5]
	v_mov_b32_e32 v7, v4
	flat_load_dword v4, v[6:7]
	s_waitcnt vmcnt(0) lgkmcnt(0)
	v_cmp_ne_u32_e32 vcc, 1, v4
	v_cmp_eq_u32_e64 s[28:29], 1, v4
                                        ; implicit-def: $vgpr4_vgpr5
	s_and_saveexec_b64 s[30:31], s[28:29]
	s_cbranch_execz .LBB4_7540
; %bb.7539:                             ;   in Loop: Header=BB4_7520 Depth=3
	flat_load_dword v4, v[6:7] offset:4 glc
	s_waitcnt vmcnt(0) lgkmcnt(0)
	v_ashrrev_i32_e32 v5, 31, v4
.LBB4_7540:                             ;   in Loop: Header=BB4_7520 Depth=3
	s_or_b64 exec, exec, s[30:31]
	s_orn2_b64 s[28:29], vcc, exec
.LBB4_7541:                             ;   in Loop: Header=BB4_7520 Depth=3
	s_or_b64 exec, exec, s[94:95]
	s_and_saveexec_b64 s[94:95], s[28:29]
	s_cbranch_execz .LBB4_7543
; %bb.7542:                             ;   in Loop: Header=BB4_7520 Depth=3
	buffer_load_dword v4, off, s[0:3], s33 offset:152 ; 4-byte Folded Reload
	buffer_load_dword v5, off, s[0:3], s33 offset:172 ; 4-byte Folded Reload
	s_waitcnt vmcnt(0)
	v_mul_lo_u32 v3, v3, v4
	v_mul_lo_u32 v6, v2, v5
	v_mad_u64_u32 v[4:5], s[28:29], v2, v4, 0
	v_add3_u32 v5, v5, v6, v3
.LBB4_7543:                             ;   in Loop: Header=BB4_7520 Depth=3
	s_or_b64 exec, exec, s[94:95]
	v_cmp_eq_u32_e32 vcc, 0, v8
	v_mov_b32_e32 v2, 0xc8
	v_mov_b32_e32 v3, 0x90
	v_cndmask_b32_e32 v6, v2, v3, vcc
	buffer_load_dword v2, off, s[0:3], s33 offset:116 ; 4-byte Folded Reload
	buffer_load_dword v3, off, s[0:3], s33 offset:120 ; 4-byte Folded Reload
	s_waitcnt vmcnt(0)
	v_add_co_u32_e32 v2, vcc, v2, v4
	v_addc_co_u32_e32 v3, vcc, v3, v5, vcc
	v_add_u32_e32 v4, v0, v6
	ds_write_b64 v4, v[2:3] offset:584
	buffer_load_dword v2, off, s[0:3], s33 offset:72 ; 4-byte Folded Reload
	s_waitcnt vmcnt(0)
	v_and_b32_e32 v2, 0x2000, v2
	v_cmp_ne_u32_e32 vcc, 0, v2
	s_and_saveexec_b64 s[28:29], vcc
	s_cbranch_execz .LBB4_7545
; %bb.7544:                             ;   in Loop: Header=BB4_7520 Depth=3
	ds_read_b64 v[2:3], v0 offset:872
	s_waitcnt lgkmcnt(0)
	v_add_co_u32_e32 v2, vcc, 1, v2
	v_addc_co_u32_e32 v3, vcc, 0, v3, vcc
	ds_write_b64 v0, v[2:3] offset:872
.LBB4_7545:                             ;   in Loop: Header=BB4_7520 Depth=3
	s_or_b64 exec, exec, s[28:29]
	buffer_store_dword v0, off, s[0:3], s33 offset:84 ; 4-byte Folded Spill
	s_nop 0
	buffer_store_dword v1, off, s[0:3], s33 offset:88 ; 4-byte Folded Spill
.LBB4_7546:                             ;   in Loop: Header=BB4_7520 Depth=3
	s_or_b64 exec, exec, s[92:93]
	s_xor_b64 s[28:29], s[90:91], -1
	s_and_b64 s[28:29], exec, s[28:29]
	s_or_b64 s[42:43], s[28:29], s[42:43]
	s_and_saveexec_b64 s[28:29], s[12:13]
	s_cbranch_execz .LBB4_7565
; %bb.7547:                             ;   in Loop: Header=BB4_7520 Depth=3
	s_and_saveexec_b64 s[90:91], s[58:59]
	s_xor_b64 s[90:91], exec, s[90:91]
	s_cbranch_execz .LBB4_7562
; %bb.7548:                             ;   in Loop: Header=BB4_7520 Depth=3
	s_and_saveexec_b64 s[92:93], s[6:7]
	s_cbranch_execz .LBB4_7561
; %bb.7549:                             ;   in Loop: Header=BB4_7520 Depth=3
	s_mov_b64 s[30:31], exec
	v_mbcnt_lo_u32_b32 v0, s30, 0
	v_mbcnt_hi_u32_b32 v0, s31, v0
	v_cmp_eq_u32_e32 vcc, 0, v0
	s_waitcnt vmcnt(0) lgkmcnt(0)
	buffer_wbinvl1_vol
	s_and_saveexec_b64 s[94:95], vcc
	s_cbranch_execz .LBB4_7551
; %bb.7550:                             ;   in Loop: Header=BB4_7520 Depth=3
	s_bcnt1_i32_b64 vcc_lo, s[30:31]
	v_mov_b32_e32 v0, vcc_lo
	v_mov_b32_e32 v1, v17
	ds_add_u64 v0, v[0:1]
	s_trap 2
.LBB4_7551:                             ;   in Loop: Header=BB4_7520 Depth=3
	s_or_b64 exec, exec, s[94:95]
	s_trap 2
	ds_read_b64 v[0:1], v0
	s_waitcnt lgkmcnt(0)
	buffer_load_dword v2, off, s[0:3], s33 offset:76 ; 4-byte Folded Reload
	buffer_load_dword v3, off, s[0:3], s33 offset:80 ; 4-byte Folded Reload
	;; [unrolled: 1-line block ×3, first 2 shown]
	s_waitcnt vmcnt(0)
	v_add_co_u32_e32 v2, vcc, v2, v4
	v_addc_co_u32_e32 v3, vcc, 0, v3, vcc
	buffer_store_dword v2, off, s[0:3], s33 offset:76 ; 4-byte Folded Spill
	s_nop 0
	buffer_store_dword v3, off, s[0:3], s33 offset:80 ; 4-byte Folded Spill
	v_cmp_lt_u64_e32 vcc, v[0:1], v[2:3]
	s_and_saveexec_b64 s[94:95], vcc
	s_cbranch_execz .LBB4_7560
; %bb.7552:                             ;   in Loop: Header=BB4_7520 Depth=3
	s_mov_b32 s50, 0
	s_mov_b64 s[30:31], 0
                                        ; implicit-def: $sgpr34_sgpr35
                                        ; implicit-def: $sgpr36_sgpr37
	s_branch .LBB4_7554
.LBB4_7553:                             ;   in Loop: Header=BB4_7554 Depth=4
	s_or_b64 exec, exec, s[48:49]
	s_and_b64 vcc, exec, vcc
	s_or_b64 s[30:31], vcc, s[30:31]
	s_andn2_b64 vcc, s[34:35], exec
	s_and_b64 s[34:35], s[36:37], exec
	s_or_b64 s[34:35], vcc, s[34:35]
	s_andn2_b64 exec, exec, s[30:31]
	s_cbranch_execz .LBB4_7558
.LBB4_7554:                             ;   Parent Loop BB4_47 Depth=1
                                        ;     Parent Loop BB4_3081 Depth=2
                                        ;       Parent Loop BB4_7520 Depth=3
                                        ; =>      This Inner Loop Header: Depth=4
	s_add_i32 s50, s50, 1
	s_cmpk_lg_i32 s50, 0x2710
	s_cselect_b64 s[38:39], -1, 0
	s_and_b64 vcc, exec, s[38:39]
	s_cbranch_vccz .LBB4_7556
; %bb.7555:                             ;   in Loop: Header=BB4_7554 Depth=4
	s_mov_b64 vcc, -1
	s_or_b64 s[36:37], s[36:37], exec
	s_and_saveexec_b64 s[48:49], s[38:39]
	s_cbranch_execz .LBB4_7553
	s_branch .LBB4_7557
.LBB4_7556:                             ;   in Loop: Header=BB4_7554 Depth=4
	s_trap 2
	ds_read_b64 v[0:1], v0
	s_andn2_b64 s[38:39], s[38:39], exec
	s_mov_b32 s50, 0
	s_waitcnt vmcnt(0) lgkmcnt(0)
	flat_load_dword v0, v[0:1] glc
	s_waitcnt vmcnt(0) lgkmcnt(0)
	buffer_wbinvl1_vol
	v_cmp_eq_u32_e32 vcc, 0, v0
	s_and_b64 vcc, vcc, exec
	s_or_b64 s[38:39], s[38:39], vcc
	s_mov_b64 vcc, -1
	s_or_b64 s[36:37], s[36:37], exec
	s_and_saveexec_b64 s[48:49], s[38:39]
	s_cbranch_execz .LBB4_7553
.LBB4_7557:                             ;   in Loop: Header=BB4_7554 Depth=4
	s_sleep 1
	s_trap 2
	ds_read_b64 v[0:1], v0
	s_waitcnt lgkmcnt(0)
	buffer_load_dword v2, off, s[0:3], s33 offset:76 ; 4-byte Folded Reload
	buffer_load_dword v3, off, s[0:3], s33 offset:80 ; 4-byte Folded Reload
	s_andn2_b64 s[36:37], s[36:37], exec
	s_waitcnt vmcnt(0)
	v_cmp_ge_u64_e32 vcc, v[0:1], v[2:3]
	s_orn2_b64 vcc, vcc, exec
	s_branch .LBB4_7553
.LBB4_7558:                             ;   in Loop: Header=BB4_7520 Depth=3
	s_or_b64 exec, exec, s[30:31]
	s_and_saveexec_b64 vcc, s[34:35]
	s_xor_b64 vcc, exec, vcc
	s_cbranch_execz .LBB4_7560
; %bb.7559:                             ;   in Loop: Header=BB4_7520 Depth=3
	v_mov_b32_e32 v0, 1
	ds_write_b32 v0, v0
	s_trap 2
.LBB4_7560:                             ;   in Loop: Header=BB4_7520 Depth=3
	s_or_b64 exec, exec, s[94:95]
	;;#ASMSTART
	s_wakeup
	;;#ASMEND
.LBB4_7561:                             ;   in Loop: Header=BB4_7520 Depth=3
	s_or_b64 exec, exec, s[92:93]
.LBB4_7562:                             ;   in Loop: Header=BB4_7520 Depth=3
	s_andn2_saveexec_b64 s[90:91], s[90:91]
	s_cbranch_execz .LBB4_7564
; %bb.7563:                             ;   in Loop: Header=BB4_7520 Depth=3
	s_waitcnt vmcnt(0) lgkmcnt(0)
	buffer_wbinvl1_vol
	s_barrier
.LBB4_7564:                             ;   in Loop: Header=BB4_7520 Depth=3
	s_or_b64 exec, exec, s[90:91]
.LBB4_7565:                             ;   in Loop: Header=BB4_7520 Depth=3
	s_or_b64 exec, exec, s[28:29]
                                        ; implicit-def: $vgpr0
	s_and_saveexec_b64 s[28:29], s[72:73]
	s_xor_b64 s[28:29], exec, s[28:29]
	s_cbranch_execz .LBB4_7577
; %bb.7566:                             ;   in Loop: Header=BB4_7520 Depth=3
	s_and_saveexec_b64 s[90:91], s[58:59]
	s_xor_b64 s[90:91], exec, s[90:91]
	s_cbranch_execz .LBB4_7582
; %bb.7567:                             ;   in Loop: Header=BB4_7520 Depth=3
	s_and_saveexec_b64 s[92:93], s[6:7]
	s_cbranch_execz .LBB4_7581
; %bb.7568:                             ;   in Loop: Header=BB4_7520 Depth=3
	s_mov_b64 s[30:31], exec
	v_mbcnt_lo_u32_b32 v0, s30, 0
	v_mbcnt_hi_u32_b32 v0, s31, v0
	v_cmp_eq_u32_e32 vcc, 0, v0
	;;#ASMSTART
	s_waitcnt lgkmcnt(0) vmcnt(0)
	;;#ASMEND
	s_and_saveexec_b64 s[94:95], vcc
	s_cbranch_execz .LBB4_7570
; %bb.7569:                             ;   in Loop: Header=BB4_7520 Depth=3
	s_bcnt1_i32_b64 vcc_lo, s[30:31]
	v_mov_b32_e32 v0, vcc_lo
	v_mov_b32_e32 v1, v17
	s_waitcnt lgkmcnt(0)
	ds_add_u64 v0, v[0:1]
	s_trap 2
.LBB4_7570:                             ;   in Loop: Header=BB4_7520 Depth=3
	s_or_b64 exec, exec, s[94:95]
	s_trap 2
	ds_read_b64 v[0:1], v0
	s_waitcnt lgkmcnt(0)
	buffer_load_dword v2, off, s[0:3], s33 offset:76 ; 4-byte Folded Reload
	buffer_load_dword v3, off, s[0:3], s33 offset:80 ; 4-byte Folded Reload
	buffer_load_dword v4, off, s[0:3], s33 offset:92 ; 4-byte Folded Reload
	s_waitcnt vmcnt(0)
	v_add_co_u32_e32 v2, vcc, v2, v4
	v_addc_co_u32_e32 v3, vcc, 0, v3, vcc
	buffer_store_dword v2, off, s[0:3], s33 offset:76 ; 4-byte Folded Spill
	s_nop 0
	buffer_store_dword v3, off, s[0:3], s33 offset:80 ; 4-byte Folded Spill
	v_cmp_lt_u64_e32 vcc, v[0:1], v[2:3]
	s_and_saveexec_b64 s[94:95], vcc
	s_cbranch_execz .LBB4_7580
; %bb.7571:                             ;   in Loop: Header=BB4_7520 Depth=3
	s_mov_b32 s50, 0
	s_mov_b64 s[30:31], 0
                                        ; implicit-def: $sgpr34_sgpr35
                                        ; implicit-def: $sgpr36_sgpr37
	s_branch .LBB4_7573
.LBB4_7572:                             ;   in Loop: Header=BB4_7573 Depth=4
	s_or_b64 exec, exec, s[48:49]
	s_and_b64 vcc, exec, vcc
	s_or_b64 s[30:31], vcc, s[30:31]
	s_andn2_b64 vcc, s[34:35], exec
	s_and_b64 s[34:35], s[36:37], exec
	s_or_b64 s[34:35], vcc, s[34:35]
	s_andn2_b64 exec, exec, s[30:31]
	s_cbranch_execz .LBB4_7578
.LBB4_7573:                             ;   Parent Loop BB4_47 Depth=1
                                        ;     Parent Loop BB4_3081 Depth=2
                                        ;       Parent Loop BB4_7520 Depth=3
                                        ; =>      This Inner Loop Header: Depth=4
	s_add_i32 s50, s50, 1
	s_cmpk_lg_i32 s50, 0x2710
	s_cselect_b64 s[38:39], -1, 0
	s_and_b64 vcc, exec, s[38:39]
	s_cbranch_vccz .LBB4_7575
; %bb.7574:                             ;   in Loop: Header=BB4_7573 Depth=4
	s_mov_b64 vcc, -1
	s_or_b64 s[36:37], s[36:37], exec
	s_and_saveexec_b64 s[48:49], s[38:39]
	s_cbranch_execz .LBB4_7572
	s_branch .LBB4_7576
.LBB4_7575:                             ;   in Loop: Header=BB4_7573 Depth=4
	s_trap 2
	ds_read_b64 v[0:1], v0
	s_andn2_b64 s[38:39], s[38:39], exec
	s_mov_b32 s50, 0
	s_waitcnt vmcnt(0) lgkmcnt(0)
	flat_load_dword v0, v[0:1] glc
	s_waitcnt vmcnt(0) lgkmcnt(0)
	buffer_wbinvl1_vol
	v_cmp_eq_u32_e32 vcc, 0, v0
	s_and_b64 vcc, vcc, exec
	s_or_b64 s[38:39], s[38:39], vcc
	s_mov_b64 vcc, -1
	s_or_b64 s[36:37], s[36:37], exec
	s_and_saveexec_b64 s[48:49], s[38:39]
	s_cbranch_execz .LBB4_7572
.LBB4_7576:                             ;   in Loop: Header=BB4_7573 Depth=4
	s_sleep 1
	s_trap 2
	ds_read_b64 v[0:1], v0
	s_waitcnt lgkmcnt(0)
	buffer_load_dword v2, off, s[0:3], s33 offset:76 ; 4-byte Folded Reload
	buffer_load_dword v3, off, s[0:3], s33 offset:80 ; 4-byte Folded Reload
	s_andn2_b64 s[36:37], s[36:37], exec
	s_waitcnt vmcnt(0)
	v_cmp_ge_u64_e32 vcc, v[0:1], v[2:3]
	s_orn2_b64 vcc, vcc, exec
	s_branch .LBB4_7572
.LBB4_7577:                             ;   in Loop: Header=BB4_7520 Depth=3
	s_andn2_saveexec_b64 s[28:29], s[28:29]
	s_cbranch_execnz .LBB4_7585
	s_branch .LBB4_7588
.LBB4_7578:                             ;   in Loop: Header=BB4_7520 Depth=3
	s_or_b64 exec, exec, s[30:31]
	s_and_saveexec_b64 vcc, s[34:35]
	s_xor_b64 vcc, exec, vcc
	s_cbranch_execz .LBB4_7580
; %bb.7579:                             ;   in Loop: Header=BB4_7520 Depth=3
	v_mov_b32_e32 v0, 1
	ds_write_b32 v0, v0
	s_trap 2
.LBB4_7580:                             ;   in Loop: Header=BB4_7520 Depth=3
	s_or_b64 exec, exec, s[94:95]
	;;#ASMSTART
	s_wakeup
	;;#ASMEND
.LBB4_7581:                             ;   in Loop: Header=BB4_7520 Depth=3
	s_or_b64 exec, exec, s[92:93]
.LBB4_7582:                             ;   in Loop: Header=BB4_7520 Depth=3
	s_andn2_saveexec_b64 s[90:91], s[90:91]
	s_cbranch_execz .LBB4_7584
; %bb.7583:                             ;   in Loop: Header=BB4_7520 Depth=3
	;;#ASMSTART
	s_waitcnt lgkmcnt(0) vmcnt(0)
	;;#ASMEND
	s_waitcnt vmcnt(0) lgkmcnt(0)
	s_barrier
.LBB4_7584:                             ;   in Loop: Header=BB4_7520 Depth=3
	s_or_b64 exec, exec, s[90:91]
	buffer_load_dword v0, off, s[0:3], s33 offset:72 ; 4-byte Folded Reload
	s_waitcnt vmcnt(0)
	v_and_b32_e32 v0, 16, v0
	s_andn2_saveexec_b64 s[28:29], s[28:29]
	s_cbranch_execz .LBB4_7588
.LBB4_7585:                             ;   in Loop: Header=BB4_7520 Depth=3
	s_trap 2
	buffer_load_dword v1, off, s[0:3], s33 offset:72 ; 4-byte Folded Reload
	ds_read_b32 v0, v0
	v_cmp_lt_i32_e32 vcc, 0, v9
	s_waitcnt lgkmcnt(0)
	v_readfirstlane_b32 s90, v0
	s_cmp_eq_u32 s90, 0
	s_cselect_b64 s[90:91], -1, 0
	s_and_b64 s[90:91], vcc, s[90:91]
	s_waitcnt vmcnt(0)
	v_and_b32_e32 v0, 16, v1
	v_and_b32_e32 v1, 16, v1
	v_cmp_ne_u32_e32 vcc, 0, v1
	s_and_b64 s[92:93], vcc, s[90:91]
	s_and_saveexec_b64 s[90:91], s[92:93]
	s_cbranch_execz .LBB4_7587
; %bb.7586:                             ;   in Loop: Header=BB4_7520 Depth=3
	v_mov_b32_e32 v0, 1
	buffer_wbinvl1_vol
.LBB4_7587:                             ;   in Loop: Header=BB4_7520 Depth=3
	s_or_b64 exec, exec, s[90:91]
.LBB4_7588:                             ;   in Loop: Header=BB4_7520 Depth=3
	s_or_b64 exec, exec, s[28:29]
	v_cmp_ne_u32_e32 vcc, 0, v0
	s_xor_b64 s[28:29], s[20:21], -1
	s_and_b64 s[90:91], vcc, s[28:29]
	s_and_saveexec_b64 s[28:29], s[90:91]
	s_cbranch_execz .LBB4_7590
; %bb.7589:                             ;   in Loop: Header=BB4_7520 Depth=3
	buffer_load_dword v0, off, s[0:3], s33 offset:140 ; 4-byte Folded Reload
	buffer_load_dword v1, off, s[0:3], s33 offset:144 ; 4-byte Folded Reload
	v_mov_b32_e32 v2, 1
	s_waitcnt vmcnt(0)
	flat_store_dword v[0:1], v2
.LBB4_7590:                             ;   in Loop: Header=BB4_7520 Depth=3
	s_or_b64 exec, exec, s[28:29]
	buffer_load_dword v0, off, s[0:3], s33 offset:72 ; 4-byte Folded Reload
	s_waitcnt vmcnt(0)
	v_and_b32_e32 v0, 48, v0
	v_cmp_ne_u32_e32 vcc, 0, v0
	s_and_saveexec_b64 s[28:29], vcc
	s_cbranch_execz .LBB4_7519
; %bb.7591:                             ;   in Loop: Header=BB4_7520 Depth=3
	buffer_load_dword v2, off, s[0:3], s33 offset:84 ; 4-byte Folded Reload
	buffer_load_dword v3, off, s[0:3], s33 offset:88 ; 4-byte Folded Reload
	;; [unrolled: 1-line block ×4, first 2 shown]
	s_waitcnt vmcnt(0)
	v_add_co_u32_e32 v2, vcc, 2, v2
	v_addc_co_u32_e32 v3, vcc, 0, v3, vcc
	buffer_store_dword v2, off, s[0:3], s33 offset:84 ; 4-byte Folded Spill
	s_nop 0
	buffer_store_dword v3, off, s[0:3], s33 offset:88 ; 4-byte Folded Spill
	flat_store_dwordx2 v[0:1], v[2:3]
	s_branch .LBB4_7519
.LBB4_7592:                             ;   in Loop: Header=BB4_47 Depth=1
	buffer_load_dword v4, off, s[0:3], s33 offset:352 ; 4-byte Folded Reload
	buffer_load_dword v5, off, s[0:3], s33 offset:356 ; 4-byte Folded Reload
	s_waitcnt vmcnt(0)
	v_mul_lo_u32 v3, v4, s67
	v_mul_lo_u32 v2, v5, s66
	v_mad_u64_u32 v[0:1], s[28:29], v4, s66, 0
	v_add3_u32 v1, v1, v3, v2
	buffer_load_dword v2, off, s[0:3], s33 offset:344 ; 4-byte Folded Reload
	buffer_load_dword v3, off, s[0:3], s33 offset:348 ; 4-byte Folded Reload
	s_waitcnt vmcnt(0)
	v_sub_co_u32_e32 v2, vcc, v2, v0
	v_subb_co_u32_e32 v3, vcc, v3, v1, vcc
	v_cmp_lt_i64_e32 vcc, v[4:5], v[2:3]
	v_cndmask_b32_e32 v3, v2, v4, vcc
	v_max_i32_e32 v47, 0, v3
	v_add_u32_e32 v4, 31, v47
	v_lshrrev_b32_e32 v4, 1, v4
	v_and_b32_e32 v4, 0x3ffffff0, v4
	v_cmp_lt_i32_e32 vcc, 0, v3
	v_mov_b32_e32 v2, 0
	v_max_i32_e32 v4, s81, v4
	s_and_b64 s[28:29], s[74:75], vcc
	v_mov_b32_e32 v3, 0
	buffer_store_dword v4, off, s[0:3], s33 offset:100 ; 4-byte Folded Spill
	s_nop 0
	buffer_store_dword v5, off, s[0:3], s33 offset:104 ; 4-byte Folded Spill
	buffer_store_dword v3, off, s[0:3], s33 offset:148 ; 4-byte Folded Spill
	s_and_saveexec_b64 s[90:91], s[28:29]
	s_cbranch_execnz .LBB4_7593
; %bb.16943:                            ;   in Loop: Header=BB4_47 Depth=1
	s_getpc_b64 s[98:99]
.Lpost_getpc17:
	s_add_u32 s98, s98, (.LBB4_16352-.Lpost_getpc17)&4294967295
	s_addc_u32 s99, s99, (.LBB4_16352-.Lpost_getpc17)>>32
	s_setpc_b64 s[98:99]
.LBB4_7593:                             ;   in Loop: Header=BB4_47 Depth=1
	buffer_load_dword v2, off, s[0:3], s33 offset:196 ; 4-byte Folded Reload
	s_mov_b32 s8, 1
	s_mov_b64 s[94:95], -1
	s_mov_b64 s[92:93], 0
	buffer_store_dword v47, off, s[0:3], s33 offset:236 ; 4-byte Folded Spill
	s_waitcnt vmcnt(0)
	v_add_co_u32_e32 v0, vcc, v0, v2
	buffer_store_dword v0, off, s[0:3], s33 offset:244 ; 4-byte Folded Spill
	buffer_load_dword v0, off, s[0:3], s33 offset:200 ; 4-byte Folded Reload
	s_waitcnt vmcnt(0)
	v_addc_co_u32_e32 v0, vcc, v1, v0, vcc
	buffer_store_dword v0, off, s[0:3], s33 offset:248 ; 4-byte Folded Spill
	v_mov_b32_e32 v0, 0
	buffer_store_dword v0, off, s[0:3], s33 offset:148 ; 4-byte Folded Spill
	s_branch .LBB4_7595
.LBB4_7594:                             ;   in Loop: Header=BB4_7595 Depth=2
	s_or_b64 exec, exec, s[28:29]
	buffer_load_dword v0, off, s[0:3], s33 offset:100 ; 4-byte Folded Reload
	buffer_load_dword v1, off, s[0:3], s33 offset:104 ; 4-byte Folded Reload
	;; [unrolled: 1-line block ×3, first 2 shown]
	s_xor_b64 s[28:29], s[94:95], -1
	s_mov_b64 s[94:95], 0
	v_mov_b32_e32 v2, s8
	s_mov_b32 s8, 2
	s_waitcnt vmcnt(0)
	v_add_u32_e32 v1, v0, v1
	v_cmp_ge_i32_e32 vcc, v1, v47
	s_or_b64 s[28:29], s[28:29], vcc
	s_and_b64 s[28:29], exec, s[28:29]
	s_or_b64 s[92:93], s[28:29], s[92:93]
	buffer_store_dword v1, off, s[0:3], s33 offset:148 ; 4-byte Folded Spill
	s_andn2_b64 exec, exec, s[92:93]
	s_cbranch_execnz .LBB4_7595
; %bb.16945:                            ;   in Loop: Header=BB4_47 Depth=1
	s_getpc_b64 s[98:99]
.Lpost_getpc18:
	s_add_u32 s98, s98, (.LBB4_16427-.Lpost_getpc18)&4294967295
	s_addc_u32 s99, s99, (.LBB4_16427-.Lpost_getpc18)>>32
	s_setpc_b64 s[98:99]
.LBB4_7595:                             ;   Parent Loop BB4_47 Depth=1
                                        ; =>  This Loop Header: Depth=2
                                        ;       Child Loop BB4_7603 Depth 3
                                        ;       Child Loop BB4_7631 Depth 3
                                        ;       Child Loop BB4_7650 Depth 3
                                        ;       Child Loop BB4_12002 Depth 3
                                        ;       Child Loop BB4_14063 Depth 3
                                        ;       Child Loop BB4_15069 Depth 3
                                        ;       Child Loop BB4_16232 Depth 3
                                        ;       Child Loop BB4_7680 Depth 3
                                        ;       Child Loop BB4_9739 Depth 3
                                        ;         Child Loop BB4_10720 Depth 4
                                        ;       Child Loop BB4_10749 Depth 3
                                        ;       Child Loop BB4_11910 Depth 3
                                        ;         Child Loop BB4_11989 Depth 4
                                        ;       Child Loop BB4_16318 Depth 3
                                        ;       Child Loop BB4_16337 Depth 3
	s_and_saveexec_b64 s[28:29], s[4:5]
	s_cbranch_execz .LBB4_7597
; %bb.7596:                             ;   in Loop: Header=BB4_7595 Depth=2
	s_trap 2
	buffer_load_dword v6, off, s[0:3], s33 offset:244 ; 4-byte Folded Reload
	buffer_load_dword v7, off, s[0:3], s33 offset:248 ; 4-byte Folded Reload
	;; [unrolled: 1-line block ×3, first 2 shown]
	ds_read2_b64 v[0:3], v0 offset1:1
	s_waitcnt vmcnt(0) lgkmcnt(0)
	v_add_co_u32_e32 v0, vcc, v0, v6
	v_addc_co_u32_e32 v1, vcc, v1, v7, vcc
	v_ashrrev_i32_e32 v4, 31, v5
	v_add_co_u32_e32 v0, vcc, v0, v5
	v_addc_co_u32_e32 v1, vcc, v1, v4, vcc
	ds_write_b64 v0, v[0:1]
	v_add_co_u32_e32 v0, vcc, v2, v6
	v_addc_co_u32_e32 v1, vcc, v3, v7, vcc
	v_add_co_u32_e32 v0, vcc, v0, v5
	v_addc_co_u32_e32 v1, vcc, v1, v4, vcc
	ds_write_b64 v0, v[0:1]
	ds_read_b64 v[0:1], v0
	s_waitcnt lgkmcnt(0)
	v_add_co_u32_e32 v2, vcc, v0, v6
	v_addc_co_u32_e32 v3, vcc, v1, v7, vcc
	v_add_co_u32_e32 v2, vcc, v2, v5
	v_addc_co_u32_e32 v3, vcc, v3, v4, vcc
	v_cmp_ne_u64_e32 vcc, 0, v[0:1]
	v_cndmask_b32_e32 v1, 0, v3, vcc
	v_cndmask_b32_e32 v0, 0, v2, vcc
	ds_write_b64 v0, v[0:1]
.LBB4_7597:                             ;   in Loop: Header=BB4_7595 Depth=2
	s_or_b64 exec, exec, s[28:29]
	buffer_load_dword v0, off, s[0:3], s33 offset:148 ; 4-byte Folded Reload
	buffer_load_dword v1, off, s[0:3], s33 offset:100 ; 4-byte Folded Reload
	;; [unrolled: 1-line block ×3, first 2 shown]
	s_waitcnt vmcnt(0)
	v_sub_u32_e32 v0, v47, v0
	v_min_i32_e32 v1, v1, v0
	buffer_store_dword v1, off, s[0:3], s33 offset:100 ; 4-byte Folded Spill
	s_nop 0
	buffer_store_dword v2, off, s[0:3], s33 offset:104 ; 4-byte Folded Spill
	buffer_load_dword v0, off, s[0:3], s33 offset:72 ; 4-byte Folded Reload
	s_waitcnt vmcnt(0)
	v_and_b32_e32 v0, 12, v0
	v_cmp_ne_u32_e32 vcc, 0, v0
	s_and_saveexec_b64 s[40:41], vcc
	s_cbranch_execz .LBB4_7623
; %bb.7598:                             ;   in Loop: Header=BB4_7595 Depth=2
	buffer_load_dword v0, off, s[0:3], s33 offset:72 ; 4-byte Folded Reload
	s_waitcnt vmcnt(0)
	v_and_b32_e32 v8, 8, v0
	buffer_load_dword v0, off, s[0:3], s33 offset:56 ; 4-byte Folded Reload
	buffer_load_dword v1, off, s[0:3], s33 offset:60 ; 4-byte Folded Reload
	s_waitcnt vmcnt(0)
	v_add_co_u32_e32 v2, vcc, v0, v8
	v_addc_co_u32_e32 v3, vcc, 0, v1, vcc
	buffer_load_dword v0, off, s[0:3], s33 offset:84 ; 4-byte Folded Reload
	buffer_load_dword v1, off, s[0:3], s33 offset:88 ; 4-byte Folded Reload
	s_waitcnt vmcnt(0)
	v_add_co_u32_e32 v0, vcc, 2, v0
	v_addc_co_u32_e32 v1, vcc, 0, v1, vcc
	v_cmp_lt_u64_e32 vcc, v[2:3], v[0:1]
	s_and_saveexec_b64 s[42:43], vcc
	s_cbranch_execz .LBB4_7610
; %bb.7599:                             ;   in Loop: Header=BB4_7595 Depth=2
	buffer_load_dword v2, off, s[0:3], s33 offset:72 ; 4-byte Folded Reload
	s_mov_b32 s69, 0
	s_mov_b64 s[30:31], 0
                                        ; implicit-def: $sgpr34_sgpr35
                                        ; implicit-def: $sgpr36_sgpr37
                                        ; implicit-def: $sgpr38_sgpr39
	s_waitcnt vmcnt(0)
	v_and_b32_e32 v2, 64, v2
	v_cmp_eq_u32_e32 vcc, 0, v2
	s_branch .LBB4_7603
.LBB4_7600:                             ;   in Loop: Header=BB4_7603 Depth=3
	buffer_load_dword v3, off, s[0:3], s33 offset:56 ; 4-byte Folded Reload
	buffer_load_dword v4, off, s[0:3], s33 offset:60 ; 4-byte Folded Reload
	s_or_b64 s[52:53], s[52:53], exec
	s_waitcnt vmcnt(1)
	v_add_co_u32_e64 v3, s[28:29], v3, v8
	s_waitcnt vmcnt(0)
	v_addc_co_u32_e64 v4, s[28:29], 0, v4, s[28:29]
	v_cmp_ge_u64_e64 s[28:29], v[3:4], v[0:1]
	s_orn2_b64 s[50:51], s[28:29], exec
.LBB4_7601:                             ;   in Loop: Header=BB4_7603 Depth=3
	s_or_b64 exec, exec, s[64:65]
	s_andn2_b64 s[28:29], s[38:39], exec
	s_and_b64 s[38:39], s[52:53], exec
	s_or_b64 s[38:39], s[28:29], s[38:39]
	s_andn2_b64 s[28:29], s[36:37], exec
	s_and_b64 s[36:37], s[50:51], exec
	s_or_b64 s[36:37], s[28:29], s[36:37]
.LBB4_7602:                             ;   in Loop: Header=BB4_7603 Depth=3
	s_or_b64 exec, exec, s[48:49]
	s_and_b64 s[28:29], exec, s[36:37]
	s_or_b64 s[30:31], s[28:29], s[30:31]
	s_andn2_b64 s[28:29], s[34:35], exec
	s_and_b64 s[34:35], s[38:39], exec
	s_or_b64 s[34:35], s[28:29], s[34:35]
	s_andn2_b64 exec, exec, s[30:31]
	s_cbranch_execz .LBB4_7607
.LBB4_7603:                             ;   Parent Loop BB4_47 Depth=1
                                        ;     Parent Loop BB4_7595 Depth=2
                                        ; =>    This Inner Loop Header: Depth=3
	s_sleep 1
	buffer_load_dword v2, off, s[0:3], s33 offset:64 ; 4-byte Folded Reload
	buffer_load_dword v3, off, s[0:3], s33 offset:68 ; 4-byte Folded Reload
	s_or_b64 s[38:39], s[38:39], exec
	s_or_b64 s[36:37], s[36:37], exec
	s_waitcnt vmcnt(0)
	flat_load_dwordx2 v[2:3], v[2:3] glc
	s_waitcnt vmcnt(0) lgkmcnt(0)
	buffer_store_dword v2, off, s[0:3], s33 offset:56 ; 4-byte Folded Spill
	s_nop 0
	buffer_store_dword v3, off, s[0:3], s33 offset:60 ; 4-byte Folded Spill
                                        ; implicit-def: $vgpr2
	s_and_saveexec_b64 s[48:49], vcc
	s_cbranch_execz .LBB4_7602
; %bb.7604:                             ;   in Loop: Header=BB4_7603 Depth=3
	s_cmpk_lt_i32 s69, 0x270f
	s_cselect_b64 s[54:55], -1, 0
	s_cmpk_gt_i32 s69, 0x270e
	s_mov_b64 s[50:51], -1
	s_cbranch_scc0 .LBB4_7606
; %bb.7605:                             ;   in Loop: Header=BB4_7603 Depth=3
	s_trap 2
	ds_read_b64 v[2:3], v0
	s_andn2_b64 s[54:55], s[54:55], exec
	s_mov_b32 s69, 0
	s_mov_b64 s[52:53], 0
	s_waitcnt vmcnt(0) lgkmcnt(0)
	flat_load_dword v2, v[2:3] glc
	s_waitcnt vmcnt(0) lgkmcnt(0)
	buffer_wbinvl1_vol
	v_cmp_eq_u32_e64 s[28:29], 0, v2
	s_and_b64 s[28:29], s[28:29], exec
	s_or_b64 s[54:55], s[54:55], s[28:29]
	s_and_saveexec_b64 s[64:65], s[54:55]
	s_cbranch_execz .LBB4_7601
	s_branch .LBB4_7600
.LBB4_7606:                             ;   in Loop: Header=BB4_7603 Depth=3
	s_add_i32 s69, s69, 1
	s_mov_b64 s[52:53], -1
                                        ; implicit-def: $vgpr2
	s_and_saveexec_b64 s[64:65], s[54:55]
	s_cbranch_execz .LBB4_7601
	s_branch .LBB4_7600
.LBB4_7607:                             ;   in Loop: Header=BB4_7595 Depth=2
	s_or_b64 exec, exec, s[30:31]
	s_xor_b64 s[28:29], s[34:35], -1
	s_and_saveexec_b64 vcc, s[28:29]
	s_xor_b64 s[28:29], exec, vcc
	s_cbranch_execz .LBB4_7609
; %bb.7608:                             ;   in Loop: Header=BB4_7595 Depth=2
	ds_write_b32 v0, v2
	s_trap 2
	buffer_load_dword v2, off, s[0:3], s33 offset:72 ; 4-byte Folded Reload
	s_waitcnt vmcnt(0)
	v_or_b32_e32 v2, 64, v2
	buffer_store_dword v2, off, s[0:3], s33 offset:72 ; 4-byte Folded Spill
.LBB4_7609:                             ;   in Loop: Header=BB4_7595 Depth=2
	s_or_b64 exec, exec, s[28:29]
.LBB4_7610:                             ;   in Loop: Header=BB4_7595 Depth=2
	s_or_b64 exec, exec, s[42:43]
	;;#ASMSTART
	s_wakeup
	;;#ASMEND
	buffer_load_dword v2, off, s[0:3], s33 offset:72 ; 4-byte Folded Reload
	s_waitcnt vmcnt(0)
	v_and_b32_e32 v2, 0x108, v2
	v_cmp_ne_u32_e32 vcc, s9, v2
                                        ; implicit-def: $vgpr2_vgpr3
	s_and_saveexec_b64 s[28:29], vcc
	s_xor_b64 s[28:29], exec, s[28:29]
	s_cbranch_execz .LBB4_7612
; %bb.7611:                             ;   in Loop: Header=BB4_7595 Depth=2
	buffer_load_dword v2, off, s[0:3], s33 offset:84 ; 4-byte Folded Reload
	buffer_load_dword v3, off, s[0:3], s33 offset:88 ; 4-byte Folded Reload
	s_waitcnt vmcnt(0)
	v_mov_b32_e32 v3, v17
                                        ; implicit-def: $vgpr4_vgpr5
                                        ; kill: killed $vgpr4_vgpr5
	v_and_b32_e32 v2, 7, v2
.LBB4_7612:                             ;   in Loop: Header=BB4_7595 Depth=2
	s_andn2_saveexec_b64 s[28:29], s[28:29]
	s_cbranch_execz .LBB4_7614
; %bb.7613:                             ;   in Loop: Header=BB4_7595 Depth=2
	buffer_load_dword v2, off, s[0:3], s33 offset:84 ; 4-byte Folded Reload
	buffer_load_dword v3, off, s[0:3], s33 offset:88 ; 4-byte Folded Reload
	;; [unrolled: 1-line block ×8, first 2 shown]
	s_waitcnt vmcnt(0)
	v_and_b32_e32 v2, 7, v2
	v_mad_u64_u32 v[4:5], s[42:43], v2, 24, v[3:4]
	v_mov_b32_e32 v9, v6
	v_mov_b32_e32 v3, v17
	v_ashrrev_i32_e32 v10, 31, v9
	buffer_store_dword v6, off, s[0:3], s33 offset:100 ; 4-byte Folded Spill
	s_nop 0
	buffer_store_dword v7, off, s[0:3], s33 offset:104 ; 4-byte Folded Spill
	flat_store_dwordx2 v[4:5], v[9:10] offset:8
.LBB4_7614:                             ;   in Loop: Header=BB4_7595 Depth=2
	s_or_b64 exec, exec, s[28:29]
	buffer_load_dword v4, off, s[0:3], s33 offset:72 ; 4-byte Folded Reload
	s_mov_b64 s[28:29], -1
	s_waitcnt vmcnt(0)
	v_and_b32_e32 v4, 0x100, v4
	v_cmp_ne_u32_e32 vcc, 0, v4
                                        ; implicit-def: $vgpr4_vgpr5
	s_and_saveexec_b64 s[42:43], vcc
	s_cbranch_execz .LBB4_7618
; %bb.7615:                             ;   in Loop: Header=BB4_7595 Depth=2
	buffer_load_dword v4, off, s[0:3], s33 offset:124 ; 4-byte Folded Reload
	buffer_load_dword v5, off, s[0:3], s33 offset:128 ; 4-byte Folded Reload
	;; [unrolled: 1-line block ×4, first 2 shown]
	s_waitcnt vmcnt(0)
	v_mad_u64_u32 v[6:7], s[28:29], v2, 24, v[4:5]
	v_mov_b32_e32 v4, v7
	v_mad_u64_u32 v[4:5], s[28:29], v3, 24, v[4:5]
	v_mov_b32_e32 v7, v4
	flat_load_dword v4, v[6:7]
	s_waitcnt vmcnt(0) lgkmcnt(0)
	v_cmp_ne_u32_e32 vcc, 1, v4
	v_cmp_eq_u32_e64 s[28:29], 1, v4
                                        ; implicit-def: $vgpr4_vgpr5
	s_and_saveexec_b64 s[30:31], s[28:29]
	s_cbranch_execz .LBB4_7617
; %bb.7616:                             ;   in Loop: Header=BB4_7595 Depth=2
	flat_load_dword v4, v[6:7] offset:4 glc
	s_waitcnt vmcnt(0) lgkmcnt(0)
	v_ashrrev_i32_e32 v5, 31, v4
.LBB4_7617:                             ;   in Loop: Header=BB4_7595 Depth=2
	s_or_b64 exec, exec, s[30:31]
	s_orn2_b64 s[28:29], vcc, exec
.LBB4_7618:                             ;   in Loop: Header=BB4_7595 Depth=2
	s_or_b64 exec, exec, s[42:43]
	s_and_saveexec_b64 s[42:43], s[28:29]
	s_cbranch_execz .LBB4_7620
; %bb.7619:                             ;   in Loop: Header=BB4_7595 Depth=2
	buffer_load_dword v4, off, s[0:3], s33 offset:152 ; 4-byte Folded Reload
	buffer_load_dword v5, off, s[0:3], s33 offset:172 ; 4-byte Folded Reload
	s_waitcnt vmcnt(0)
	v_mul_lo_u32 v3, v3, v4
	v_mul_lo_u32 v6, v2, v5
	v_mad_u64_u32 v[4:5], s[28:29], v2, v4, 0
	v_add3_u32 v5, v5, v6, v3
.LBB4_7620:                             ;   in Loop: Header=BB4_7595 Depth=2
	s_or_b64 exec, exec, s[42:43]
	v_cmp_eq_u32_e32 vcc, 0, v8
	v_mov_b32_e32 v2, 0x90
	v_mov_b32_e32 v3, 0xd0
	v_cndmask_b32_e32 v6, v3, v2, vcc
	buffer_load_dword v2, off, s[0:3], s33 offset:116 ; 4-byte Folded Reload
	buffer_load_dword v3, off, s[0:3], s33 offset:120 ; 4-byte Folded Reload
	s_waitcnt vmcnt(0)
	v_add_co_u32_e32 v2, vcc, v2, v4
	v_addc_co_u32_e32 v3, vcc, v3, v5, vcc
	v_add_u32_e32 v4, v0, v6
	ds_write_b64 v4, v[2:3] offset:584
	buffer_load_dword v2, off, s[0:3], s33 offset:72 ; 4-byte Folded Reload
	s_waitcnt vmcnt(0)
	v_and_b32_e32 v2, 0x2000, v2
	v_cmp_ne_u32_e32 vcc, 0, v2
	s_and_saveexec_b64 s[28:29], vcc
	s_cbranch_execz .LBB4_7622
; %bb.7621:                             ;   in Loop: Header=BB4_7595 Depth=2
	ds_read_b64 v[2:3], v0 offset:872
	s_waitcnt lgkmcnt(0)
	v_add_co_u32_e32 v2, vcc, 1, v2
	v_addc_co_u32_e32 v3, vcc, 0, v3, vcc
	ds_write_b64 v0, v[2:3] offset:872
.LBB4_7622:                             ;   in Loop: Header=BB4_7595 Depth=2
	s_or_b64 exec, exec, s[28:29]
	buffer_store_dword v0, off, s[0:3], s33 offset:84 ; 4-byte Folded Spill
	s_nop 0
	buffer_store_dword v1, off, s[0:3], s33 offset:88 ; 4-byte Folded Spill
.LBB4_7623:                             ;   in Loop: Header=BB4_7595 Depth=2
	s_or_b64 exec, exec, s[40:41]
	s_and_saveexec_b64 s[28:29], s[12:13]
	s_cbranch_execz .LBB4_7642
; %bb.7624:                             ;   in Loop: Header=BB4_7595 Depth=2
	s_and_saveexec_b64 s[40:41], s[58:59]
	s_xor_b64 s[40:41], exec, s[40:41]
	s_cbranch_execz .LBB4_7639
; %bb.7625:                             ;   in Loop: Header=BB4_7595 Depth=2
	s_and_saveexec_b64 s[42:43], s[6:7]
	s_cbranch_execz .LBB4_7638
; %bb.7626:                             ;   in Loop: Header=BB4_7595 Depth=2
	s_mov_b64 s[34:35], exec
	v_mbcnt_lo_u32_b32 v0, s34, 0
	v_mbcnt_hi_u32_b32 v0, s35, v0
	v_cmp_eq_u32_e32 vcc, 0, v0
	s_waitcnt vmcnt(0) lgkmcnt(0)
	buffer_wbinvl1_vol
	s_and_saveexec_b64 s[30:31], vcc
	s_cbranch_execz .LBB4_7628
; %bb.7627:                             ;   in Loop: Header=BB4_7595 Depth=2
	s_bcnt1_i32_b64 vcc_lo, s[34:35]
	v_mov_b32_e32 v0, vcc_lo
	v_mov_b32_e32 v1, v17
	ds_add_u64 v0, v[0:1]
	s_trap 2
.LBB4_7628:                             ;   in Loop: Header=BB4_7595 Depth=2
	s_or_b64 exec, exec, s[30:31]
	s_trap 2
	ds_read_b64 v[0:1], v0
	s_waitcnt lgkmcnt(0)
	buffer_load_dword v2, off, s[0:3], s33 offset:76 ; 4-byte Folded Reload
	buffer_load_dword v3, off, s[0:3], s33 offset:80 ; 4-byte Folded Reload
	;; [unrolled: 1-line block ×3, first 2 shown]
	s_waitcnt vmcnt(0)
	v_add_co_u32_e32 v2, vcc, v2, v4
	v_addc_co_u32_e32 v3, vcc, 0, v3, vcc
	buffer_store_dword v2, off, s[0:3], s33 offset:76 ; 4-byte Folded Spill
	s_nop 0
	buffer_store_dword v3, off, s[0:3], s33 offset:80 ; 4-byte Folded Spill
	v_cmp_lt_u64_e32 vcc, v[0:1], v[2:3]
	s_and_saveexec_b64 s[30:31], vcc
	s_cbranch_execz .LBB4_7637
; %bb.7629:                             ;   in Loop: Header=BB4_7595 Depth=2
	s_mov_b32 s52, 0
	s_mov_b64 s[34:35], 0
                                        ; implicit-def: $sgpr36_sgpr37
                                        ; implicit-def: $sgpr38_sgpr39
	s_branch .LBB4_7631
.LBB4_7630:                             ;   in Loop: Header=BB4_7631 Depth=3
	s_or_b64 exec, exec, s[50:51]
	s_and_b64 vcc, exec, vcc
	s_or_b64 s[34:35], vcc, s[34:35]
	s_andn2_b64 vcc, s[36:37], exec
	s_and_b64 s[36:37], s[38:39], exec
	s_or_b64 s[36:37], vcc, s[36:37]
	s_andn2_b64 exec, exec, s[34:35]
	s_cbranch_execz .LBB4_7635
.LBB4_7631:                             ;   Parent Loop BB4_47 Depth=1
                                        ;     Parent Loop BB4_7595 Depth=2
                                        ; =>    This Inner Loop Header: Depth=3
	s_add_i32 s52, s52, 1
	s_cmpk_lg_i32 s52, 0x2710
	s_cselect_b64 s[48:49], -1, 0
	s_and_b64 vcc, exec, s[48:49]
	s_cbranch_vccz .LBB4_7633
; %bb.7632:                             ;   in Loop: Header=BB4_7631 Depth=3
	s_mov_b64 vcc, -1
	s_or_b64 s[38:39], s[38:39], exec
	s_and_saveexec_b64 s[50:51], s[48:49]
	s_cbranch_execz .LBB4_7630
	s_branch .LBB4_7634
.LBB4_7633:                             ;   in Loop: Header=BB4_7631 Depth=3
	s_trap 2
	ds_read_b64 v[0:1], v0
	s_andn2_b64 s[48:49], s[48:49], exec
	s_mov_b32 s52, 0
	s_waitcnt vmcnt(0) lgkmcnt(0)
	flat_load_dword v0, v[0:1] glc
	s_waitcnt vmcnt(0) lgkmcnt(0)
	buffer_wbinvl1_vol
	v_cmp_eq_u32_e32 vcc, 0, v0
	s_and_b64 vcc, vcc, exec
	s_or_b64 s[48:49], s[48:49], vcc
	s_mov_b64 vcc, -1
	s_or_b64 s[38:39], s[38:39], exec
	s_and_saveexec_b64 s[50:51], s[48:49]
	s_cbranch_execz .LBB4_7630
.LBB4_7634:                             ;   in Loop: Header=BB4_7631 Depth=3
	s_sleep 1
	s_trap 2
	ds_read_b64 v[0:1], v0
	s_waitcnt lgkmcnt(0)
	buffer_load_dword v2, off, s[0:3], s33 offset:76 ; 4-byte Folded Reload
	buffer_load_dword v3, off, s[0:3], s33 offset:80 ; 4-byte Folded Reload
	s_andn2_b64 s[38:39], s[38:39], exec
	s_waitcnt vmcnt(0)
	v_cmp_ge_u64_e32 vcc, v[0:1], v[2:3]
	s_orn2_b64 vcc, vcc, exec
	s_branch .LBB4_7630
.LBB4_7635:                             ;   in Loop: Header=BB4_7595 Depth=2
	s_or_b64 exec, exec, s[34:35]
	s_and_saveexec_b64 vcc, s[36:37]
	s_xor_b64 vcc, exec, vcc
	s_cbranch_execz .LBB4_7637
; %bb.7636:                             ;   in Loop: Header=BB4_7595 Depth=2
	v_mov_b32_e32 v0, 1
	ds_write_b32 v0, v0
	s_trap 2
.LBB4_7637:                             ;   in Loop: Header=BB4_7595 Depth=2
	s_or_b64 exec, exec, s[30:31]
	;;#ASMSTART
	s_wakeup
	;;#ASMEND
.LBB4_7638:                             ;   in Loop: Header=BB4_7595 Depth=2
	s_or_b64 exec, exec, s[42:43]
.LBB4_7639:                             ;   in Loop: Header=BB4_7595 Depth=2
	s_andn2_saveexec_b64 s[40:41], s[40:41]
	s_cbranch_execz .LBB4_7641
; %bb.7640:                             ;   in Loop: Header=BB4_7595 Depth=2
	s_waitcnt vmcnt(0) lgkmcnt(0)
	buffer_wbinvl1_vol
	s_barrier
.LBB4_7641:                             ;   in Loop: Header=BB4_7595 Depth=2
	s_or_b64 exec, exec, s[40:41]
.LBB4_7642:                             ;   in Loop: Header=BB4_7595 Depth=2
	s_or_b64 exec, exec, s[28:29]
	s_trap 2
	buffer_load_dword v1, off, s[0:3], s33 offset:72 ; 4-byte Folded Reload
	ds_read_b32 v0, v0
	s_xor_b64 s[28:29], s[10:11], -1
	s_waitcnt vmcnt(0)
	v_and_b32_e32 v1, 0x4000, v1
	v_cmp_ne_u32_e32 vcc, 0, v1
	s_and_b64 s[40:41], s[28:29], vcc
	s_and_saveexec_b64 s[28:29], s[40:41]
	s_cbranch_execz .LBB4_7661
; %bb.7643:                             ;   in Loop: Header=BB4_7595 Depth=2
	s_and_saveexec_b64 s[40:41], s[58:59]
	s_xor_b64 s[40:41], exec, s[40:41]
	s_cbranch_execz .LBB4_7658
; %bb.7644:                             ;   in Loop: Header=BB4_7595 Depth=2
	s_and_saveexec_b64 s[42:43], s[6:7]
	s_cbranch_execz .LBB4_7657
; %bb.7645:                             ;   in Loop: Header=BB4_7595 Depth=2
	s_mov_b64 s[34:35], exec
	v_mbcnt_lo_u32_b32 v1, s34, 0
	v_mbcnt_hi_u32_b32 v1, s35, v1
	v_cmp_eq_u32_e32 vcc, 0, v1
	s_waitcnt lgkmcnt(0)
	buffer_wbinvl1_vol
	s_and_saveexec_b64 s[30:31], vcc
	s_cbranch_execz .LBB4_7647
; %bb.7646:                             ;   in Loop: Header=BB4_7595 Depth=2
	s_bcnt1_i32_b64 vcc_lo, s[34:35]
	v_mov_b32_e32 v1, vcc_lo
	v_mov_b32_e32 v2, v17
	ds_add_u64 v0, v[1:2]
	s_trap 2
.LBB4_7647:                             ;   in Loop: Header=BB4_7595 Depth=2
	s_or_b64 exec, exec, s[30:31]
	s_trap 2
	ds_read_b64 v[1:2], v0
	s_waitcnt lgkmcnt(0)
	buffer_load_dword v3, off, s[0:3], s33 offset:76 ; 4-byte Folded Reload
	buffer_load_dword v4, off, s[0:3], s33 offset:80 ; 4-byte Folded Reload
	;; [unrolled: 1-line block ×3, first 2 shown]
	s_waitcnt vmcnt(0)
	v_add_co_u32_e32 v3, vcc, v3, v5
	v_addc_co_u32_e32 v4, vcc, 0, v4, vcc
	buffer_store_dword v3, off, s[0:3], s33 offset:76 ; 4-byte Folded Spill
	s_nop 0
	buffer_store_dword v4, off, s[0:3], s33 offset:80 ; 4-byte Folded Spill
	v_cmp_lt_u64_e32 vcc, v[1:2], v[3:4]
	s_and_saveexec_b64 s[30:31], vcc
	s_cbranch_execz .LBB4_7656
; %bb.7648:                             ;   in Loop: Header=BB4_7595 Depth=2
	s_mov_b32 s52, 0
	s_mov_b64 s[34:35], 0
                                        ; implicit-def: $sgpr36_sgpr37
                                        ; implicit-def: $sgpr38_sgpr39
	s_branch .LBB4_7650
.LBB4_7649:                             ;   in Loop: Header=BB4_7650 Depth=3
	s_or_b64 exec, exec, s[50:51]
	s_and_b64 vcc, exec, vcc
	s_or_b64 s[34:35], vcc, s[34:35]
	s_andn2_b64 vcc, s[36:37], exec
	s_and_b64 s[36:37], s[38:39], exec
	s_or_b64 s[36:37], vcc, s[36:37]
	s_andn2_b64 exec, exec, s[34:35]
	s_cbranch_execz .LBB4_7654
.LBB4_7650:                             ;   Parent Loop BB4_47 Depth=1
                                        ;     Parent Loop BB4_7595 Depth=2
                                        ; =>    This Inner Loop Header: Depth=3
	s_add_i32 s52, s52, 1
	s_cmpk_lg_i32 s52, 0x2710
	s_cselect_b64 s[48:49], -1, 0
	s_and_b64 vcc, exec, s[48:49]
	s_cbranch_vccz .LBB4_7652
; %bb.7651:                             ;   in Loop: Header=BB4_7650 Depth=3
	s_mov_b64 vcc, -1
	s_or_b64 s[38:39], s[38:39], exec
	s_and_saveexec_b64 s[50:51], s[48:49]
	s_cbranch_execz .LBB4_7649
	s_branch .LBB4_7653
.LBB4_7652:                             ;   in Loop: Header=BB4_7650 Depth=3
	s_trap 2
	ds_read_b64 v[1:2], v0
	s_andn2_b64 s[48:49], s[48:49], exec
	s_mov_b32 s52, 0
	s_waitcnt vmcnt(0) lgkmcnt(0)
	flat_load_dword v1, v[1:2] glc
	s_waitcnt vmcnt(0) lgkmcnt(0)
	buffer_wbinvl1_vol
	v_cmp_eq_u32_e32 vcc, 0, v1
	s_and_b64 vcc, vcc, exec
	s_or_b64 s[48:49], s[48:49], vcc
	s_mov_b64 vcc, -1
	s_or_b64 s[38:39], s[38:39], exec
	s_and_saveexec_b64 s[50:51], s[48:49]
	s_cbranch_execz .LBB4_7649
.LBB4_7653:                             ;   in Loop: Header=BB4_7650 Depth=3
	s_sleep 1
	s_trap 2
	ds_read_b64 v[1:2], v0
	s_waitcnt lgkmcnt(0)
	buffer_load_dword v3, off, s[0:3], s33 offset:76 ; 4-byte Folded Reload
	buffer_load_dword v4, off, s[0:3], s33 offset:80 ; 4-byte Folded Reload
	s_andn2_b64 s[38:39], s[38:39], exec
	s_waitcnt vmcnt(0)
	v_cmp_ge_u64_e32 vcc, v[1:2], v[3:4]
	s_orn2_b64 vcc, vcc, exec
	s_branch .LBB4_7649
.LBB4_7654:                             ;   in Loop: Header=BB4_7595 Depth=2
	s_or_b64 exec, exec, s[34:35]
	s_and_saveexec_b64 vcc, s[36:37]
	s_xor_b64 vcc, exec, vcc
	s_cbranch_execz .LBB4_7656
; %bb.7655:                             ;   in Loop: Header=BB4_7595 Depth=2
	v_mov_b32_e32 v1, 1
	ds_write_b32 v0, v1
	s_trap 2
.LBB4_7656:                             ;   in Loop: Header=BB4_7595 Depth=2
	s_or_b64 exec, exec, s[30:31]
	;;#ASMSTART
	s_wakeup
	;;#ASMEND
.LBB4_7657:                             ;   in Loop: Header=BB4_7595 Depth=2
	s_or_b64 exec, exec, s[42:43]
.LBB4_7658:                             ;   in Loop: Header=BB4_7595 Depth=2
	s_andn2_saveexec_b64 s[40:41], s[40:41]
	s_cbranch_execz .LBB4_7660
; %bb.7659:                             ;   in Loop: Header=BB4_7595 Depth=2
	s_waitcnt vmcnt(0) lgkmcnt(0)
	buffer_wbinvl1_vol
	s_barrier
.LBB4_7660:                             ;   in Loop: Header=BB4_7595 Depth=2
	s_or_b64 exec, exec, s[40:41]
.LBB4_7661:                             ;   in Loop: Header=BB4_7595 Depth=2
	s_or_b64 exec, exec, s[28:29]
	s_trap 2
	s_waitcnt lgkmcnt(0)
	ds_read_b64 v[1:2], v0
	s_waitcnt lgkmcnt(0)
	v_cmp_eq_u64_e32 vcc, 0, v[1:2]
	s_cbranch_vccnz .LBB4_7670
; %bb.7662:                             ;   in Loop: Header=BB4_7595 Depth=2
	buffer_store_dword v1, off, s[0:3], s33 offset:212 ; 4-byte Folded Spill
	s_nop 0
	buffer_store_dword v2, off, s[0:3], s33 offset:216 ; 4-byte Folded Spill
	s_trap 2
	ds_read_b64 v[1:2], v0
	s_waitcnt lgkmcnt(0)
	v_cmp_eq_u64_e32 vcc, 0, v[1:2]
	s_cbranch_vccnz .LBB4_7670
; %bb.7663:                             ;   in Loop: Header=BB4_7595 Depth=2
	buffer_store_dword v1, off, s[0:3], s33 offset:228 ; 4-byte Folded Spill
	s_nop 0
	buffer_store_dword v2, off, s[0:3], s33 offset:232 ; 4-byte Folded Spill
	s_trap 2
	ds_read_b64 v[1:2], v0
	v_cmp_eq_u32_e64 s[28:29], 0, v0
	s_waitcnt lgkmcnt(0)
	buffer_store_dword v1, off, s[0:3], s33 offset:252 ; 4-byte Folded Spill
	s_nop 0
	buffer_store_dword v2, off, s[0:3], s33 offset:256 ; 4-byte Folded Spill
	v_cmp_ne_u64_e32 vcc, 0, v[1:2]
	buffer_load_dword v0, off, s[0:3], s33 offset:100 ; 4-byte Folded Reload
	buffer_load_dword v1, off, s[0:3], s33 offset:104 ; 4-byte Folded Reload
	s_waitcnt vmcnt(1)
	v_cndmask_b32_e64 v0, 0, v0, s[28:29]
	buffer_store_dword v0, off, s[0:3], s33 offset:204 ; 4-byte Folded Spill
	s_cbranch_vccz .LBB4_7675
; %bb.7664:                             ;   in Loop: Header=BB4_7595 Depth=2
	s_mov_b64 s[40:41], -1
	s_and_saveexec_b64 s[28:29], s[24:25]
	s_cbranch_execz .LBB4_7666
; %bb.7665:                             ;   in Loop: Header=BB4_7595 Depth=2
	ds_read_b32 v0, v0 offset:720
	s_waitcnt lgkmcnt(0)
	v_and_b32_e32 v0, 15, v0
	v_cmp_eq_u32_e32 vcc, 0, v0
	s_orn2_b64 s[40:41], vcc, exec
.LBB4_7666:                             ;   in Loop: Header=BB4_7595 Depth=2
	s_or_b64 exec, exec, s[28:29]
	s_and_saveexec_b64 s[28:29], s[24:25]
	s_cbranch_execz .LBB4_7668
; %bb.7667:                             ;   in Loop: Header=BB4_7595 Depth=2
	ds_read_b32 v0, v0 offset:784
	s_waitcnt lgkmcnt(0)
	v_and_b32_e32 v0, 15, v0
	v_cmp_eq_u32_e32 vcc, 0, v0
	s_and_b64 s[42:43], s[40:41], vcc
	s_andn2_b64 s[40:41], s[40:41], exec
	s_and_b64 s[42:43], s[42:43], exec
	s_or_b64 s[40:41], s[40:41], s[42:43]
.LBB4_7668:                             ;   in Loop: Header=BB4_7595 Depth=2
	s_or_b64 exec, exec, s[28:29]
	buffer_load_dword v23, off, s[0:3], s33 offset:204 ; 4-byte Folded Reload
	buffer_load_dword v3, off, s[0:3], s33 offset:176 ; 4-byte Folded Reload
	s_xor_b64 s[40:41], s[40:41], -1
	v_cndmask_b32_e64 v0, 0, 1, s[40:41]
	s_mov_b64 s[28:29], -1
	v_mov_b32_e32 v7, 0
	v_cmp_ne_u32_e32 vcc, 0, v0
	s_cbranch_vccz .LBB4_7676
; %bb.7669:                             ;   in Loop: Header=BB4_7595 Depth=2
	s_and_saveexec_b64 s[42:43], s[28:29]
	s_cbranch_execz .LBB4_11991
	s_branch .LBB4_10745
.LBB4_7670:                             ;   in Loop: Header=BB4_7595 Depth=2
	s_mov_b64 s[28:29], 0
	s_and_saveexec_b64 s[40:41], s[12:13]
	s_cbranch_execz .LBB4_7671
; %bb.16947:                            ;   in Loop: Header=BB4_7595 Depth=2
	s_getpc_b64 s[98:99]
.Lpost_getpc19:
	s_add_u32 s98, s98, (.LBB4_16311-.Lpost_getpc19)&4294967295
	s_addc_u32 s99, s99, (.LBB4_16311-.Lpost_getpc19)>>32
	s_setpc_b64 s[98:99]
.LBB4_7671:                             ;   in Loop: Header=BB4_7595 Depth=2
	s_or_b64 exec, exec, s[40:41]
                                        ; implicit-def: $vgpr0
	s_and_saveexec_b64 s[40:41], s[18:19]
	s_xor_b64 s[40:41], exec, s[40:41]
	s_cbranch_execnz .LBB4_7672
; %bb.16949:                            ;   in Loop: Header=BB4_7595 Depth=2
	s_getpc_b64 s[98:99]
.Lpost_getpc20:
	s_add_u32 s98, s98, (.LBB4_16329-.Lpost_getpc20)&4294967295
	s_addc_u32 s99, s99, (.LBB4_16329-.Lpost_getpc20)>>32
	s_setpc_b64 s[98:99]
.LBB4_7672:                             ;   in Loop: Header=BB4_7595 Depth=2
	buffer_load_dword v1, off, s[0:3], s33 offset:72 ; 4-byte Folded Reload
	s_waitcnt vmcnt(0)
	v_and_b32_e32 v0, 16, v1
	v_and_b32_e32 v1, 16, v1
	v_cmp_ne_u32_e32 vcc, 0, v1
	s_and_b64 s[42:43], vcc, s[28:29]
	s_and_saveexec_b64 s[28:29], s[42:43]
	s_cbranch_execz .LBB4_7674
; %bb.7673:                             ;   in Loop: Header=BB4_7595 Depth=2
	v_mov_b32_e32 v0, 1
	s_waitcnt lgkmcnt(0)
	buffer_wbinvl1_vol
.LBB4_7674:                             ;   in Loop: Header=BB4_7595 Depth=2
	s_or_b64 exec, exec, s[28:29]
	s_andn2_saveexec_b64 s[28:29], s[40:41]
	s_cbranch_execnz .LBB4_16931
; %bb.16951:                            ;   in Loop: Header=BB4_7595 Depth=2
	s_getpc_b64 s[98:99]
.Lpost_getpc21:
	s_add_u32 s98, s98, (.LBB4_16348-.Lpost_getpc21)&4294967295
	s_addc_u32 s99, s99, (.LBB4_16348-.Lpost_getpc21)>>32
	s_setpc_b64 s[98:99]
.LBB4_16931:                            ;   in Loop: Header=BB4_7595 Depth=2
	s_getpc_b64 s[98:99]
.Lpost_getpc11:
	s_add_u32 s98, s98, (.LBB4_16330-.Lpost_getpc11)&4294967295
	s_addc_u32 s99, s99, (.LBB4_16330-.Lpost_getpc11)>>32
	s_setpc_b64 s[98:99]
.LBB4_7675:                             ;   in Loop: Header=BB4_7595 Depth=2
	s_cbranch_execnz .LBB4_11992
; %bb.16933:                            ;   in Loop: Header=BB4_7595 Depth=2
	s_getpc_b64 s[98:99]
.Lpost_getpc12:
	s_add_u32 s98, s98, (.LBB4_16310-.Lpost_getpc12)&4294967295
	s_addc_u32 s99, s99, (.LBB4_16310-.Lpost_getpc12)>>32
	s_setpc_b64 s[98:99]
.LBB4_7676:                             ;   in Loop: Header=BB4_7595 Depth=2
	buffer_load_dword v1, off, s[0:3], s33 offset:204 ; 4-byte Folded Reload
	s_waitcnt vmcnt(0)
	v_ashrrev_i32_e32 v0, 31, v1
	v_lshrrev_b32_e32 v0, 21, v0
	v_add_u32_e32 v0, v1, v0
	v_ashrrev_i32_e32 v1, 11, v0
	buffer_load_dword v0, off, s[0:3], s33 offset:220 ; 4-byte Folded Reload
	s_waitcnt vmcnt(0)
	v_sub_u32_e32 v4, v1, v0
	v_cmp_lt_i32_e32 vcc, 0, v4
	s_and_saveexec_b64 s[42:43], vcc
	s_cbranch_execz .LBB4_9736
; %bb.7677:                             ;   in Loop: Header=BB4_7595 Depth=2
	buffer_store_dword v1, off, s[0:3], s33 offset:260 ; 4-byte Folded Spill
	buffer_load_dword v2, off, s[0:3], s33 offset:360 ; 4-byte Folded Reload
	s_nop 0
	buffer_load_dword v0, off, s[0:3], s33 offset:228 ; 4-byte Folded Reload
	buffer_load_dword v1, off, s[0:3], s33 offset:232 ; 4-byte Folded Reload
	s_waitcnt vmcnt(1)
	v_add_co_u32_e32 v44, vcc, v0, v2
	s_waitcnt vmcnt(0)
	v_addc_co_u32_e32 v45, vcc, 0, v1, vcc
	buffer_load_dword v0, off, s[0:3], s33 offset:252 ; 4-byte Folded Reload
	buffer_load_dword v1, off, s[0:3], s33 offset:256 ; 4-byte Folded Reload
	s_trap 2
	s_waitcnt vmcnt(1)
	v_add_co_u32_e32 v46, vcc, v0, v2
	s_waitcnt vmcnt(0)
	v_addc_co_u32_e32 v47, vcc, 0, v1, vcc
	ds_read_b64 v[0:1], v0
	buffer_load_dword v5, off, s[0:3], s33 offset:212 ; 4-byte Folded Reload
	buffer_load_dword v6, off, s[0:3], s33 offset:216 ; 4-byte Folded Reload
	s_waitcnt lgkmcnt(0)
	v_readfirstlane_b32 s40, v0
	s_bfe_i32 s30, s40, 0x80000
	s_and_b32 s41, s40, 3
	s_bfe_u32 s28, s40, 0x50002
	s_and_b32 s29, s40, 0x7c
	s_cmpk_eq_i32 s29, 0x7c
	s_flbit_i32_b32 s29, s41
	s_waitcnt vmcnt(1)
	v_add_co_u32_e32 v55, vcc, v5, v2
	s_waitcnt vmcnt(0)
	v_addc_co_u32_e32 v56, vcc, 0, v6, vcc
	v_add_co_u32_e32 v57, vcc, v0, v2
	v_addc_co_u32_e32 v58, vcc, 0, v1, vcc
	s_cselect_b64 vcc, -1, 0
	s_min_u32 s29, s29, 32
	s_sub_i32 s31, s29, 29
	v_lshlrev_b64 v[0:1], s31, v[0:1]
	s_sub_i32 s29, 30, s29
	s_cmp_eq_u32 s28, 0
	v_and_b32_e32 v0, 3, v0
	s_cselect_b32 s31, s29, s28
	v_mov_b32_e32 v1, s41
	s_cselect_b64 s[28:29], -1, 0
	v_cndmask_b32_e64 v0, v1, v0, s[28:29]
	s_lshl_b32 s28, s40, 24
	s_and_b32 s28, s28, 0x80000000
	s_lshl_b32 s29, s31, 23
	s_add_i32 s29, s29, s28
	v_lshlrev_b32_e32 v0, 21, v0
	s_cmp_eq_u32 s41, 0
	s_sext_i32_i8 s40, s40
	v_or_b32_e32 v0, s29, v0
	s_cselect_b64 s[28:29], -1, 0
	s_cmp_gt_i32 s40, -1
	s_cselect_b64 s[40:41], -1, 0
	v_mov_b32_e32 v1, 0xff800000
	v_mov_b32_e32 v2, 0x7f800000
	v_cndmask_b32_e64 v1, v1, v2, s[40:41]
	v_mov_b32_e32 v2, 0x7f800001
	v_add_u32_e32 v0, 0x38000000, v0
	v_cndmask_b32_e64 v1, v2, v1, s[28:29]
	v_cndmask_b32_e32 v29, v0, v1, vcc
	s_mov_b64 s[40:41], 0
	s_and_b32 s48, s30, 0xff
	s_branch .LBB4_7680
.LBB4_7678:                             ;   in Loop: Header=BB4_7680 Depth=3
	s_or_b64 exec, exec, s[30:31]
.LBB4_7679:                             ;   in Loop: Header=BB4_7680 Depth=3
	s_or_b64 exec, exec, s[28:29]
	v_lshl_or_b32 v0, v51, 8, v36
	v_lshlrev_b32_e32 v1, 16, v41
	v_lshlrev_b32_e32 v6, 24, v12
	v_or3_b32 v11, v0, v1, v6
	v_lshl_or_b32 v0, v18, 8, v43
	v_lshlrev_b32_e32 v1, 16, v22
	v_lshlrev_b32_e32 v6, 24, v31
	v_or3_b32 v10, v0, v1, v6
	;; [unrolled: 4-line block ×3, first 2 shown]
	v_lshlrev_b32_e32 v0, 24, v14
	v_lshlrev_b32_e32 v1, 16, v54
	v_lshl_or_b32 v5, v50, 8, v32
	v_or3_b32 v13, v5, v1, v0
	v_lshl_or_b32 v0, v30, 8, v21
	v_lshlrev_b32_e32 v1, 16, v34
	v_lshlrev_b32_e32 v5, 24, v8
	v_or3_b32 v22, v0, v1, v5
	v_lshl_or_b32 v0, v25, 8, v15
	v_lshlrev_b32_e32 v1, 16, v35
	v_lshlrev_b32_e32 v5, 24, v39
	;; [unrolled: 4-line block ×3, first 2 shown]
	v_or3_b32 v23, v0, v1, v5
	v_lshlrev_b32_e32 v0, 24, v2
	v_lshlrev_b32_e32 v1, 16, v3
	v_lshl_or_b32 v2, v20, 8, v16
	v_or3_b32 v24, v2, v1, v0
	global_store_dwordx4 v[44:45], v[10:13], off glc slc
	global_store_dwordx4 v[44:45], v[21:24], off offset:1024 glc slc
	global_store_dwordx4 v[46:47], v[10:13], off glc slc
	global_store_dwordx4 v[46:47], v[21:24], off offset:1024 glc slc
	buffer_load_dword v1, off, s[0:3], s33 offset:112 ; 4-byte Folded Reload
	buffer_load_dword v0, off, s[0:3], s33 offset:92 ; 4-byte Folded Reload
	s_waitcnt vmcnt(1)
	v_add_co_u32_e32 v55, vcc, v55, v1
	v_addc_co_u32_e32 v56, vcc, 0, v56, vcc
	v_add_co_u32_e32 v57, vcc, v57, v1
	v_addc_co_u32_e32 v58, vcc, 0, v58, vcc
	;; [unrolled: 2-line block ×3, first 2 shown]
	s_waitcnt vmcnt(0)
	v_sub_u32_e32 v4, v4, v0
	v_cmp_gt_i32_e32 vcc, 1, v4
	s_or_b64 s[40:41], vcc, s[40:41]
	v_add_co_u32_e32 v46, vcc, v46, v1
	v_addc_co_u32_e32 v47, vcc, 0, v47, vcc
	s_andn2_b64 exec, exec, s[40:41]
	s_cbranch_execz .LBB4_9735
.LBB4_7680:                             ;   Parent Loop BB4_47 Depth=1
                                        ;     Parent Loop BB4_7595 Depth=2
                                        ; =>    This Inner Loop Header: Depth=3
	s_cmpk_lt_i32 s48, 0x80
	s_cbranch_scc1 .LBB4_7684
; %bb.7681:                             ;   in Loop: Header=BB4_7680 Depth=3
	s_and_b32 vcc_lo, 0xffff, s48
	s_mov_b64 s[28:29], -1
	s_cmpk_eq_i32 vcc_lo, 0x80
	s_cbranch_scc0 .LBB4_7683
; %bb.7682:                             ;   in Loop: Header=BB4_7680 Depth=3
	s_mov_b64 s[28:29], 0
.LBB4_7683:                             ;   in Loop: Header=BB4_7680 Depth=3
	s_brev_b32 s30, 1
	s_branch .LBB4_7686
.LBB4_7684:                             ;   in Loop: Header=BB4_7680 Depth=3
	s_mov_b64 s[28:29], 0
	s_brev_b32 s30, 1
	s_cbranch_execz .LBB4_7686
; %bb.7685:                             ;   in Loop: Header=BB4_7680 Depth=3
	s_and_b32 s28, 0xffff, s48
	s_cmp_lg_u32 s28, 0
	s_mov_b32 s30, 0
	s_cselect_b64 s[28:29], -1, 0
.LBB4_7686:                             ;   in Loop: Header=BB4_7680 Depth=3
	s_andn2_b64 vcc, exec, s[28:29]
	v_mov_b32_e32 v12, s30
	s_cbranch_vccnz .LBB4_7688
; %bb.7687:                             ;   in Loop: Header=BB4_7680 Depth=3
	v_mov_b32_e32 v12, v29
.LBB4_7688:                             ;   in Loop: Header=BB4_7680 Depth=3
	global_load_dwordx4 v[8:11], v[55:56], off glc slc
	v_mov_b32_e32 v0, 0
	s_waitcnt vmcnt(0)
	v_cmp_ne_u16_sdwa vcc, v8, v17 src0_sel:BYTE_0 src1_sel:DWORD
	s_and_saveexec_b64 s[28:29], vcc
	s_cbranch_execz .LBB4_7696
; %bb.7689:                             ;   in Loop: Header=BB4_7680 Depth=3
	v_cmp_ne_u16_sdwa vcc, sext(v8), s97 src0_sel:BYTE_0 src1_sel:DWORD
	v_bfrev_b32_e32 v0, 1
	s_and_saveexec_b64 s[30:31], vcc
	s_cbranch_execz .LBB4_7695
; %bb.7690:                             ;   in Loop: Header=BB4_7680 Depth=3
	v_and_b32_e32 v0, 0x7c, v8
	v_and_b32_e32 v1, 3, v8
	v_cmp_ne_u32_e32 vcc, s85, v0
                                        ; implicit-def: $vgpr0
	s_and_saveexec_b64 s[34:35], vcc
	s_xor_b64 s[34:35], exec, s[34:35]
	s_cbranch_execz .LBB4_7692
; %bb.7691:                             ;   in Loop: Header=BB4_7680 Depth=3
	v_ffbh_u32_e32 v2, v1
	v_min_u32_e32 v5, 32, v2
	v_subrev_u32_e32 v2, 29, v5
	v_lshlrev_b64 v[2:3], v2, v[8:9]
	v_bfe_u32 v0, v8, 2, 5
	v_and_b32_e32 v2, 3, v2
	v_cmp_eq_u32_e32 vcc, 0, v0
	v_sub_u32_e32 v3, 30, v5
	v_cndmask_b32_e32 v1, v1, v2, vcc
	v_lshlrev_b32_e32 v2, 24, v8
	v_cndmask_b32_e32 v0, v0, v3, vcc
	v_and_b32_e32 v2, 0x80000000, v2
	v_lshl_add_u32 v0, v0, 23, v2
	v_lshl_or_b32 v0, v1, 21, v0
	v_add_u32_e32 v0, 0x38000000, v0
                                        ; implicit-def: $vgpr1
.LBB4_7692:                             ;   in Loop: Header=BB4_7680 Depth=3
	s_andn2_saveexec_b64 s[34:35], s[34:35]
; %bb.7693:                             ;   in Loop: Header=BB4_7680 Depth=3
	v_mov_b32_e32 v0, -1
	v_cmp_gt_i16_sdwa vcc, sext(v8), v0 src0_sel:BYTE_0 src1_sel:DWORD
	v_mov_b32_e32 v0, 0xff800000
	v_mov_b32_e32 v2, 0x7f800000
	v_cndmask_b32_e32 v0, v0, v2, vcc
	v_cmp_eq_u32_e32 vcc, 0, v1
	v_mov_b32_e32 v1, 0x7f800001
	v_cndmask_b32_e32 v0, v1, v0, vcc
; %bb.7694:                             ;   in Loop: Header=BB4_7680 Depth=3
	s_or_b64 exec, exec, s[34:35]
.LBB4_7695:                             ;   in Loop: Header=BB4_7680 Depth=3
	s_or_b64 exec, exec, s[30:31]
.LBB4_7696:                             ;   in Loop: Header=BB4_7680 Depth=3
	s_or_b64 exec, exec, s[28:29]
	v_mul_f32_e32 v2, v12, v0
	v_and_b32_e32 v13, 0x7f800000, v2
	v_mov_b32_e32 v14, v17
	v_cmp_ne_u64_e32 vcc, s[76:77], v[13:14]
	v_and_b32_e32 v0, 0x7fffff, v2
	v_mov_b32_e32 v1, v17
                                        ; implicit-def: $vgpr7
	s_and_saveexec_b64 s[28:29], vcc
	s_xor_b64 s[30:31], exec, s[28:29]
	s_cbranch_execz .LBB4_7710
; %bb.7697:                             ;   in Loop: Header=BB4_7680 Depth=3
	v_and_b32_e32 v13, 0x7fffffff, v2
	v_mov_b32_e32 v14, v17
	v_cmp_gt_u64_e32 vcc, s[78:79], v[13:14]
	v_and_b32_sdwa v3, v2, s96 dst_sel:DWORD dst_unused:UNUSED_PAD src0_sel:BYTE_3 src1_sel:DWORD
                                        ; implicit-def: $vgpr7
	s_and_saveexec_b64 s[28:29], vcc
	s_xor_b64 s[34:35], exec, s[28:29]
	s_cbranch_execz .LBB4_7707
; %bb.7698:                             ;   in Loop: Header=BB4_7680 Depth=3
	v_mov_b32_e32 v7, 0
	v_cmp_ne_u32_e32 vcc, 0, v2
	s_and_saveexec_b64 s[36:37], vcc
	s_cbranch_execz .LBB4_7706
; %bb.7699:                             ;   in Loop: Header=BB4_7680 Depth=3
	v_bfe_u32 v5, v2, 23, 8
	v_cmp_gt_u32_e64 s[28:29], s46, v5
	v_sub_u32_e32 v2, 0x71, v5
	v_cmp_eq_u32_e32 vcc, 0, v5
	v_cndmask_b32_e64 v2, 0, v2, s[28:29]
	v_mov_b32_e32 v7, 0x70
	v_cndmask_b32_e32 v7, v2, v7, vcc
	v_add_u32_e32 v2, 21, v7
	v_or_b32_e32 v6, 0x800000, v0
	v_lshlrev_b64 v[13:14], v2, -1
	v_cndmask_b32_e32 v0, v6, v0, vcc
	v_add_u32_e32 v2, 20, v7
	v_bfi_b32 v13, v13, 0, v0
	v_lshlrev_b64 v[15:16], v2, 1
	v_lshrrev_b64 v[0:1], v7, v[0:1]
	v_bfi_b32 v14, v14, 0, 0
	v_cmp_eq_u64_e64 s[28:29], v[13:14], v[15:16]
	v_mov_b32_e32 v2, v1
	v_mov_b32_e32 v1, v0
	s_and_saveexec_b64 s[38:39], s[28:29]
; %bb.7700:                             ;   in Loop: Header=BB4_7680 Depth=3
	v_bfe_u32 v1, v0, 21, 1
	v_add_co_u32_e64 v1, s[28:29], v0, v1
	v_add_co_u32_e64 v1, s[28:29], -1, v1
; %bb.7701:                             ;   in Loop: Header=BB4_7680 Depth=3
	s_or_b64 exec, exec, s[38:39]
	v_add_u32_e32 v2, 0xffffff81, v5
	v_mov_b32_e32 v5, 0xffffff82
	v_cndmask_b32_e32 v2, v2, v5, vcc
	v_lshrrev_b32_e32 v5, 23, v0
	v_add3_u32 v7, v7, v2, v5
	v_add_u32_e32 v5, 14, v7
	v_and_b32_e32 v1, 0x1fffff, v1
	v_add_u32_e32 v0, v1, v0
	v_mov_b32_e32 v1, v17
	v_cmp_ne_u32_e32 vcc, 0, v5
                                        ; implicit-def: $vgpr2
	s_and_saveexec_b64 s[28:29], vcc
	s_xor_b64 s[28:29], exec, s[28:29]
; %bb.7702:                             ;   in Loop: Header=BB4_7680 Depth=3
	v_cmp_lt_u64_e32 vcc, s[88:89], v[0:1]
	v_add_u32_e32 v2, 15, v7
	v_cndmask_b32_e32 v2, v5, v2, vcc
	v_cndmask_b32_e64 v5, 0, 1, vcc
	v_lshrrev_b64 v[0:1], v5, v[0:1]
; %bb.7703:                             ;   in Loop: Header=BB4_7680 Depth=3
	s_andn2_saveexec_b64 s[28:29], s[28:29]
; %bb.7704:                             ;   in Loop: Header=BB4_7680 Depth=3
	v_bfe_u32 v2, v0, 23, 1
; %bb.7705:                             ;   in Loop: Header=BB4_7680 Depth=3
	s_or_b64 exec, exec, s[28:29]
	v_lshrrev_b64 v[0:1], 21, v[0:1]
	v_cmp_gt_i32_e32 vcc, 32, v2
	v_cndmask_b32_e32 v1, 0, v1, vcc
	v_cndmask_b32_e32 v0, 3, v0, vcc
	v_cmp_eq_u64_e64 s[28:29], 0, v[0:1]
	v_min_i32_e32 v1, 31, v2
	v_lshlrev_b32_e32 v1, 2, v1
	v_cmp_eq_u32_e32 vcc, 0, v2
	v_and_b32_e32 v1, 0xfc, v1
	v_and_or_b32 v0, v0, 3, v1
	s_and_b64 s[28:29], vcc, s[28:29]
	v_cndmask_b32_e64 v0, v0, 0, s[28:29]
	v_or_b32_e32 v7, v0, v3
.LBB4_7706:                             ;   in Loop: Header=BB4_7680 Depth=3
	s_or_b64 exec, exec, s[36:37]
                                        ; implicit-def: $vgpr3
.LBB4_7707:                             ;   in Loop: Header=BB4_7680 Depth=3
	s_andn2_saveexec_b64 s[28:29], s[34:35]
; %bb.7708:                             ;   in Loop: Header=BB4_7680 Depth=3
	v_or_b32_e32 v7, 0x7b, v3
; %bb.7709:                             ;   in Loop: Header=BB4_7680 Depth=3
	s_or_b64 exec, exec, s[28:29]
                                        ; implicit-def: $vgpr2
                                        ; implicit-def: $vgpr0_vgpr1
.LBB4_7710:                             ;   in Loop: Header=BB4_7680 Depth=3
	s_andn2_saveexec_b64 s[28:29], s[30:31]
	s_cbranch_execz .LBB4_7716
; %bb.7711:                             ;   in Loop: Header=BB4_7680 Depth=3
	v_cmp_ne_u64_e32 vcc, 0, v[0:1]
                                        ; implicit-def: $vgpr7
	s_and_saveexec_b64 s[30:31], vcc
	s_xor_b64 vcc, exec, s[30:31]
; %bb.7712:                             ;   in Loop: Header=BB4_7680 Depth=3
	v_or_b32_sdwa v7, v2, s47 dst_sel:DWORD dst_unused:UNUSED_PAD src0_sel:BYTE_3 src1_sel:DWORD
                                        ; implicit-def: $vgpr2
; %bb.7713:                             ;   in Loop: Header=BB4_7680 Depth=3
	s_andn2_saveexec_b64 s[30:31], vcc
; %bb.7714:                             ;   in Loop: Header=BB4_7680 Depth=3
	v_cmp_lt_i32_e32 vcc, -1, v2
	v_bfrev_b32_e32 v0, 0.5
	v_cndmask_b32_e32 v7, v0, v52, vcc
; %bb.7715:                             ;   in Loop: Header=BB4_7680 Depth=3
	s_or_b64 exec, exec, s[30:31]
.LBB4_7716:                             ;   in Loop: Header=BB4_7680 Depth=3
	s_or_b64 exec, exec, s[28:29]
	v_lshrrev_b16_e32 v0, 8, v8
	v_cmp_ne_u16_e32 vcc, 0, v0
	v_mov_b32_e32 v1, 0
	s_and_saveexec_b64 s[28:29], vcc
	s_cbranch_execz .LBB4_7724
; %bb.7717:                             ;   in Loop: Header=BB4_7680 Depth=3
	v_cmp_ne_u16_e32 vcc, s96, v0
	v_bfrev_b32_e32 v1, 1
	s_and_saveexec_b64 s[30:31], vcc
	s_cbranch_execz .LBB4_7723
; %bb.7718:                             ;   in Loop: Header=BB4_7680 Depth=3
	v_and_b32_e32 v1, 0x7c, v0
	v_and_b32_e32 v2, 3, v0
	v_cmp_ne_u32_e32 vcc, s85, v1
                                        ; implicit-def: $vgpr1
	s_and_saveexec_b64 s[34:35], vcc
	s_xor_b64 s[34:35], exec, s[34:35]
	s_cbranch_execz .LBB4_7720
; %bb.7719:                             ;   in Loop: Header=BB4_7680 Depth=3
	v_ffbh_u32_e32 v5, v2
	v_min_u32_e32 v5, 32, v5
	v_mov_b32_e32 v1, v17
	v_subrev_u32_e32 v6, 29, v5
	v_bfe_u32 v3, v0, 2, 5
	v_lshlrev_b64 v[0:1], v6, v[0:1]
	v_cmp_eq_u32_e32 vcc, 0, v3
	v_and_b32_e32 v0, 3, v0
	v_sub_u32_e32 v1, 30, v5
	v_cndmask_b32_e32 v0, v2, v0, vcc
	v_lshlrev_b32_e32 v2, 16, v8
	v_cndmask_b32_e32 v1, v3, v1, vcc
	v_and_b32_e32 v2, 0x80000000, v2
	v_lshl_add_u32 v1, v1, 23, v2
	v_lshl_or_b32 v0, v0, 21, v1
	v_add_u32_e32 v1, 0x38000000, v0
                                        ; implicit-def: $vgpr2
.LBB4_7720:                             ;   in Loop: Header=BB4_7680 Depth=3
	s_andn2_saveexec_b64 s[34:35], s[34:35]
; %bb.7721:                             ;   in Loop: Header=BB4_7680 Depth=3
	v_cmp_lt_i16_e32 vcc, -1, v8
	v_mov_b32_e32 v0, 0xff800000
	v_mov_b32_e32 v1, 0x7f800000
	v_cndmask_b32_e32 v0, v0, v1, vcc
	v_cmp_eq_u32_e32 vcc, 0, v2
	v_mov_b32_e32 v1, 0x7f800001
	v_cndmask_b32_e32 v1, v1, v0, vcc
; %bb.7722:                             ;   in Loop: Header=BB4_7680 Depth=3
	s_or_b64 exec, exec, s[34:35]
.LBB4_7723:                             ;   in Loop: Header=BB4_7680 Depth=3
	s_or_b64 exec, exec, s[30:31]
.LBB4_7724:                             ;   in Loop: Header=BB4_7680 Depth=3
	s_or_b64 exec, exec, s[28:29]
	v_mul_f32_e32 v2, v12, v1
	v_and_b32_e32 v13, 0x7f800000, v2
	v_mov_b32_e32 v14, v17
	v_cmp_ne_u64_e32 vcc, s[76:77], v[13:14]
	v_and_b32_e32 v0, 0x7fffff, v2
	v_mov_b32_e32 v1, v17
                                        ; implicit-def: $vgpr18
	s_and_saveexec_b64 s[28:29], vcc
	s_xor_b64 s[30:31], exec, s[28:29]
	s_cbranch_execz .LBB4_7738
; %bb.7725:                             ;   in Loop: Header=BB4_7680 Depth=3
	v_and_b32_e32 v13, 0x7fffffff, v2
	v_mov_b32_e32 v14, v17
	v_cmp_gt_u64_e32 vcc, s[78:79], v[13:14]
	v_and_b32_sdwa v3, v2, s96 dst_sel:DWORD dst_unused:UNUSED_PAD src0_sel:BYTE_3 src1_sel:DWORD
                                        ; implicit-def: $vgpr18
	s_and_saveexec_b64 s[28:29], vcc
	s_xor_b64 s[34:35], exec, s[28:29]
	s_cbranch_execz .LBB4_7735
; %bb.7726:                             ;   in Loop: Header=BB4_7680 Depth=3
	v_mov_b32_e32 v18, 0
	v_cmp_ne_u32_e32 vcc, 0, v2
	s_and_saveexec_b64 s[36:37], vcc
	s_cbranch_execz .LBB4_7734
; %bb.7727:                             ;   in Loop: Header=BB4_7680 Depth=3
	v_bfe_u32 v5, v2, 23, 8
	v_cmp_gt_u32_e64 s[28:29], s46, v5
	v_sub_u32_e32 v2, 0x71, v5
	v_cmp_eq_u32_e32 vcc, 0, v5
	v_cndmask_b32_e64 v2, 0, v2, s[28:29]
	v_mov_b32_e32 v13, 0x70
	v_cndmask_b32_e32 v13, v2, v13, vcc
	v_add_u32_e32 v2, 21, v13
	v_or_b32_e32 v6, 0x800000, v0
	v_lshlrev_b64 v[14:15], v2, -1
	v_cndmask_b32_e32 v0, v6, v0, vcc
	v_add_u32_e32 v2, 20, v13
	v_bfi_b32 v14, v14, 0, v0
	v_lshlrev_b64 v[18:19], v2, 1
	v_lshrrev_b64 v[0:1], v13, v[0:1]
	v_bfi_b32 v15, v15, 0, 0
	v_cmp_eq_u64_e64 s[28:29], v[14:15], v[18:19]
	v_mov_b32_e32 v2, v1
	v_mov_b32_e32 v1, v0
	s_and_saveexec_b64 s[38:39], s[28:29]
; %bb.7728:                             ;   in Loop: Header=BB4_7680 Depth=3
	v_bfe_u32 v1, v0, 21, 1
	v_add_co_u32_e64 v1, s[28:29], v0, v1
	v_add_co_u32_e64 v1, s[28:29], -1, v1
; %bb.7729:                             ;   in Loop: Header=BB4_7680 Depth=3
	s_or_b64 exec, exec, s[38:39]
	v_add_u32_e32 v2, 0xffffff81, v5
	v_mov_b32_e32 v5, 0xffffff82
	v_cndmask_b32_e32 v2, v2, v5, vcc
	v_lshrrev_b32_e32 v5, 23, v0
	v_add3_u32 v13, v13, v2, v5
	v_add_u32_e32 v5, 14, v13
	v_and_b32_e32 v1, 0x1fffff, v1
	v_add_u32_e32 v0, v1, v0
	v_mov_b32_e32 v1, v17
	v_cmp_ne_u32_e32 vcc, 0, v5
                                        ; implicit-def: $vgpr2
	s_and_saveexec_b64 s[28:29], vcc
	s_xor_b64 s[28:29], exec, s[28:29]
; %bb.7730:                             ;   in Loop: Header=BB4_7680 Depth=3
	v_cmp_lt_u64_e32 vcc, s[88:89], v[0:1]
	v_add_u32_e32 v2, 15, v13
	v_cndmask_b32_e32 v2, v5, v2, vcc
	v_cndmask_b32_e64 v5, 0, 1, vcc
	v_lshrrev_b64 v[0:1], v5, v[0:1]
; %bb.7731:                             ;   in Loop: Header=BB4_7680 Depth=3
	s_andn2_saveexec_b64 s[28:29], s[28:29]
; %bb.7732:                             ;   in Loop: Header=BB4_7680 Depth=3
	v_bfe_u32 v2, v0, 23, 1
; %bb.7733:                             ;   in Loop: Header=BB4_7680 Depth=3
	s_or_b64 exec, exec, s[28:29]
	v_lshrrev_b64 v[0:1], 21, v[0:1]
	v_cmp_gt_i32_e32 vcc, 32, v2
	v_cndmask_b32_e32 v1, 0, v1, vcc
	v_cndmask_b32_e32 v0, 3, v0, vcc
	v_cmp_eq_u64_e64 s[28:29], 0, v[0:1]
	v_min_i32_e32 v1, 31, v2
	v_lshlrev_b32_e32 v1, 2, v1
	v_cmp_eq_u32_e32 vcc, 0, v2
	v_and_b32_e32 v1, 0xfc, v1
	v_and_or_b32 v0, v0, 3, v1
	s_and_b64 s[28:29], vcc, s[28:29]
	v_cndmask_b32_e64 v0, v0, 0, s[28:29]
	v_or_b32_e32 v18, v0, v3
.LBB4_7734:                             ;   in Loop: Header=BB4_7680 Depth=3
	s_or_b64 exec, exec, s[36:37]
                                        ; implicit-def: $vgpr3
.LBB4_7735:                             ;   in Loop: Header=BB4_7680 Depth=3
	s_andn2_saveexec_b64 s[28:29], s[34:35]
; %bb.7736:                             ;   in Loop: Header=BB4_7680 Depth=3
	v_or_b32_e32 v18, 0x7b, v3
; %bb.7737:                             ;   in Loop: Header=BB4_7680 Depth=3
	s_or_b64 exec, exec, s[28:29]
                                        ; implicit-def: $vgpr2
                                        ; implicit-def: $vgpr0_vgpr1
.LBB4_7738:                             ;   in Loop: Header=BB4_7680 Depth=3
	s_andn2_saveexec_b64 s[28:29], s[30:31]
	s_cbranch_execz .LBB4_7744
; %bb.7739:                             ;   in Loop: Header=BB4_7680 Depth=3
	v_cmp_ne_u64_e32 vcc, 0, v[0:1]
                                        ; implicit-def: $vgpr18
	s_and_saveexec_b64 s[30:31], vcc
	s_xor_b64 vcc, exec, s[30:31]
; %bb.7740:                             ;   in Loop: Header=BB4_7680 Depth=3
	v_or_b32_sdwa v18, v2, s47 dst_sel:DWORD dst_unused:UNUSED_PAD src0_sel:BYTE_3 src1_sel:DWORD
                                        ; implicit-def: $vgpr2
; %bb.7741:                             ;   in Loop: Header=BB4_7680 Depth=3
	s_andn2_saveexec_b64 s[30:31], vcc
; %bb.7742:                             ;   in Loop: Header=BB4_7680 Depth=3
	v_cmp_lt_i32_e32 vcc, -1, v2
	v_bfrev_b32_e32 v0, 0.5
	v_cndmask_b32_e32 v18, v0, v52, vcc
; %bb.7743:                             ;   in Loop: Header=BB4_7680 Depth=3
	s_or_b64 exec, exec, s[30:31]
.LBB4_7744:                             ;   in Loop: Header=BB4_7680 Depth=3
	s_or_b64 exec, exec, s[28:29]
	v_lshrrev_b32_e32 v0, 16, v8
	v_cmp_ne_u16_sdwa vcc, v0, v17 src0_sel:BYTE_0 src1_sel:DWORD
	v_mov_b32_e32 v1, 0
	s_and_saveexec_b64 s[28:29], vcc
	s_cbranch_execz .LBB4_7752
; %bb.7745:                             ;   in Loop: Header=BB4_7680 Depth=3
	v_cmp_ne_u16_sdwa vcc, v0, s96 src0_sel:BYTE_0 src1_sel:DWORD
	v_bfrev_b32_e32 v1, 1
	s_and_saveexec_b64 s[30:31], vcc
	s_cbranch_execz .LBB4_7751
; %bb.7746:                             ;   in Loop: Header=BB4_7680 Depth=3
	v_and_b32_e32 v1, 0x7c0000, v8
	v_bfe_u32 v2, v8, 16, 2
	v_cmp_ne_u32_e32 vcc, s44, v1
                                        ; implicit-def: $vgpr1
	s_and_saveexec_b64 s[34:35], vcc
	s_xor_b64 s[34:35], exec, s[34:35]
	s_cbranch_execz .LBB4_7748
; %bb.7747:                             ;   in Loop: Header=BB4_7680 Depth=3
	v_ffbh_u32_e32 v1, v2
	v_min_u32_e32 v5, 32, v1
	v_subrev_u32_e32 v1, 29, v5
	v_lshlrev_b64 v[0:1], v1, v[0:1]
	v_bfe_u32 v3, v8, 18, 5
	v_and_b32_e32 v0, 3, v0
	v_cmp_eq_u32_e32 vcc, 0, v3
	v_sub_u32_e32 v1, 30, v5
	v_cndmask_b32_e32 v0, v2, v0, vcc
	v_lshlrev_b32_e32 v2, 8, v8
	v_cndmask_b32_e32 v1, v3, v1, vcc
	v_and_b32_e32 v2, 0x80000000, v2
	v_lshl_add_u32 v1, v1, 23, v2
	v_lshl_or_b32 v0, v0, 21, v1
	v_add_u32_e32 v1, 0x38000000, v0
                                        ; implicit-def: $vgpr2
                                        ; implicit-def: $vgpr0
.LBB4_7748:                             ;   in Loop: Header=BB4_7680 Depth=3
	s_andn2_saveexec_b64 s[34:35], s[34:35]
; %bb.7749:                             ;   in Loop: Header=BB4_7680 Depth=3
	v_mov_b32_e32 v1, -1
	v_cmp_gt_i16_sdwa vcc, sext(v0), v1 src0_sel:BYTE_0 src1_sel:DWORD
	v_mov_b32_e32 v0, 0xff800000
	v_mov_b32_e32 v1, 0x7f800000
	v_cndmask_b32_e32 v0, v0, v1, vcc
	v_cmp_eq_u32_e32 vcc, 0, v2
	v_mov_b32_e32 v1, 0x7f800001
	v_cndmask_b32_e32 v1, v1, v0, vcc
; %bb.7750:                             ;   in Loop: Header=BB4_7680 Depth=3
	s_or_b64 exec, exec, s[34:35]
.LBB4_7751:                             ;   in Loop: Header=BB4_7680 Depth=3
	s_or_b64 exec, exec, s[30:31]
.LBB4_7752:                             ;   in Loop: Header=BB4_7680 Depth=3
	s_or_b64 exec, exec, s[28:29]
	v_mul_f32_e32 v2, v12, v1
	v_and_b32_e32 v13, 0x7f800000, v2
	v_mov_b32_e32 v14, v17
	v_cmp_ne_u64_e32 vcc, s[76:77], v[13:14]
	v_and_b32_e32 v0, 0x7fffff, v2
	v_mov_b32_e32 v1, v17
                                        ; implicit-def: $vgpr22
	s_and_saveexec_b64 s[28:29], vcc
	s_xor_b64 s[30:31], exec, s[28:29]
	s_cbranch_execz .LBB4_7766
; %bb.7753:                             ;   in Loop: Header=BB4_7680 Depth=3
	v_and_b32_e32 v13, 0x7fffffff, v2
	v_mov_b32_e32 v14, v17
	v_cmp_gt_u64_e32 vcc, s[78:79], v[13:14]
	v_and_b32_sdwa v3, v2, s96 dst_sel:DWORD dst_unused:UNUSED_PAD src0_sel:BYTE_3 src1_sel:DWORD
                                        ; implicit-def: $vgpr22
	s_and_saveexec_b64 s[28:29], vcc
	s_xor_b64 s[34:35], exec, s[28:29]
	s_cbranch_execz .LBB4_7763
; %bb.7754:                             ;   in Loop: Header=BB4_7680 Depth=3
	v_mov_b32_e32 v22, 0
	v_cmp_ne_u32_e32 vcc, 0, v2
	s_and_saveexec_b64 s[36:37], vcc
	s_cbranch_execz .LBB4_7762
; %bb.7755:                             ;   in Loop: Header=BB4_7680 Depth=3
	v_bfe_u32 v5, v2, 23, 8
	v_cmp_gt_u32_e64 s[28:29], s46, v5
	v_sub_u32_e32 v2, 0x71, v5
	v_cmp_eq_u32_e32 vcc, 0, v5
	v_cndmask_b32_e64 v2, 0, v2, s[28:29]
	v_mov_b32_e32 v13, 0x70
	v_cndmask_b32_e32 v13, v2, v13, vcc
	v_add_u32_e32 v2, 21, v13
	v_or_b32_e32 v6, 0x800000, v0
	v_lshlrev_b64 v[14:15], v2, -1
	v_cndmask_b32_e32 v0, v6, v0, vcc
	v_add_u32_e32 v2, 20, v13
	v_bfi_b32 v14, v14, 0, v0
	v_lshlrev_b64 v[19:20], v2, 1
	v_lshrrev_b64 v[0:1], v13, v[0:1]
	v_bfi_b32 v15, v15, 0, 0
	v_cmp_eq_u64_e64 s[28:29], v[14:15], v[19:20]
	v_mov_b32_e32 v2, v1
	v_mov_b32_e32 v1, v0
	s_and_saveexec_b64 s[38:39], s[28:29]
; %bb.7756:                             ;   in Loop: Header=BB4_7680 Depth=3
	v_bfe_u32 v1, v0, 21, 1
	v_add_co_u32_e64 v1, s[28:29], v0, v1
	v_add_co_u32_e64 v1, s[28:29], -1, v1
; %bb.7757:                             ;   in Loop: Header=BB4_7680 Depth=3
	s_or_b64 exec, exec, s[38:39]
	v_add_u32_e32 v2, 0xffffff81, v5
	v_mov_b32_e32 v5, 0xffffff82
	v_cndmask_b32_e32 v2, v2, v5, vcc
	v_lshrrev_b32_e32 v5, 23, v0
	v_add3_u32 v13, v13, v2, v5
	v_add_u32_e32 v5, 14, v13
	v_and_b32_e32 v1, 0x1fffff, v1
	v_add_u32_e32 v0, v1, v0
	v_mov_b32_e32 v1, v17
	v_cmp_ne_u32_e32 vcc, 0, v5
                                        ; implicit-def: $vgpr2
	s_and_saveexec_b64 s[28:29], vcc
	s_xor_b64 s[28:29], exec, s[28:29]
; %bb.7758:                             ;   in Loop: Header=BB4_7680 Depth=3
	v_cmp_lt_u64_e32 vcc, s[88:89], v[0:1]
	v_add_u32_e32 v2, 15, v13
	v_cndmask_b32_e32 v2, v5, v2, vcc
	v_cndmask_b32_e64 v5, 0, 1, vcc
	v_lshrrev_b64 v[0:1], v5, v[0:1]
; %bb.7759:                             ;   in Loop: Header=BB4_7680 Depth=3
	s_andn2_saveexec_b64 s[28:29], s[28:29]
; %bb.7760:                             ;   in Loop: Header=BB4_7680 Depth=3
	v_bfe_u32 v2, v0, 23, 1
; %bb.7761:                             ;   in Loop: Header=BB4_7680 Depth=3
	s_or_b64 exec, exec, s[28:29]
	v_lshrrev_b64 v[0:1], 21, v[0:1]
	v_cmp_gt_i32_e32 vcc, 32, v2
	v_cndmask_b32_e32 v1, 0, v1, vcc
	v_cndmask_b32_e32 v0, 3, v0, vcc
	v_cmp_eq_u64_e64 s[28:29], 0, v[0:1]
	v_min_i32_e32 v1, 31, v2
	v_lshlrev_b32_e32 v1, 2, v1
	v_cmp_eq_u32_e32 vcc, 0, v2
	v_and_b32_e32 v1, 0xfc, v1
	v_and_or_b32 v0, v0, 3, v1
	s_and_b64 s[28:29], vcc, s[28:29]
	v_cndmask_b32_e64 v0, v0, 0, s[28:29]
	v_or_b32_e32 v22, v0, v3
.LBB4_7762:                             ;   in Loop: Header=BB4_7680 Depth=3
	s_or_b64 exec, exec, s[36:37]
                                        ; implicit-def: $vgpr3
.LBB4_7763:                             ;   in Loop: Header=BB4_7680 Depth=3
	s_andn2_saveexec_b64 s[28:29], s[34:35]
; %bb.7764:                             ;   in Loop: Header=BB4_7680 Depth=3
	v_or_b32_e32 v22, 0x7b, v3
; %bb.7765:                             ;   in Loop: Header=BB4_7680 Depth=3
	s_or_b64 exec, exec, s[28:29]
                                        ; implicit-def: $vgpr2
                                        ; implicit-def: $vgpr0_vgpr1
.LBB4_7766:                             ;   in Loop: Header=BB4_7680 Depth=3
	s_andn2_saveexec_b64 s[28:29], s[30:31]
	s_cbranch_execz .LBB4_7772
; %bb.7767:                             ;   in Loop: Header=BB4_7680 Depth=3
	v_cmp_ne_u64_e32 vcc, 0, v[0:1]
                                        ; implicit-def: $vgpr22
	s_and_saveexec_b64 s[30:31], vcc
	s_xor_b64 vcc, exec, s[30:31]
; %bb.7768:                             ;   in Loop: Header=BB4_7680 Depth=3
	v_or_b32_sdwa v22, v2, s47 dst_sel:DWORD dst_unused:UNUSED_PAD src0_sel:BYTE_3 src1_sel:DWORD
                                        ; implicit-def: $vgpr2
; %bb.7769:                             ;   in Loop: Header=BB4_7680 Depth=3
	s_andn2_saveexec_b64 s[30:31], vcc
; %bb.7770:                             ;   in Loop: Header=BB4_7680 Depth=3
	v_cmp_lt_i32_e32 vcc, -1, v2
	v_bfrev_b32_e32 v0, 0.5
	v_cndmask_b32_e32 v22, v0, v52, vcc
; %bb.7771:                             ;   in Loop: Header=BB4_7680 Depth=3
	s_or_b64 exec, exec, s[30:31]
.LBB4_7772:                             ;   in Loop: Header=BB4_7680 Depth=3
	s_or_b64 exec, exec, s[28:29]
	v_cmp_lt_u32_e32 vcc, s57, v8
	v_mov_b32_e32 v1, 0
	s_and_saveexec_b64 s[28:29], vcc
	s_cbranch_execz .LBB4_7780
; %bb.7773:                             ;   in Loop: Header=BB4_7680 Depth=3
	v_lshrrev_b32_e32 v0, 24, v8
	v_cmp_ne_u32_e32 vcc, s96, v0
	v_bfrev_b32_e32 v1, 1
	s_and_saveexec_b64 s[30:31], vcc
	s_cbranch_execz .LBB4_7779
; %bb.7774:                             ;   in Loop: Header=BB4_7680 Depth=3
	v_and_b32_e32 v1, 0x7c000000, v8
	v_bfe_u32 v2, v8, 24, 2
	v_cmp_ne_u32_e32 vcc, s45, v1
                                        ; implicit-def: $vgpr1
	s_and_saveexec_b64 s[34:35], vcc
	s_xor_b64 s[34:35], exec, s[34:35]
	s_cbranch_execz .LBB4_7776
; %bb.7775:                             ;   in Loop: Header=BB4_7680 Depth=3
	v_ffbh_u32_e32 v1, v2
	v_min_u32_e32 v5, 32, v1
	v_subrev_u32_e32 v1, 29, v5
	v_lshlrev_b64 v[0:1], v1, v[0:1]
	v_bfe_u32 v3, v8, 26, 5
	v_sub_u32_e32 v1, 30, v5
	v_and_b32_e32 v0, 3, v0
	v_cmp_eq_u32_e32 vcc, 0, v3
	v_cndmask_b32_e32 v1, v3, v1, vcc
	v_cndmask_b32_e32 v0, v2, v0, vcc
	v_and_b32_e32 v2, 0x80000000, v8
	v_lshl_add_u32 v1, v1, 23, v2
	v_lshl_or_b32 v0, v0, 21, v1
	v_add_u32_e32 v1, 0x38000000, v0
                                        ; implicit-def: $vgpr2
.LBB4_7776:                             ;   in Loop: Header=BB4_7680 Depth=3
	s_andn2_saveexec_b64 s[34:35], s[34:35]
; %bb.7777:                             ;   in Loop: Header=BB4_7680 Depth=3
	v_cmp_lt_i32_e32 vcc, -1, v8
	v_mov_b32_e32 v0, 0xff800000
	v_mov_b32_e32 v1, 0x7f800000
	v_cndmask_b32_e32 v0, v0, v1, vcc
	v_cmp_eq_u32_e32 vcc, 0, v2
	v_mov_b32_e32 v1, 0x7f800001
	v_cndmask_b32_e32 v1, v1, v0, vcc
; %bb.7778:                             ;   in Loop: Header=BB4_7680 Depth=3
	s_or_b64 exec, exec, s[34:35]
.LBB4_7779:                             ;   in Loop: Header=BB4_7680 Depth=3
	s_or_b64 exec, exec, s[30:31]
.LBB4_7780:                             ;   in Loop: Header=BB4_7680 Depth=3
	s_or_b64 exec, exec, s[28:29]
	v_mul_f32_e32 v2, v12, v1
	v_and_b32_e32 v13, 0x7f800000, v2
	v_mov_b32_e32 v14, v17
	v_cmp_ne_u64_e32 vcc, s[76:77], v[13:14]
	v_and_b32_e32 v0, 0x7fffff, v2
	v_mov_b32_e32 v1, v17
                                        ; implicit-def: $vgpr31
	s_and_saveexec_b64 s[28:29], vcc
	s_xor_b64 s[30:31], exec, s[28:29]
	s_cbranch_execz .LBB4_7794
; %bb.7781:                             ;   in Loop: Header=BB4_7680 Depth=3
	v_and_b32_e32 v13, 0x7fffffff, v2
	v_mov_b32_e32 v14, v17
	v_cmp_gt_u64_e32 vcc, s[78:79], v[13:14]
	v_and_b32_sdwa v3, v2, s96 dst_sel:DWORD dst_unused:UNUSED_PAD src0_sel:BYTE_3 src1_sel:DWORD
                                        ; implicit-def: $vgpr31
	s_and_saveexec_b64 s[28:29], vcc
	s_xor_b64 s[34:35], exec, s[28:29]
	s_cbranch_execz .LBB4_7791
; %bb.7782:                             ;   in Loop: Header=BB4_7680 Depth=3
	v_mov_b32_e32 v31, 0
	v_cmp_ne_u32_e32 vcc, 0, v2
	s_and_saveexec_b64 s[36:37], vcc
	s_cbranch_execz .LBB4_7790
; %bb.7783:                             ;   in Loop: Header=BB4_7680 Depth=3
	v_bfe_u32 v5, v2, 23, 8
	v_cmp_gt_u32_e64 s[28:29], s46, v5
	v_sub_u32_e32 v2, 0x71, v5
	v_cmp_eq_u32_e32 vcc, 0, v5
	v_cndmask_b32_e64 v2, 0, v2, s[28:29]
	v_mov_b32_e32 v13, 0x70
	v_cndmask_b32_e32 v13, v2, v13, vcc
	v_add_u32_e32 v2, 21, v13
	v_or_b32_e32 v6, 0x800000, v0
	v_lshlrev_b64 v[14:15], v2, -1
	v_cndmask_b32_e32 v0, v6, v0, vcc
	v_add_u32_e32 v2, 20, v13
	v_bfi_b32 v14, v14, 0, v0
	v_lshlrev_b64 v[19:20], v2, 1
	v_lshrrev_b64 v[0:1], v13, v[0:1]
	v_bfi_b32 v15, v15, 0, 0
	v_cmp_eq_u64_e64 s[28:29], v[14:15], v[19:20]
	v_mov_b32_e32 v2, v1
	v_mov_b32_e32 v1, v0
	s_and_saveexec_b64 s[38:39], s[28:29]
; %bb.7784:                             ;   in Loop: Header=BB4_7680 Depth=3
	v_bfe_u32 v1, v0, 21, 1
	v_add_co_u32_e64 v1, s[28:29], v0, v1
	v_add_co_u32_e64 v1, s[28:29], -1, v1
; %bb.7785:                             ;   in Loop: Header=BB4_7680 Depth=3
	s_or_b64 exec, exec, s[38:39]
	v_add_u32_e32 v2, 0xffffff81, v5
	v_mov_b32_e32 v5, 0xffffff82
	v_cndmask_b32_e32 v2, v2, v5, vcc
	v_lshrrev_b32_e32 v5, 23, v0
	v_add3_u32 v13, v13, v2, v5
	v_add_u32_e32 v5, 14, v13
	v_and_b32_e32 v1, 0x1fffff, v1
	v_add_u32_e32 v0, v1, v0
	v_mov_b32_e32 v1, v17
	v_cmp_ne_u32_e32 vcc, 0, v5
                                        ; implicit-def: $vgpr2
	s_and_saveexec_b64 s[28:29], vcc
	s_xor_b64 s[28:29], exec, s[28:29]
; %bb.7786:                             ;   in Loop: Header=BB4_7680 Depth=3
	v_cmp_lt_u64_e32 vcc, s[88:89], v[0:1]
	v_add_u32_e32 v2, 15, v13
	v_cndmask_b32_e32 v2, v5, v2, vcc
	v_cndmask_b32_e64 v5, 0, 1, vcc
	v_lshrrev_b64 v[0:1], v5, v[0:1]
; %bb.7787:                             ;   in Loop: Header=BB4_7680 Depth=3
	s_andn2_saveexec_b64 s[28:29], s[28:29]
; %bb.7788:                             ;   in Loop: Header=BB4_7680 Depth=3
	v_bfe_u32 v2, v0, 23, 1
; %bb.7789:                             ;   in Loop: Header=BB4_7680 Depth=3
	s_or_b64 exec, exec, s[28:29]
	v_lshrrev_b64 v[0:1], 21, v[0:1]
	v_cmp_gt_i32_e32 vcc, 32, v2
	v_cndmask_b32_e32 v1, 0, v1, vcc
	v_cndmask_b32_e32 v0, 3, v0, vcc
	v_cmp_eq_u64_e64 s[28:29], 0, v[0:1]
	v_min_i32_e32 v1, 31, v2
	v_lshlrev_b32_e32 v1, 2, v1
	v_cmp_eq_u32_e32 vcc, 0, v2
	v_and_b32_e32 v1, 0xfc, v1
	v_and_or_b32 v0, v0, 3, v1
	s_and_b64 s[28:29], vcc, s[28:29]
	v_cndmask_b32_e64 v0, v0, 0, s[28:29]
	v_or_b32_e32 v31, v0, v3
.LBB4_7790:                             ;   in Loop: Header=BB4_7680 Depth=3
	s_or_b64 exec, exec, s[36:37]
                                        ; implicit-def: $vgpr3
.LBB4_7791:                             ;   in Loop: Header=BB4_7680 Depth=3
	s_andn2_saveexec_b64 s[28:29], s[34:35]
; %bb.7792:                             ;   in Loop: Header=BB4_7680 Depth=3
	v_or_b32_e32 v31, 0x7b, v3
; %bb.7793:                             ;   in Loop: Header=BB4_7680 Depth=3
	s_or_b64 exec, exec, s[28:29]
                                        ; implicit-def: $vgpr2
                                        ; implicit-def: $vgpr0_vgpr1
.LBB4_7794:                             ;   in Loop: Header=BB4_7680 Depth=3
	s_andn2_saveexec_b64 s[28:29], s[30:31]
	s_cbranch_execz .LBB4_7800
; %bb.7795:                             ;   in Loop: Header=BB4_7680 Depth=3
	v_cmp_ne_u64_e32 vcc, 0, v[0:1]
                                        ; implicit-def: $vgpr31
	s_and_saveexec_b64 s[30:31], vcc
	s_xor_b64 vcc, exec, s[30:31]
; %bb.7796:                             ;   in Loop: Header=BB4_7680 Depth=3
	v_or_b32_sdwa v31, v2, s47 dst_sel:DWORD dst_unused:UNUSED_PAD src0_sel:BYTE_3 src1_sel:DWORD
                                        ; implicit-def: $vgpr2
; %bb.7797:                             ;   in Loop: Header=BB4_7680 Depth=3
	s_andn2_saveexec_b64 s[30:31], vcc
; %bb.7798:                             ;   in Loop: Header=BB4_7680 Depth=3
	v_cmp_lt_i32_e32 vcc, -1, v2
	v_bfrev_b32_e32 v0, 0.5
	v_cndmask_b32_e32 v31, v0, v52, vcc
; %bb.7799:                             ;   in Loop: Header=BB4_7680 Depth=3
	s_or_b64 exec, exec, s[30:31]
.LBB4_7800:                             ;   in Loop: Header=BB4_7680 Depth=3
	s_or_b64 exec, exec, s[28:29]
	v_mov_b32_e32 v0, v9
	v_mov_b32_e32 v1, v17
	v_cmp_ne_u16_sdwa vcc, v9, v17 src0_sel:BYTE_0 src1_sel:DWORD
	v_mov_b32_e32 v2, 0
	s_and_saveexec_b64 s[28:29], vcc
	s_cbranch_execz .LBB4_7808
; %bb.7801:                             ;   in Loop: Header=BB4_7680 Depth=3
	v_cmp_ne_u16_sdwa vcc, v9, s96 src0_sel:BYTE_0 src1_sel:DWORD
	v_bfrev_b32_e32 v2, 1
	s_and_saveexec_b64 s[30:31], vcc
	s_cbranch_execz .LBB4_7807
; %bb.7802:                             ;   in Loop: Header=BB4_7680 Depth=3
	v_and_b32_e32 v2, 0x7c, v9
	v_and_b32_e32 v3, 3, v9
	v_cmp_ne_u32_e32 vcc, s85, v2
                                        ; implicit-def: $vgpr2
	s_and_saveexec_b64 s[34:35], vcc
	s_xor_b64 s[34:35], exec, s[34:35]
	s_cbranch_execz .LBB4_7804
; %bb.7803:                             ;   in Loop: Header=BB4_7680 Depth=3
	v_ffbh_u32_e32 v2, v3
	v_min_u32_e32 v6, 32, v2
	v_subrev_u32_e32 v2, 29, v6
	v_lshlrev_b64 v[1:2], v2, v[0:1]
	v_bfe_u32 v5, v9, 2, 5
	v_and_b32_e32 v1, 3, v1
	v_cmp_eq_u32_e32 vcc, 0, v5
	v_sub_u32_e32 v2, 30, v6
	v_cndmask_b32_e32 v1, v3, v1, vcc
	v_lshlrev_b32_e32 v3, 24, v9
	v_cndmask_b32_e32 v2, v5, v2, vcc
	v_and_b32_e32 v3, 0x80000000, v3
	v_lshl_add_u32 v2, v2, 23, v3
	v_lshl_or_b32 v1, v1, 21, v2
	v_add_u32_e32 v2, 0x38000000, v1
                                        ; implicit-def: $vgpr3
.LBB4_7804:                             ;   in Loop: Header=BB4_7680 Depth=3
	s_andn2_saveexec_b64 s[34:35], s[34:35]
; %bb.7805:                             ;   in Loop: Header=BB4_7680 Depth=3
	v_mov_b32_e32 v1, -1
	v_cmp_gt_i16_sdwa vcc, sext(v9), v1 src0_sel:BYTE_0 src1_sel:DWORD
	v_mov_b32_e32 v1, 0xff800000
	v_mov_b32_e32 v2, 0x7f800000
	v_cndmask_b32_e32 v1, v1, v2, vcc
	v_cmp_eq_u32_e32 vcc, 0, v3
	v_mov_b32_e32 v2, 0x7f800001
	v_cndmask_b32_e32 v2, v2, v1, vcc
; %bb.7806:                             ;   in Loop: Header=BB4_7680 Depth=3
	s_or_b64 exec, exec, s[34:35]
.LBB4_7807:                             ;   in Loop: Header=BB4_7680 Depth=3
	s_or_b64 exec, exec, s[30:31]
.LBB4_7808:                             ;   in Loop: Header=BB4_7680 Depth=3
	s_or_b64 exec, exec, s[28:29]
	v_mul_f32_e32 v3, v12, v2
	v_and_b32_e32 v13, 0x7f800000, v3
	v_mov_b32_e32 v14, v17
	v_cmp_ne_u64_e32 vcc, s[76:77], v[13:14]
	v_and_b32_e32 v1, 0x7fffff, v3
	v_mov_b32_e32 v2, v17
                                        ; implicit-def: $vgpr36
	s_and_saveexec_b64 s[28:29], vcc
	s_xor_b64 s[30:31], exec, s[28:29]
	s_cbranch_execz .LBB4_7822
; %bb.7809:                             ;   in Loop: Header=BB4_7680 Depth=3
	v_and_b32_e32 v13, 0x7fffffff, v3
	v_mov_b32_e32 v14, v17
	v_cmp_gt_u64_e32 vcc, s[78:79], v[13:14]
	v_and_b32_sdwa v5, v3, s96 dst_sel:DWORD dst_unused:UNUSED_PAD src0_sel:BYTE_3 src1_sel:DWORD
                                        ; implicit-def: $vgpr36
	s_and_saveexec_b64 s[28:29], vcc
	s_xor_b64 s[34:35], exec, s[28:29]
	s_cbranch_execz .LBB4_7819
; %bb.7810:                             ;   in Loop: Header=BB4_7680 Depth=3
	v_mov_b32_e32 v36, 0
	v_cmp_ne_u32_e32 vcc, 0, v3
	s_and_saveexec_b64 s[36:37], vcc
	s_cbranch_execz .LBB4_7818
; %bb.7811:                             ;   in Loop: Header=BB4_7680 Depth=3
	v_bfe_u32 v13, v3, 23, 8
	v_cmp_gt_u32_e64 s[28:29], s46, v13
	v_sub_u32_e32 v3, 0x71, v13
	v_cmp_eq_u32_e32 vcc, 0, v13
	v_cndmask_b32_e64 v3, 0, v3, s[28:29]
	v_mov_b32_e32 v14, 0x70
	v_cndmask_b32_e32 v14, v3, v14, vcc
	v_add_u32_e32 v3, 21, v14
	v_or_b32_e32 v6, 0x800000, v1
	v_lshlrev_b64 v[15:16], v3, -1
	v_cndmask_b32_e32 v1, v6, v1, vcc
	v_add_u32_e32 v3, 20, v14
	v_bfi_b32 v15, v15, 0, v1
	v_lshlrev_b64 v[19:20], v3, 1
	v_lshrrev_b64 v[1:2], v14, v[1:2]
	v_bfi_b32 v16, v16, 0, 0
	v_cmp_eq_u64_e64 s[28:29], v[15:16], v[19:20]
	v_mov_b32_e32 v3, v2
	v_mov_b32_e32 v2, v1
	s_and_saveexec_b64 s[38:39], s[28:29]
; %bb.7812:                             ;   in Loop: Header=BB4_7680 Depth=3
	v_bfe_u32 v2, v1, 21, 1
	v_add_co_u32_e64 v2, s[28:29], v1, v2
	v_add_co_u32_e64 v2, s[28:29], -1, v2
; %bb.7813:                             ;   in Loop: Header=BB4_7680 Depth=3
	s_or_b64 exec, exec, s[38:39]
	v_add_u32_e32 v3, 0xffffff81, v13
	v_mov_b32_e32 v6, 0xffffff82
	v_cndmask_b32_e32 v3, v3, v6, vcc
	v_lshrrev_b32_e32 v6, 23, v1
	v_add3_u32 v14, v14, v3, v6
	v_add_u32_e32 v13, 14, v14
	v_and_b32_e32 v2, 0x1fffff, v2
	v_add_u32_e32 v1, v2, v1
	v_mov_b32_e32 v2, v17
	v_cmp_ne_u32_e32 vcc, 0, v13
                                        ; implicit-def: $vgpr3
	s_and_saveexec_b64 s[28:29], vcc
	s_xor_b64 s[28:29], exec, s[28:29]
; %bb.7814:                             ;   in Loop: Header=BB4_7680 Depth=3
	v_cmp_lt_u64_e32 vcc, s[88:89], v[1:2]
	v_add_u32_e32 v3, 15, v14
	v_cndmask_b32_e64 v6, 0, 1, vcc
	v_cndmask_b32_e32 v3, v13, v3, vcc
	v_lshrrev_b64 v[1:2], v6, v[1:2]
; %bb.7815:                             ;   in Loop: Header=BB4_7680 Depth=3
	s_andn2_saveexec_b64 s[28:29], s[28:29]
; %bb.7816:                             ;   in Loop: Header=BB4_7680 Depth=3
	v_bfe_u32 v3, v1, 23, 1
; %bb.7817:                             ;   in Loop: Header=BB4_7680 Depth=3
	s_or_b64 exec, exec, s[28:29]
	v_lshrrev_b64 v[1:2], 21, v[1:2]
	v_cmp_gt_i32_e32 vcc, 32, v3
	v_cndmask_b32_e32 v2, 0, v2, vcc
	v_cndmask_b32_e32 v1, 3, v1, vcc
	v_cmp_eq_u64_e64 s[28:29], 0, v[1:2]
	v_min_i32_e32 v2, 31, v3
	v_lshlrev_b32_e32 v2, 2, v2
	v_cmp_eq_u32_e32 vcc, 0, v3
	v_and_b32_e32 v2, 0xfc, v2
	v_and_or_b32 v1, v1, 3, v2
	s_and_b64 s[28:29], vcc, s[28:29]
	v_cndmask_b32_e64 v1, v1, 0, s[28:29]
	v_or_b32_e32 v36, v1, v5
.LBB4_7818:                             ;   in Loop: Header=BB4_7680 Depth=3
	s_or_b64 exec, exec, s[36:37]
                                        ; implicit-def: $vgpr5
.LBB4_7819:                             ;   in Loop: Header=BB4_7680 Depth=3
	s_andn2_saveexec_b64 s[28:29], s[34:35]
; %bb.7820:                             ;   in Loop: Header=BB4_7680 Depth=3
	v_or_b32_e32 v36, 0x7b, v5
; %bb.7821:                             ;   in Loop: Header=BB4_7680 Depth=3
	s_or_b64 exec, exec, s[28:29]
                                        ; implicit-def: $vgpr3
                                        ; implicit-def: $vgpr1_vgpr2
.LBB4_7822:                             ;   in Loop: Header=BB4_7680 Depth=3
	s_andn2_saveexec_b64 s[28:29], s[30:31]
	s_cbranch_execz .LBB4_7828
; %bb.7823:                             ;   in Loop: Header=BB4_7680 Depth=3
	v_cmp_ne_u64_e32 vcc, 0, v[1:2]
                                        ; implicit-def: $vgpr36
	s_and_saveexec_b64 s[30:31], vcc
	s_xor_b64 vcc, exec, s[30:31]
; %bb.7824:                             ;   in Loop: Header=BB4_7680 Depth=3
	v_or_b32_sdwa v36, v3, s47 dst_sel:DWORD dst_unused:UNUSED_PAD src0_sel:BYTE_3 src1_sel:DWORD
                                        ; implicit-def: $vgpr3
; %bb.7825:                             ;   in Loop: Header=BB4_7680 Depth=3
	s_andn2_saveexec_b64 s[30:31], vcc
; %bb.7826:                             ;   in Loop: Header=BB4_7680 Depth=3
	v_cmp_lt_i32_e32 vcc, -1, v3
	v_bfrev_b32_e32 v1, 0.5
	v_cndmask_b32_e32 v36, v1, v52, vcc
; %bb.7827:                             ;   in Loop: Header=BB4_7680 Depth=3
	s_or_b64 exec, exec, s[30:31]
.LBB4_7828:                             ;   in Loop: Header=BB4_7680 Depth=3
	s_or_b64 exec, exec, s[28:29]
	v_lshrrev_b16_e32 v1, 8, v0
	v_cmp_ne_u16_e32 vcc, 0, v1
	v_mov_b32_e32 v2, 0
	s_and_saveexec_b64 s[28:29], vcc
	s_cbranch_execz .LBB4_7836
; %bb.7829:                             ;   in Loop: Header=BB4_7680 Depth=3
	v_cmp_ne_u16_e32 vcc, s96, v1
	v_bfrev_b32_e32 v2, 1
	s_and_saveexec_b64 s[30:31], vcc
	s_cbranch_execz .LBB4_7835
; %bb.7830:                             ;   in Loop: Header=BB4_7680 Depth=3
	v_and_b32_e32 v2, 0x7c, v1
	v_and_b32_e32 v3, 3, v1
	v_cmp_ne_u32_e32 vcc, s85, v2
                                        ; implicit-def: $vgpr2
	s_and_saveexec_b64 s[34:35], vcc
	s_xor_b64 s[34:35], exec, s[34:35]
	s_cbranch_execz .LBB4_7832
; %bb.7831:                             ;   in Loop: Header=BB4_7680 Depth=3
	v_ffbh_u32_e32 v6, v3
	v_min_u32_e32 v6, 32, v6
	v_mov_b32_e32 v2, v17
	v_subrev_u32_e32 v13, 29, v6
	v_bfe_u32 v5, v1, 2, 5
	v_lshlrev_b64 v[1:2], v13, v[1:2]
	v_sub_u32_e32 v2, 30, v6
	v_cmp_eq_u32_e32 vcc, 0, v5
	v_lshlrev_b32_e32 v0, 16, v0
	v_and_b32_e32 v1, 3, v1
	v_cndmask_b32_e32 v2, v5, v2, vcc
	v_and_b32_e32 v0, 0x80000000, v0
	v_cndmask_b32_e32 v1, v3, v1, vcc
	v_lshl_add_u32 v0, v2, 23, v0
	v_lshl_or_b32 v0, v1, 21, v0
	v_add_u32_e32 v2, 0x38000000, v0
                                        ; implicit-def: $vgpr3
                                        ; implicit-def: $vgpr0_vgpr1
.LBB4_7832:                             ;   in Loop: Header=BB4_7680 Depth=3
	s_andn2_saveexec_b64 s[34:35], s[34:35]
; %bb.7833:                             ;   in Loop: Header=BB4_7680 Depth=3
	v_cmp_lt_i16_e32 vcc, -1, v0
	v_mov_b32_e32 v0, 0xff800000
	v_mov_b32_e32 v1, 0x7f800000
	v_cndmask_b32_e32 v0, v0, v1, vcc
	v_cmp_eq_u32_e32 vcc, 0, v3
	v_mov_b32_e32 v1, 0x7f800001
	v_cndmask_b32_e32 v2, v1, v0, vcc
; %bb.7834:                             ;   in Loop: Header=BB4_7680 Depth=3
	s_or_b64 exec, exec, s[34:35]
.LBB4_7835:                             ;   in Loop: Header=BB4_7680 Depth=3
	s_or_b64 exec, exec, s[30:31]
.LBB4_7836:                             ;   in Loop: Header=BB4_7680 Depth=3
	s_or_b64 exec, exec, s[28:29]
	v_mul_f32_e32 v2, v12, v2
	v_and_b32_e32 v13, 0x7f800000, v2
	v_mov_b32_e32 v14, v17
	v_cmp_ne_u64_e32 vcc, s[76:77], v[13:14]
	v_and_b32_e32 v0, 0x7fffff, v2
	v_mov_b32_e32 v1, v17
                                        ; implicit-def: $vgpr51
	s_and_saveexec_b64 s[28:29], vcc
	s_xor_b64 s[30:31], exec, s[28:29]
	s_cbranch_execz .LBB4_7850
; %bb.7837:                             ;   in Loop: Header=BB4_7680 Depth=3
	v_and_b32_e32 v13, 0x7fffffff, v2
	v_mov_b32_e32 v14, v17
	v_cmp_gt_u64_e32 vcc, s[78:79], v[13:14]
	v_and_b32_sdwa v3, v2, s96 dst_sel:DWORD dst_unused:UNUSED_PAD src0_sel:BYTE_3 src1_sel:DWORD
                                        ; implicit-def: $vgpr51
	s_and_saveexec_b64 s[28:29], vcc
	s_xor_b64 s[34:35], exec, s[28:29]
	s_cbranch_execz .LBB4_7847
; %bb.7838:                             ;   in Loop: Header=BB4_7680 Depth=3
	v_mov_b32_e32 v51, 0
	v_cmp_ne_u32_e32 vcc, 0, v2
	s_and_saveexec_b64 s[36:37], vcc
	s_cbranch_execz .LBB4_7846
; %bb.7839:                             ;   in Loop: Header=BB4_7680 Depth=3
	v_bfe_u32 v5, v2, 23, 8
	v_cmp_gt_u32_e64 s[28:29], s46, v5
	v_sub_u32_e32 v2, 0x71, v5
	v_cmp_eq_u32_e32 vcc, 0, v5
	v_cndmask_b32_e64 v2, 0, v2, s[28:29]
	v_mov_b32_e32 v13, 0x70
	v_cndmask_b32_e32 v13, v2, v13, vcc
	v_add_u32_e32 v2, 21, v13
	v_or_b32_e32 v6, 0x800000, v0
	v_lshlrev_b64 v[14:15], v2, -1
	v_cndmask_b32_e32 v0, v6, v0, vcc
	v_add_u32_e32 v2, 20, v13
	v_bfi_b32 v14, v14, 0, v0
	v_lshlrev_b64 v[19:20], v2, 1
	v_lshrrev_b64 v[0:1], v13, v[0:1]
	v_bfi_b32 v15, v15, 0, 0
	v_cmp_eq_u64_e64 s[28:29], v[14:15], v[19:20]
	v_mov_b32_e32 v2, v1
	v_mov_b32_e32 v1, v0
	s_and_saveexec_b64 s[38:39], s[28:29]
; %bb.7840:                             ;   in Loop: Header=BB4_7680 Depth=3
	v_bfe_u32 v1, v0, 21, 1
	v_add_co_u32_e64 v1, s[28:29], v0, v1
	v_add_co_u32_e64 v1, s[28:29], -1, v1
; %bb.7841:                             ;   in Loop: Header=BB4_7680 Depth=3
	s_or_b64 exec, exec, s[38:39]
	v_add_u32_e32 v2, 0xffffff81, v5
	v_mov_b32_e32 v5, 0xffffff82
	v_cndmask_b32_e32 v2, v2, v5, vcc
	v_lshrrev_b32_e32 v5, 23, v0
	v_add3_u32 v13, v13, v2, v5
	v_add_u32_e32 v5, 14, v13
	v_and_b32_e32 v1, 0x1fffff, v1
	v_add_u32_e32 v0, v1, v0
	v_mov_b32_e32 v1, v17
	v_cmp_ne_u32_e32 vcc, 0, v5
                                        ; implicit-def: $vgpr2
	s_and_saveexec_b64 s[28:29], vcc
	s_xor_b64 s[28:29], exec, s[28:29]
; %bb.7842:                             ;   in Loop: Header=BB4_7680 Depth=3
	v_cmp_lt_u64_e32 vcc, s[88:89], v[0:1]
	v_add_u32_e32 v2, 15, v13
	v_cndmask_b32_e32 v2, v5, v2, vcc
	v_cndmask_b32_e64 v5, 0, 1, vcc
	v_lshrrev_b64 v[0:1], v5, v[0:1]
; %bb.7843:                             ;   in Loop: Header=BB4_7680 Depth=3
	s_andn2_saveexec_b64 s[28:29], s[28:29]
; %bb.7844:                             ;   in Loop: Header=BB4_7680 Depth=3
	v_bfe_u32 v2, v0, 23, 1
; %bb.7845:                             ;   in Loop: Header=BB4_7680 Depth=3
	s_or_b64 exec, exec, s[28:29]
	v_lshrrev_b64 v[0:1], 21, v[0:1]
	v_cmp_gt_i32_e32 vcc, 32, v2
	v_cndmask_b32_e32 v1, 0, v1, vcc
	v_cndmask_b32_e32 v0, 3, v0, vcc
	v_cmp_eq_u64_e64 s[28:29], 0, v[0:1]
	v_min_i32_e32 v1, 31, v2
	v_lshlrev_b32_e32 v1, 2, v1
	v_cmp_eq_u32_e32 vcc, 0, v2
	v_and_b32_e32 v1, 0xfc, v1
	v_and_or_b32 v0, v0, 3, v1
	s_and_b64 s[28:29], vcc, s[28:29]
	v_cndmask_b32_e64 v0, v0, 0, s[28:29]
	v_or_b32_e32 v51, v0, v3
.LBB4_7846:                             ;   in Loop: Header=BB4_7680 Depth=3
	s_or_b64 exec, exec, s[36:37]
                                        ; implicit-def: $vgpr3
.LBB4_7847:                             ;   in Loop: Header=BB4_7680 Depth=3
	s_andn2_saveexec_b64 s[28:29], s[34:35]
; %bb.7848:                             ;   in Loop: Header=BB4_7680 Depth=3
	v_or_b32_e32 v51, 0x7b, v3
; %bb.7849:                             ;   in Loop: Header=BB4_7680 Depth=3
	s_or_b64 exec, exec, s[28:29]
                                        ; implicit-def: $vgpr2
                                        ; implicit-def: $vgpr0_vgpr1
.LBB4_7850:                             ;   in Loop: Header=BB4_7680 Depth=3
	s_andn2_saveexec_b64 s[28:29], s[30:31]
	s_cbranch_execz .LBB4_7856
; %bb.7851:                             ;   in Loop: Header=BB4_7680 Depth=3
	v_cmp_ne_u64_e32 vcc, 0, v[0:1]
                                        ; implicit-def: $vgpr51
	s_and_saveexec_b64 s[30:31], vcc
	s_xor_b64 vcc, exec, s[30:31]
; %bb.7852:                             ;   in Loop: Header=BB4_7680 Depth=3
	v_or_b32_sdwa v51, v2, s47 dst_sel:DWORD dst_unused:UNUSED_PAD src0_sel:BYTE_3 src1_sel:DWORD
                                        ; implicit-def: $vgpr2
; %bb.7853:                             ;   in Loop: Header=BB4_7680 Depth=3
	s_andn2_saveexec_b64 s[30:31], vcc
; %bb.7854:                             ;   in Loop: Header=BB4_7680 Depth=3
	v_cmp_lt_i32_e32 vcc, -1, v2
	v_bfrev_b32_e32 v0, 0.5
	v_cndmask_b32_e32 v51, v0, v52, vcc
; %bb.7855:                             ;   in Loop: Header=BB4_7680 Depth=3
	s_or_b64 exec, exec, s[30:31]
.LBB4_7856:                             ;   in Loop: Header=BB4_7680 Depth=3
	s_or_b64 exec, exec, s[28:29]
	v_lshrrev_b32_e32 v0, 16, v9
	v_cmp_ne_u16_sdwa vcc, v0, v17 src0_sel:BYTE_0 src1_sel:DWORD
	v_mov_b32_e32 v1, 0
	s_and_saveexec_b64 s[28:29], vcc
	s_cbranch_execz .LBB4_7864
; %bb.7857:                             ;   in Loop: Header=BB4_7680 Depth=3
	v_cmp_ne_u16_sdwa vcc, v0, s96 src0_sel:BYTE_0 src1_sel:DWORD
	v_bfrev_b32_e32 v1, 1
	s_and_saveexec_b64 s[30:31], vcc
	s_cbranch_execz .LBB4_7863
; %bb.7858:                             ;   in Loop: Header=BB4_7680 Depth=3
	v_and_b32_e32 v1, 0x7c0000, v9
	v_bfe_u32 v2, v9, 16, 2
	v_cmp_ne_u32_e32 vcc, s44, v1
                                        ; implicit-def: $vgpr1
	s_and_saveexec_b64 s[34:35], vcc
	s_xor_b64 s[34:35], exec, s[34:35]
	s_cbranch_execz .LBB4_7860
; %bb.7859:                             ;   in Loop: Header=BB4_7680 Depth=3
	v_ffbh_u32_e32 v1, v2
	v_min_u32_e32 v5, 32, v1
	v_subrev_u32_e32 v1, 29, v5
	v_lshlrev_b64 v[0:1], v1, v[0:1]
	v_bfe_u32 v3, v9, 18, 5
	v_and_b32_e32 v0, 3, v0
	v_cmp_eq_u32_e32 vcc, 0, v3
	v_sub_u32_e32 v1, 30, v5
	v_cndmask_b32_e32 v0, v2, v0, vcc
	v_lshlrev_b32_e32 v2, 8, v9
	v_cndmask_b32_e32 v1, v3, v1, vcc
	v_and_b32_e32 v2, 0x80000000, v2
	v_lshl_add_u32 v1, v1, 23, v2
	v_lshl_or_b32 v0, v0, 21, v1
	v_add_u32_e32 v1, 0x38000000, v0
                                        ; implicit-def: $vgpr2
                                        ; implicit-def: $vgpr0
.LBB4_7860:                             ;   in Loop: Header=BB4_7680 Depth=3
	s_andn2_saveexec_b64 s[34:35], s[34:35]
; %bb.7861:                             ;   in Loop: Header=BB4_7680 Depth=3
	v_mov_b32_e32 v1, -1
	v_cmp_gt_i16_sdwa vcc, sext(v0), v1 src0_sel:BYTE_0 src1_sel:DWORD
	v_mov_b32_e32 v0, 0xff800000
	v_mov_b32_e32 v1, 0x7f800000
	v_cndmask_b32_e32 v0, v0, v1, vcc
	v_cmp_eq_u32_e32 vcc, 0, v2
	v_mov_b32_e32 v1, 0x7f800001
	v_cndmask_b32_e32 v1, v1, v0, vcc
; %bb.7862:                             ;   in Loop: Header=BB4_7680 Depth=3
	s_or_b64 exec, exec, s[34:35]
.LBB4_7863:                             ;   in Loop: Header=BB4_7680 Depth=3
	s_or_b64 exec, exec, s[30:31]
.LBB4_7864:                             ;   in Loop: Header=BB4_7680 Depth=3
	s_or_b64 exec, exec, s[28:29]
	v_mul_f32_e32 v2, v12, v1
	v_and_b32_e32 v13, 0x7f800000, v2
	v_mov_b32_e32 v14, v17
	v_cmp_ne_u64_e32 vcc, s[76:77], v[13:14]
	v_and_b32_e32 v0, 0x7fffff, v2
	v_mov_b32_e32 v1, v17
                                        ; implicit-def: $vgpr41
	s_and_saveexec_b64 s[28:29], vcc
	s_xor_b64 s[30:31], exec, s[28:29]
	s_cbranch_execz .LBB4_7878
; %bb.7865:                             ;   in Loop: Header=BB4_7680 Depth=3
	v_and_b32_e32 v13, 0x7fffffff, v2
	v_mov_b32_e32 v14, v17
	v_cmp_gt_u64_e32 vcc, s[78:79], v[13:14]
	v_and_b32_sdwa v3, v2, s96 dst_sel:DWORD dst_unused:UNUSED_PAD src0_sel:BYTE_3 src1_sel:DWORD
                                        ; implicit-def: $vgpr41
	s_and_saveexec_b64 s[28:29], vcc
	s_xor_b64 s[34:35], exec, s[28:29]
	s_cbranch_execz .LBB4_7875
; %bb.7866:                             ;   in Loop: Header=BB4_7680 Depth=3
	v_mov_b32_e32 v41, 0
	v_cmp_ne_u32_e32 vcc, 0, v2
	s_and_saveexec_b64 s[36:37], vcc
	s_cbranch_execz .LBB4_7874
; %bb.7867:                             ;   in Loop: Header=BB4_7680 Depth=3
	v_bfe_u32 v5, v2, 23, 8
	v_cmp_gt_u32_e64 s[28:29], s46, v5
	v_sub_u32_e32 v2, 0x71, v5
	v_cmp_eq_u32_e32 vcc, 0, v5
	v_cndmask_b32_e64 v2, 0, v2, s[28:29]
	v_mov_b32_e32 v13, 0x70
	v_cndmask_b32_e32 v13, v2, v13, vcc
	v_add_u32_e32 v2, 21, v13
	v_or_b32_e32 v6, 0x800000, v0
	v_lshlrev_b64 v[14:15], v2, -1
	v_cndmask_b32_e32 v0, v6, v0, vcc
	v_add_u32_e32 v2, 20, v13
	v_bfi_b32 v14, v14, 0, v0
	v_lshlrev_b64 v[19:20], v2, 1
	v_lshrrev_b64 v[0:1], v13, v[0:1]
	v_bfi_b32 v15, v15, 0, 0
	v_cmp_eq_u64_e64 s[28:29], v[14:15], v[19:20]
	v_mov_b32_e32 v2, v1
	v_mov_b32_e32 v1, v0
	s_and_saveexec_b64 s[38:39], s[28:29]
; %bb.7868:                             ;   in Loop: Header=BB4_7680 Depth=3
	v_bfe_u32 v1, v0, 21, 1
	v_add_co_u32_e64 v1, s[28:29], v0, v1
	v_add_co_u32_e64 v1, s[28:29], -1, v1
; %bb.7869:                             ;   in Loop: Header=BB4_7680 Depth=3
	s_or_b64 exec, exec, s[38:39]
	v_add_u32_e32 v2, 0xffffff81, v5
	v_mov_b32_e32 v5, 0xffffff82
	v_cndmask_b32_e32 v2, v2, v5, vcc
	v_lshrrev_b32_e32 v5, 23, v0
	v_add3_u32 v13, v13, v2, v5
	v_add_u32_e32 v5, 14, v13
	v_and_b32_e32 v1, 0x1fffff, v1
	v_add_u32_e32 v0, v1, v0
	v_mov_b32_e32 v1, v17
	v_cmp_ne_u32_e32 vcc, 0, v5
                                        ; implicit-def: $vgpr2
	s_and_saveexec_b64 s[28:29], vcc
	s_xor_b64 s[28:29], exec, s[28:29]
; %bb.7870:                             ;   in Loop: Header=BB4_7680 Depth=3
	v_cmp_lt_u64_e32 vcc, s[88:89], v[0:1]
	v_add_u32_e32 v2, 15, v13
	v_cndmask_b32_e32 v2, v5, v2, vcc
	v_cndmask_b32_e64 v5, 0, 1, vcc
	v_lshrrev_b64 v[0:1], v5, v[0:1]
; %bb.7871:                             ;   in Loop: Header=BB4_7680 Depth=3
	s_andn2_saveexec_b64 s[28:29], s[28:29]
; %bb.7872:                             ;   in Loop: Header=BB4_7680 Depth=3
	v_bfe_u32 v2, v0, 23, 1
; %bb.7873:                             ;   in Loop: Header=BB4_7680 Depth=3
	s_or_b64 exec, exec, s[28:29]
	v_lshrrev_b64 v[0:1], 21, v[0:1]
	v_cmp_gt_i32_e32 vcc, 32, v2
	v_cndmask_b32_e32 v1, 0, v1, vcc
	v_cndmask_b32_e32 v0, 3, v0, vcc
	v_cmp_eq_u64_e64 s[28:29], 0, v[0:1]
	v_min_i32_e32 v1, 31, v2
	v_lshlrev_b32_e32 v1, 2, v1
	v_cmp_eq_u32_e32 vcc, 0, v2
	v_and_b32_e32 v1, 0xfc, v1
	v_and_or_b32 v0, v0, 3, v1
	s_and_b64 s[28:29], vcc, s[28:29]
	v_cndmask_b32_e64 v0, v0, 0, s[28:29]
	v_or_b32_e32 v41, v0, v3
.LBB4_7874:                             ;   in Loop: Header=BB4_7680 Depth=3
	s_or_b64 exec, exec, s[36:37]
                                        ; implicit-def: $vgpr3
.LBB4_7875:                             ;   in Loop: Header=BB4_7680 Depth=3
	s_andn2_saveexec_b64 s[28:29], s[34:35]
; %bb.7876:                             ;   in Loop: Header=BB4_7680 Depth=3
	v_or_b32_e32 v41, 0x7b, v3
; %bb.7877:                             ;   in Loop: Header=BB4_7680 Depth=3
	s_or_b64 exec, exec, s[28:29]
                                        ; implicit-def: $vgpr2
                                        ; implicit-def: $vgpr0_vgpr1
.LBB4_7878:                             ;   in Loop: Header=BB4_7680 Depth=3
	s_andn2_saveexec_b64 s[28:29], s[30:31]
	s_cbranch_execz .LBB4_7884
; %bb.7879:                             ;   in Loop: Header=BB4_7680 Depth=3
	v_cmp_ne_u64_e32 vcc, 0, v[0:1]
                                        ; implicit-def: $vgpr41
	s_and_saveexec_b64 s[30:31], vcc
	s_xor_b64 vcc, exec, s[30:31]
; %bb.7880:                             ;   in Loop: Header=BB4_7680 Depth=3
	v_or_b32_sdwa v41, v2, s47 dst_sel:DWORD dst_unused:UNUSED_PAD src0_sel:BYTE_3 src1_sel:DWORD
                                        ; implicit-def: $vgpr2
; %bb.7881:                             ;   in Loop: Header=BB4_7680 Depth=3
	s_andn2_saveexec_b64 s[30:31], vcc
; %bb.7882:                             ;   in Loop: Header=BB4_7680 Depth=3
	v_cmp_lt_i32_e32 vcc, -1, v2
	v_bfrev_b32_e32 v0, 0.5
	v_cndmask_b32_e32 v41, v0, v52, vcc
; %bb.7883:                             ;   in Loop: Header=BB4_7680 Depth=3
	s_or_b64 exec, exec, s[30:31]
.LBB4_7884:                             ;   in Loop: Header=BB4_7680 Depth=3
	s_or_b64 exec, exec, s[28:29]
	v_cmp_lt_u64_e32 vcc, s[56:57], v[8:9]
	v_mov_b32_e32 v1, 0
	s_and_saveexec_b64 s[28:29], vcc
	s_cbranch_execz .LBB4_7892
; %bb.7885:                             ;   in Loop: Header=BB4_7680 Depth=3
	v_lshrrev_b32_e32 v0, 24, v9
	v_cmp_ne_u32_e32 vcc, s96, v0
	v_bfrev_b32_e32 v1, 1
	s_and_saveexec_b64 s[30:31], vcc
	s_cbranch_execz .LBB4_7891
; %bb.7886:                             ;   in Loop: Header=BB4_7680 Depth=3
	v_and_b32_e32 v1, 0x7c000000, v9
	v_bfe_u32 v2, v9, 24, 2
	v_cmp_ne_u32_e32 vcc, s45, v1
                                        ; implicit-def: $vgpr1
	s_and_saveexec_b64 s[34:35], vcc
	s_xor_b64 s[34:35], exec, s[34:35]
	s_cbranch_execz .LBB4_7888
; %bb.7887:                             ;   in Loop: Header=BB4_7680 Depth=3
	v_ffbh_u32_e32 v1, v2
	v_min_u32_e32 v5, 32, v1
	v_subrev_u32_e32 v1, 29, v5
	v_lshlrev_b64 v[0:1], v1, v[0:1]
	v_bfe_u32 v3, v9, 26, 5
	v_sub_u32_e32 v1, 30, v5
	v_and_b32_e32 v0, 3, v0
	v_cmp_eq_u32_e32 vcc, 0, v3
	v_cndmask_b32_e32 v1, v3, v1, vcc
	v_cndmask_b32_e32 v0, v2, v0, vcc
	v_and_b32_e32 v2, 0x80000000, v9
	v_lshl_add_u32 v1, v1, 23, v2
	v_lshl_or_b32 v0, v0, 21, v1
	v_add_u32_e32 v1, 0x38000000, v0
                                        ; implicit-def: $vgpr2
.LBB4_7888:                             ;   in Loop: Header=BB4_7680 Depth=3
	s_andn2_saveexec_b64 s[34:35], s[34:35]
; %bb.7889:                             ;   in Loop: Header=BB4_7680 Depth=3
	v_cmp_lt_i64_e32 vcc, -1, v[8:9]
	v_mov_b32_e32 v0, 0xff800000
	v_mov_b32_e32 v1, 0x7f800000
	v_cndmask_b32_e32 v0, v0, v1, vcc
	v_cmp_eq_u32_e32 vcc, 0, v2
	v_mov_b32_e32 v1, 0x7f800001
	v_cndmask_b32_e32 v1, v1, v0, vcc
; %bb.7890:                             ;   in Loop: Header=BB4_7680 Depth=3
	s_or_b64 exec, exec, s[34:35]
.LBB4_7891:                             ;   in Loop: Header=BB4_7680 Depth=3
	s_or_b64 exec, exec, s[30:31]
.LBB4_7892:                             ;   in Loop: Header=BB4_7680 Depth=3
	s_or_b64 exec, exec, s[28:29]
	v_mul_f32_e32 v2, v12, v1
	v_and_b32_e32 v8, 0x7f800000, v2
	v_mov_b32_e32 v9, v17
	v_cmp_ne_u64_e32 vcc, s[76:77], v[8:9]
	v_and_b32_e32 v0, 0x7fffff, v2
	v_mov_b32_e32 v1, v17
                                        ; implicit-def: $vgpr5
	s_and_saveexec_b64 s[28:29], vcc
	s_xor_b64 s[30:31], exec, s[28:29]
	s_cbranch_execz .LBB4_7906
; %bb.7893:                             ;   in Loop: Header=BB4_7680 Depth=3
	v_and_b32_e32 v8, 0x7fffffff, v2
	v_mov_b32_e32 v9, v17
	v_cmp_gt_u64_e32 vcc, s[78:79], v[8:9]
	v_and_b32_sdwa v3, v2, s96 dst_sel:DWORD dst_unused:UNUSED_PAD src0_sel:BYTE_3 src1_sel:DWORD
                                        ; implicit-def: $vgpr5
	s_and_saveexec_b64 s[28:29], vcc
	s_xor_b64 s[34:35], exec, s[28:29]
	s_cbranch_execz .LBB4_7903
; %bb.7894:                             ;   in Loop: Header=BB4_7680 Depth=3
	v_mov_b32_e32 v5, 0
	v_cmp_ne_u32_e32 vcc, 0, v2
	s_and_saveexec_b64 s[36:37], vcc
	s_cbranch_execz .LBB4_7902
; %bb.7895:                             ;   in Loop: Header=BB4_7680 Depth=3
	v_bfe_u32 v5, v2, 23, 8
	v_cmp_gt_u32_e64 s[28:29], s46, v5
	v_sub_u32_e32 v2, 0x71, v5
	v_cmp_eq_u32_e32 vcc, 0, v5
	v_cndmask_b32_e64 v2, 0, v2, s[28:29]
	v_mov_b32_e32 v8, 0x70
	v_cndmask_b32_e32 v8, v2, v8, vcc
	v_add_u32_e32 v2, 21, v8
	v_or_b32_e32 v6, 0x800000, v0
	v_lshlrev_b64 v[13:14], v2, -1
	v_cndmask_b32_e32 v0, v6, v0, vcc
	v_add_u32_e32 v2, 20, v8
	v_bfi_b32 v13, v13, 0, v0
	v_lshlrev_b64 v[15:16], v2, 1
	v_lshrrev_b64 v[0:1], v8, v[0:1]
	v_bfi_b32 v14, v14, 0, 0
	v_cmp_eq_u64_e64 s[28:29], v[13:14], v[15:16]
	v_mov_b32_e32 v2, v1
	v_mov_b32_e32 v1, v0
	s_and_saveexec_b64 s[38:39], s[28:29]
; %bb.7896:                             ;   in Loop: Header=BB4_7680 Depth=3
	v_bfe_u32 v1, v0, 21, 1
	v_add_co_u32_e64 v1, s[28:29], v0, v1
	v_add_co_u32_e64 v1, s[28:29], -1, v1
; %bb.7897:                             ;   in Loop: Header=BB4_7680 Depth=3
	s_or_b64 exec, exec, s[38:39]
	v_add_u32_e32 v2, 0xffffff81, v5
	v_mov_b32_e32 v5, 0xffffff82
	v_cndmask_b32_e32 v2, v2, v5, vcc
	v_lshrrev_b32_e32 v5, 23, v0
	v_add3_u32 v8, v8, v2, v5
	v_add_u32_e32 v5, 14, v8
	v_and_b32_e32 v1, 0x1fffff, v1
	v_add_u32_e32 v0, v1, v0
	v_mov_b32_e32 v1, v17
	v_cmp_ne_u32_e32 vcc, 0, v5
                                        ; implicit-def: $vgpr2
	s_and_saveexec_b64 s[28:29], vcc
	s_xor_b64 s[28:29], exec, s[28:29]
; %bb.7898:                             ;   in Loop: Header=BB4_7680 Depth=3
	v_cmp_lt_u64_e32 vcc, s[88:89], v[0:1]
	v_add_u32_e32 v2, 15, v8
	v_cndmask_b32_e32 v2, v5, v2, vcc
	v_cndmask_b32_e64 v5, 0, 1, vcc
	v_lshrrev_b64 v[0:1], v5, v[0:1]
; %bb.7899:                             ;   in Loop: Header=BB4_7680 Depth=3
	s_andn2_saveexec_b64 s[28:29], s[28:29]
; %bb.7900:                             ;   in Loop: Header=BB4_7680 Depth=3
	v_bfe_u32 v2, v0, 23, 1
; %bb.7901:                             ;   in Loop: Header=BB4_7680 Depth=3
	s_or_b64 exec, exec, s[28:29]
	v_lshrrev_b64 v[0:1], 21, v[0:1]
	v_cmp_gt_i32_e32 vcc, 32, v2
	v_cndmask_b32_e32 v1, 0, v1, vcc
	v_cndmask_b32_e32 v0, 3, v0, vcc
	v_cmp_eq_u64_e64 s[28:29], 0, v[0:1]
	v_min_i32_e32 v1, 31, v2
	v_lshlrev_b32_e32 v1, 2, v1
	v_cmp_eq_u32_e32 vcc, 0, v2
	v_and_b32_e32 v1, 0xfc, v1
	v_and_or_b32 v0, v0, 3, v1
	s_and_b64 s[28:29], vcc, s[28:29]
	v_cndmask_b32_e64 v0, v0, 0, s[28:29]
	v_or_b32_e32 v5, v0, v3
.LBB4_7902:                             ;   in Loop: Header=BB4_7680 Depth=3
	s_or_b64 exec, exec, s[36:37]
                                        ; implicit-def: $vgpr3
.LBB4_7903:                             ;   in Loop: Header=BB4_7680 Depth=3
	s_andn2_saveexec_b64 s[28:29], s[34:35]
; %bb.7904:                             ;   in Loop: Header=BB4_7680 Depth=3
	v_or_b32_e32 v5, 0x7b, v3
; %bb.7905:                             ;   in Loop: Header=BB4_7680 Depth=3
	s_or_b64 exec, exec, s[28:29]
                                        ; implicit-def: $vgpr2
                                        ; implicit-def: $vgpr0_vgpr1
.LBB4_7906:                             ;   in Loop: Header=BB4_7680 Depth=3
	s_andn2_saveexec_b64 s[28:29], s[30:31]
	s_cbranch_execz .LBB4_7912
; %bb.7907:                             ;   in Loop: Header=BB4_7680 Depth=3
	v_cmp_ne_u64_e32 vcc, 0, v[0:1]
                                        ; implicit-def: $vgpr5
	s_and_saveexec_b64 s[30:31], vcc
	s_xor_b64 vcc, exec, s[30:31]
; %bb.7908:                             ;   in Loop: Header=BB4_7680 Depth=3
	v_or_b32_sdwa v5, v2, s47 dst_sel:DWORD dst_unused:UNUSED_PAD src0_sel:BYTE_3 src1_sel:DWORD
                                        ; implicit-def: $vgpr2
; %bb.7909:                             ;   in Loop: Header=BB4_7680 Depth=3
	s_andn2_saveexec_b64 s[30:31], vcc
; %bb.7910:                             ;   in Loop: Header=BB4_7680 Depth=3
	v_cmp_lt_i32_e32 vcc, -1, v2
	v_bfrev_b32_e32 v0, 0.5
	v_cndmask_b32_e32 v5, v0, v52, vcc
; %bb.7911:                             ;   in Loop: Header=BB4_7680 Depth=3
	s_or_b64 exec, exec, s[30:31]
.LBB4_7912:                             ;   in Loop: Header=BB4_7680 Depth=3
	s_or_b64 exec, exec, s[28:29]
	v_cmp_ne_u16_sdwa vcc, v10, v17 src0_sel:BYTE_0 src1_sel:DWORD
	v_mov_b32_e32 v0, 0
	s_and_saveexec_b64 s[28:29], vcc
	s_cbranch_execz .LBB4_7920
; %bb.7913:                             ;   in Loop: Header=BB4_7680 Depth=3
	v_cmp_ne_u16_sdwa vcc, sext(v10), s97 src0_sel:BYTE_0 src1_sel:DWORD
	v_bfrev_b32_e32 v0, 1
	s_and_saveexec_b64 s[30:31], vcc
	s_cbranch_execz .LBB4_7919
; %bb.7914:                             ;   in Loop: Header=BB4_7680 Depth=3
	v_and_b32_e32 v0, 0x7c, v10
	v_and_b32_e32 v1, 3, v10
	v_cmp_ne_u32_e32 vcc, s85, v0
                                        ; implicit-def: $vgpr0
	s_and_saveexec_b64 s[34:35], vcc
	s_xor_b64 s[34:35], exec, s[34:35]
	s_cbranch_execz .LBB4_7916
; %bb.7915:                             ;   in Loop: Header=BB4_7680 Depth=3
	v_ffbh_u32_e32 v2, v1
	v_min_u32_e32 v6, 32, v2
	v_subrev_u32_e32 v2, 29, v6
	v_lshlrev_b64 v[2:3], v2, v[10:11]
	v_bfe_u32 v0, v10, 2, 5
	v_and_b32_e32 v2, 3, v2
	v_cmp_eq_u32_e32 vcc, 0, v0
	v_sub_u32_e32 v3, 30, v6
	v_cndmask_b32_e32 v1, v1, v2, vcc
	v_lshlrev_b32_e32 v2, 24, v10
	v_cndmask_b32_e32 v0, v0, v3, vcc
	v_and_b32_e32 v2, 0x80000000, v2
	v_lshl_add_u32 v0, v0, 23, v2
	v_lshl_or_b32 v0, v1, 21, v0
	v_add_u32_e32 v0, 0x38000000, v0
                                        ; implicit-def: $vgpr1
.LBB4_7916:                             ;   in Loop: Header=BB4_7680 Depth=3
	s_andn2_saveexec_b64 s[34:35], s[34:35]
; %bb.7917:                             ;   in Loop: Header=BB4_7680 Depth=3
	v_mov_b32_e32 v0, -1
	v_cmp_gt_i16_sdwa vcc, sext(v10), v0 src0_sel:BYTE_0 src1_sel:DWORD
	v_mov_b32_e32 v0, 0xff800000
	v_mov_b32_e32 v2, 0x7f800000
	v_cndmask_b32_e32 v0, v0, v2, vcc
	v_cmp_eq_u32_e32 vcc, 0, v1
	v_mov_b32_e32 v1, 0x7f800001
	v_cndmask_b32_e32 v0, v1, v0, vcc
; %bb.7918:                             ;   in Loop: Header=BB4_7680 Depth=3
	s_or_b64 exec, exec, s[34:35]
.LBB4_7919:                             ;   in Loop: Header=BB4_7680 Depth=3
	s_or_b64 exec, exec, s[30:31]
.LBB4_7920:                             ;   in Loop: Header=BB4_7680 Depth=3
	s_or_b64 exec, exec, s[28:29]
	v_mul_f32_e32 v2, v12, v0
	v_and_b32_e32 v8, 0x7f800000, v2
	v_mov_b32_e32 v9, v17
	v_cmp_ne_u64_e32 vcc, s[76:77], v[8:9]
	v_and_b32_e32 v0, 0x7fffff, v2
	v_mov_b32_e32 v1, v17
                                        ; implicit-def: $vgpr37
	s_and_saveexec_b64 s[28:29], vcc
	s_xor_b64 s[30:31], exec, s[28:29]
	s_cbranch_execz .LBB4_7934
; %bb.7921:                             ;   in Loop: Header=BB4_7680 Depth=3
	v_and_b32_e32 v8, 0x7fffffff, v2
	v_mov_b32_e32 v9, v17
	v_cmp_gt_u64_e32 vcc, s[78:79], v[8:9]
	v_and_b32_sdwa v3, v2, s96 dst_sel:DWORD dst_unused:UNUSED_PAD src0_sel:BYTE_3 src1_sel:DWORD
                                        ; implicit-def: $vgpr37
	s_and_saveexec_b64 s[28:29], vcc
	s_xor_b64 s[34:35], exec, s[28:29]
	s_cbranch_execz .LBB4_7931
; %bb.7922:                             ;   in Loop: Header=BB4_7680 Depth=3
	v_mov_b32_e32 v37, 0
	v_cmp_ne_u32_e32 vcc, 0, v2
	s_and_saveexec_b64 s[36:37], vcc
	s_cbranch_execz .LBB4_7930
; %bb.7923:                             ;   in Loop: Header=BB4_7680 Depth=3
	v_bfe_u32 v8, v2, 23, 8
	v_cmp_gt_u32_e64 s[28:29], s46, v8
	v_sub_u32_e32 v2, 0x71, v8
	v_cmp_eq_u32_e32 vcc, 0, v8
	v_cndmask_b32_e64 v2, 0, v2, s[28:29]
	v_mov_b32_e32 v9, 0x70
	v_cndmask_b32_e32 v9, v2, v9, vcc
	v_add_u32_e32 v2, 21, v9
	v_or_b32_e32 v6, 0x800000, v0
	v_lshlrev_b64 v[13:14], v2, -1
	v_cndmask_b32_e32 v0, v6, v0, vcc
	v_add_u32_e32 v2, 20, v9
	v_bfi_b32 v13, v13, 0, v0
	v_lshlrev_b64 v[15:16], v2, 1
	v_lshrrev_b64 v[0:1], v9, v[0:1]
	v_bfi_b32 v14, v14, 0, 0
	v_cmp_eq_u64_e64 s[28:29], v[13:14], v[15:16]
	v_mov_b32_e32 v2, v1
	v_mov_b32_e32 v1, v0
	s_and_saveexec_b64 s[38:39], s[28:29]
; %bb.7924:                             ;   in Loop: Header=BB4_7680 Depth=3
	v_bfe_u32 v1, v0, 21, 1
	v_add_co_u32_e64 v1, s[28:29], v0, v1
	v_add_co_u32_e64 v1, s[28:29], -1, v1
; %bb.7925:                             ;   in Loop: Header=BB4_7680 Depth=3
	s_or_b64 exec, exec, s[38:39]
	v_add_u32_e32 v2, 0xffffff81, v8
	v_mov_b32_e32 v6, 0xffffff82
	v_cndmask_b32_e32 v2, v2, v6, vcc
	v_lshrrev_b32_e32 v6, 23, v0
	v_add3_u32 v9, v9, v2, v6
	v_add_u32_e32 v8, 14, v9
	v_and_b32_e32 v1, 0x1fffff, v1
	v_add_u32_e32 v0, v1, v0
	v_mov_b32_e32 v1, v17
	v_cmp_ne_u32_e32 vcc, 0, v8
                                        ; implicit-def: $vgpr2
	s_and_saveexec_b64 s[28:29], vcc
	s_xor_b64 s[28:29], exec, s[28:29]
; %bb.7926:                             ;   in Loop: Header=BB4_7680 Depth=3
	v_cmp_lt_u64_e32 vcc, s[88:89], v[0:1]
	v_add_u32_e32 v2, 15, v9
	v_cndmask_b32_e64 v6, 0, 1, vcc
	v_cndmask_b32_e32 v2, v8, v2, vcc
	v_lshrrev_b64 v[0:1], v6, v[0:1]
; %bb.7927:                             ;   in Loop: Header=BB4_7680 Depth=3
	s_andn2_saveexec_b64 s[28:29], s[28:29]
; %bb.7928:                             ;   in Loop: Header=BB4_7680 Depth=3
	v_bfe_u32 v2, v0, 23, 1
; %bb.7929:                             ;   in Loop: Header=BB4_7680 Depth=3
	s_or_b64 exec, exec, s[28:29]
	v_lshrrev_b64 v[0:1], 21, v[0:1]
	v_cmp_gt_i32_e32 vcc, 32, v2
	v_cndmask_b32_e32 v1, 0, v1, vcc
	v_cndmask_b32_e32 v0, 3, v0, vcc
	v_cmp_eq_u64_e64 s[28:29], 0, v[0:1]
	v_min_i32_e32 v1, 31, v2
	v_lshlrev_b32_e32 v1, 2, v1
	v_cmp_eq_u32_e32 vcc, 0, v2
	v_and_b32_e32 v1, 0xfc, v1
	v_and_or_b32 v0, v0, 3, v1
	s_and_b64 s[28:29], vcc, s[28:29]
	v_cndmask_b32_e64 v0, v0, 0, s[28:29]
	v_or_b32_e32 v37, v0, v3
.LBB4_7930:                             ;   in Loop: Header=BB4_7680 Depth=3
	s_or_b64 exec, exec, s[36:37]
                                        ; implicit-def: $vgpr3
.LBB4_7931:                             ;   in Loop: Header=BB4_7680 Depth=3
	s_andn2_saveexec_b64 s[28:29], s[34:35]
; %bb.7932:                             ;   in Loop: Header=BB4_7680 Depth=3
	v_or_b32_e32 v37, 0x7b, v3
; %bb.7933:                             ;   in Loop: Header=BB4_7680 Depth=3
	s_or_b64 exec, exec, s[28:29]
                                        ; implicit-def: $vgpr2
                                        ; implicit-def: $vgpr0_vgpr1
.LBB4_7934:                             ;   in Loop: Header=BB4_7680 Depth=3
	s_andn2_saveexec_b64 s[28:29], s[30:31]
	s_cbranch_execz .LBB4_7940
; %bb.7935:                             ;   in Loop: Header=BB4_7680 Depth=3
	v_cmp_ne_u64_e32 vcc, 0, v[0:1]
                                        ; implicit-def: $vgpr37
	s_and_saveexec_b64 s[30:31], vcc
	s_xor_b64 vcc, exec, s[30:31]
; %bb.7936:                             ;   in Loop: Header=BB4_7680 Depth=3
	v_or_b32_sdwa v37, v2, s47 dst_sel:DWORD dst_unused:UNUSED_PAD src0_sel:BYTE_3 src1_sel:DWORD
                                        ; implicit-def: $vgpr2
; %bb.7937:                             ;   in Loop: Header=BB4_7680 Depth=3
	s_andn2_saveexec_b64 s[30:31], vcc
; %bb.7938:                             ;   in Loop: Header=BB4_7680 Depth=3
	v_cmp_lt_i32_e32 vcc, -1, v2
	v_bfrev_b32_e32 v0, 0.5
	v_cndmask_b32_e32 v37, v0, v52, vcc
; %bb.7939:                             ;   in Loop: Header=BB4_7680 Depth=3
	s_or_b64 exec, exec, s[30:31]
.LBB4_7940:                             ;   in Loop: Header=BB4_7680 Depth=3
	s_or_b64 exec, exec, s[28:29]
	v_lshrrev_b16_e32 v0, 8, v10
	v_cmp_ne_u16_e32 vcc, 0, v0
	v_mov_b32_e32 v1, 0
	s_and_saveexec_b64 s[28:29], vcc
	s_cbranch_execz .LBB4_7948
; %bb.7941:                             ;   in Loop: Header=BB4_7680 Depth=3
	v_cmp_ne_u16_e32 vcc, s96, v0
	v_bfrev_b32_e32 v1, 1
	s_and_saveexec_b64 s[30:31], vcc
	s_cbranch_execz .LBB4_7947
; %bb.7942:                             ;   in Loop: Header=BB4_7680 Depth=3
	v_and_b32_e32 v1, 0x7c, v0
	v_and_b32_e32 v2, 3, v0
	v_cmp_ne_u32_e32 vcc, s85, v1
                                        ; implicit-def: $vgpr1
	s_and_saveexec_b64 s[34:35], vcc
	s_xor_b64 s[34:35], exec, s[34:35]
	s_cbranch_execz .LBB4_7944
; %bb.7943:                             ;   in Loop: Header=BB4_7680 Depth=3
	v_ffbh_u32_e32 v6, v2
	v_min_u32_e32 v6, 32, v6
	v_mov_b32_e32 v1, v17
	v_subrev_u32_e32 v8, 29, v6
	v_bfe_u32 v3, v0, 2, 5
	v_lshlrev_b64 v[0:1], v8, v[0:1]
	v_cmp_eq_u32_e32 vcc, 0, v3
	v_and_b32_e32 v0, 3, v0
	v_sub_u32_e32 v1, 30, v6
	v_cndmask_b32_e32 v0, v2, v0, vcc
	v_lshlrev_b32_e32 v2, 16, v10
	v_cndmask_b32_e32 v1, v3, v1, vcc
	v_and_b32_e32 v2, 0x80000000, v2
	v_lshl_add_u32 v1, v1, 23, v2
	v_lshl_or_b32 v0, v0, 21, v1
	v_add_u32_e32 v1, 0x38000000, v0
                                        ; implicit-def: $vgpr2
.LBB4_7944:                             ;   in Loop: Header=BB4_7680 Depth=3
	s_andn2_saveexec_b64 s[34:35], s[34:35]
; %bb.7945:                             ;   in Loop: Header=BB4_7680 Depth=3
	v_cmp_lt_i16_e32 vcc, -1, v10
	v_mov_b32_e32 v0, 0xff800000
	v_mov_b32_e32 v1, 0x7f800000
	v_cndmask_b32_e32 v0, v0, v1, vcc
	v_cmp_eq_u32_e32 vcc, 0, v2
	v_mov_b32_e32 v1, 0x7f800001
	v_cndmask_b32_e32 v1, v1, v0, vcc
; %bb.7946:                             ;   in Loop: Header=BB4_7680 Depth=3
	s_or_b64 exec, exec, s[34:35]
.LBB4_7947:                             ;   in Loop: Header=BB4_7680 Depth=3
	s_or_b64 exec, exec, s[30:31]
.LBB4_7948:                             ;   in Loop: Header=BB4_7680 Depth=3
	s_or_b64 exec, exec, s[28:29]
	v_mul_f32_e32 v2, v12, v1
	v_and_b32_e32 v8, 0x7f800000, v2
	v_mov_b32_e32 v9, v17
	v_cmp_ne_u64_e32 vcc, s[76:77], v[8:9]
	v_and_b32_e32 v0, 0x7fffff, v2
	v_mov_b32_e32 v1, v17
                                        ; implicit-def: $vgpr40
	s_and_saveexec_b64 s[28:29], vcc
	s_xor_b64 s[30:31], exec, s[28:29]
	s_cbranch_execz .LBB4_7962
; %bb.7949:                             ;   in Loop: Header=BB4_7680 Depth=3
	v_and_b32_e32 v8, 0x7fffffff, v2
	v_mov_b32_e32 v9, v17
	v_cmp_gt_u64_e32 vcc, s[78:79], v[8:9]
	v_and_b32_sdwa v3, v2, s96 dst_sel:DWORD dst_unused:UNUSED_PAD src0_sel:BYTE_3 src1_sel:DWORD
                                        ; implicit-def: $vgpr40
	s_and_saveexec_b64 s[28:29], vcc
	s_xor_b64 s[34:35], exec, s[28:29]
	s_cbranch_execz .LBB4_7959
; %bb.7950:                             ;   in Loop: Header=BB4_7680 Depth=3
	v_mov_b32_e32 v40, 0
	v_cmp_ne_u32_e32 vcc, 0, v2
	s_and_saveexec_b64 s[36:37], vcc
	s_cbranch_execz .LBB4_7958
; %bb.7951:                             ;   in Loop: Header=BB4_7680 Depth=3
	v_bfe_u32 v8, v2, 23, 8
	v_cmp_gt_u32_e64 s[28:29], s46, v8
	v_sub_u32_e32 v2, 0x71, v8
	v_cmp_eq_u32_e32 vcc, 0, v8
	v_cndmask_b32_e64 v2, 0, v2, s[28:29]
	v_mov_b32_e32 v9, 0x70
	v_cndmask_b32_e32 v9, v2, v9, vcc
	v_add_u32_e32 v2, 21, v9
	v_or_b32_e32 v6, 0x800000, v0
	v_lshlrev_b64 v[13:14], v2, -1
	v_cndmask_b32_e32 v0, v6, v0, vcc
	v_add_u32_e32 v2, 20, v9
	v_bfi_b32 v13, v13, 0, v0
	v_lshlrev_b64 v[15:16], v2, 1
	v_lshrrev_b64 v[0:1], v9, v[0:1]
	v_bfi_b32 v14, v14, 0, 0
	v_cmp_eq_u64_e64 s[28:29], v[13:14], v[15:16]
	v_mov_b32_e32 v2, v1
	v_mov_b32_e32 v1, v0
	s_and_saveexec_b64 s[38:39], s[28:29]
; %bb.7952:                             ;   in Loop: Header=BB4_7680 Depth=3
	v_bfe_u32 v1, v0, 21, 1
	v_add_co_u32_e64 v1, s[28:29], v0, v1
	v_add_co_u32_e64 v1, s[28:29], -1, v1
; %bb.7953:                             ;   in Loop: Header=BB4_7680 Depth=3
	s_or_b64 exec, exec, s[38:39]
	v_add_u32_e32 v2, 0xffffff81, v8
	v_mov_b32_e32 v6, 0xffffff82
	v_cndmask_b32_e32 v2, v2, v6, vcc
	v_lshrrev_b32_e32 v6, 23, v0
	v_add3_u32 v9, v9, v2, v6
	v_add_u32_e32 v8, 14, v9
	v_and_b32_e32 v1, 0x1fffff, v1
	v_add_u32_e32 v0, v1, v0
	v_mov_b32_e32 v1, v17
	v_cmp_ne_u32_e32 vcc, 0, v8
                                        ; implicit-def: $vgpr2
	s_and_saveexec_b64 s[28:29], vcc
	s_xor_b64 s[28:29], exec, s[28:29]
; %bb.7954:                             ;   in Loop: Header=BB4_7680 Depth=3
	v_cmp_lt_u64_e32 vcc, s[88:89], v[0:1]
	v_add_u32_e32 v2, 15, v9
	v_cndmask_b32_e64 v6, 0, 1, vcc
	v_cndmask_b32_e32 v2, v8, v2, vcc
	v_lshrrev_b64 v[0:1], v6, v[0:1]
; %bb.7955:                             ;   in Loop: Header=BB4_7680 Depth=3
	s_andn2_saveexec_b64 s[28:29], s[28:29]
; %bb.7956:                             ;   in Loop: Header=BB4_7680 Depth=3
	v_bfe_u32 v2, v0, 23, 1
; %bb.7957:                             ;   in Loop: Header=BB4_7680 Depth=3
	s_or_b64 exec, exec, s[28:29]
	v_lshrrev_b64 v[0:1], 21, v[0:1]
	v_cmp_gt_i32_e32 vcc, 32, v2
	v_cndmask_b32_e32 v1, 0, v1, vcc
	v_cndmask_b32_e32 v0, 3, v0, vcc
	v_cmp_eq_u64_e64 s[28:29], 0, v[0:1]
	v_min_i32_e32 v1, 31, v2
	v_lshlrev_b32_e32 v1, 2, v1
	v_cmp_eq_u32_e32 vcc, 0, v2
	v_and_b32_e32 v1, 0xfc, v1
	v_and_or_b32 v0, v0, 3, v1
	s_and_b64 s[28:29], vcc, s[28:29]
	v_cndmask_b32_e64 v0, v0, 0, s[28:29]
	v_or_b32_e32 v40, v0, v3
.LBB4_7958:                             ;   in Loop: Header=BB4_7680 Depth=3
	s_or_b64 exec, exec, s[36:37]
                                        ; implicit-def: $vgpr3
.LBB4_7959:                             ;   in Loop: Header=BB4_7680 Depth=3
	s_andn2_saveexec_b64 s[28:29], s[34:35]
; %bb.7960:                             ;   in Loop: Header=BB4_7680 Depth=3
	v_or_b32_e32 v40, 0x7b, v3
; %bb.7961:                             ;   in Loop: Header=BB4_7680 Depth=3
	s_or_b64 exec, exec, s[28:29]
                                        ; implicit-def: $vgpr2
                                        ; implicit-def: $vgpr0_vgpr1
.LBB4_7962:                             ;   in Loop: Header=BB4_7680 Depth=3
	s_andn2_saveexec_b64 s[28:29], s[30:31]
	s_cbranch_execz .LBB4_7968
; %bb.7963:                             ;   in Loop: Header=BB4_7680 Depth=3
	v_cmp_ne_u64_e32 vcc, 0, v[0:1]
                                        ; implicit-def: $vgpr40
	s_and_saveexec_b64 s[30:31], vcc
	s_xor_b64 vcc, exec, s[30:31]
; %bb.7964:                             ;   in Loop: Header=BB4_7680 Depth=3
	v_or_b32_sdwa v40, v2, s47 dst_sel:DWORD dst_unused:UNUSED_PAD src0_sel:BYTE_3 src1_sel:DWORD
                                        ; implicit-def: $vgpr2
; %bb.7965:                             ;   in Loop: Header=BB4_7680 Depth=3
	s_andn2_saveexec_b64 s[30:31], vcc
; %bb.7966:                             ;   in Loop: Header=BB4_7680 Depth=3
	v_cmp_lt_i32_e32 vcc, -1, v2
	v_bfrev_b32_e32 v0, 0.5
	v_cndmask_b32_e32 v40, v0, v52, vcc
; %bb.7967:                             ;   in Loop: Header=BB4_7680 Depth=3
	s_or_b64 exec, exec, s[30:31]
.LBB4_7968:                             ;   in Loop: Header=BB4_7680 Depth=3
	s_or_b64 exec, exec, s[28:29]
	v_lshrrev_b32_e32 v0, 16, v10
	v_cmp_ne_u16_sdwa vcc, v0, v17 src0_sel:BYTE_0 src1_sel:DWORD
	v_mov_b32_e32 v1, 0
	s_and_saveexec_b64 s[28:29], vcc
	s_cbranch_execz .LBB4_7976
; %bb.7969:                             ;   in Loop: Header=BB4_7680 Depth=3
	v_cmp_ne_u16_sdwa vcc, v0, s96 src0_sel:BYTE_0 src1_sel:DWORD
	v_bfrev_b32_e32 v1, 1
	s_and_saveexec_b64 s[30:31], vcc
	s_cbranch_execz .LBB4_7975
; %bb.7970:                             ;   in Loop: Header=BB4_7680 Depth=3
	v_and_b32_e32 v1, 0x7c0000, v10
	v_bfe_u32 v2, v10, 16, 2
	v_cmp_ne_u32_e32 vcc, s44, v1
                                        ; implicit-def: $vgpr1
	s_and_saveexec_b64 s[34:35], vcc
	s_xor_b64 s[34:35], exec, s[34:35]
	s_cbranch_execz .LBB4_7972
; %bb.7971:                             ;   in Loop: Header=BB4_7680 Depth=3
	v_ffbh_u32_e32 v1, v2
	v_min_u32_e32 v6, 32, v1
	v_subrev_u32_e32 v1, 29, v6
	v_lshlrev_b64 v[0:1], v1, v[0:1]
	v_bfe_u32 v3, v10, 18, 5
	v_and_b32_e32 v0, 3, v0
	v_cmp_eq_u32_e32 vcc, 0, v3
	v_sub_u32_e32 v1, 30, v6
	v_cndmask_b32_e32 v0, v2, v0, vcc
	v_lshlrev_b32_e32 v2, 8, v10
	v_cndmask_b32_e32 v1, v3, v1, vcc
	v_and_b32_e32 v2, 0x80000000, v2
	v_lshl_add_u32 v1, v1, 23, v2
	v_lshl_or_b32 v0, v0, 21, v1
	v_add_u32_e32 v1, 0x38000000, v0
                                        ; implicit-def: $vgpr2
                                        ; implicit-def: $vgpr0
.LBB4_7972:                             ;   in Loop: Header=BB4_7680 Depth=3
	s_andn2_saveexec_b64 s[34:35], s[34:35]
; %bb.7973:                             ;   in Loop: Header=BB4_7680 Depth=3
	v_mov_b32_e32 v1, -1
	v_cmp_gt_i16_sdwa vcc, sext(v0), v1 src0_sel:BYTE_0 src1_sel:DWORD
	v_mov_b32_e32 v0, 0xff800000
	v_mov_b32_e32 v1, 0x7f800000
	v_cndmask_b32_e32 v0, v0, v1, vcc
	v_cmp_eq_u32_e32 vcc, 0, v2
	v_mov_b32_e32 v1, 0x7f800001
	v_cndmask_b32_e32 v1, v1, v0, vcc
; %bb.7974:                             ;   in Loop: Header=BB4_7680 Depth=3
	s_or_b64 exec, exec, s[34:35]
.LBB4_7975:                             ;   in Loop: Header=BB4_7680 Depth=3
	s_or_b64 exec, exec, s[30:31]
.LBB4_7976:                             ;   in Loop: Header=BB4_7680 Depth=3
	s_or_b64 exec, exec, s[28:29]
	v_mul_f32_e32 v2, v12, v1
	v_and_b32_e32 v8, 0x7f800000, v2
	v_mov_b32_e32 v9, v17
	v_cmp_ne_u64_e32 vcc, s[76:77], v[8:9]
	v_and_b32_e32 v0, 0x7fffff, v2
	v_mov_b32_e32 v1, v17
                                        ; implicit-def: $vgpr60
	s_and_saveexec_b64 s[28:29], vcc
	s_xor_b64 s[30:31], exec, s[28:29]
	s_cbranch_execz .LBB4_7990
; %bb.7977:                             ;   in Loop: Header=BB4_7680 Depth=3
	v_and_b32_e32 v8, 0x7fffffff, v2
	v_mov_b32_e32 v9, v17
	v_cmp_gt_u64_e32 vcc, s[78:79], v[8:9]
	v_and_b32_sdwa v3, v2, s96 dst_sel:DWORD dst_unused:UNUSED_PAD src0_sel:BYTE_3 src1_sel:DWORD
                                        ; implicit-def: $vgpr60
	s_and_saveexec_b64 s[28:29], vcc
	s_xor_b64 s[34:35], exec, s[28:29]
	s_cbranch_execz .LBB4_7987
; %bb.7978:                             ;   in Loop: Header=BB4_7680 Depth=3
	v_mov_b32_e32 v60, 0
	v_cmp_ne_u32_e32 vcc, 0, v2
	s_and_saveexec_b64 s[36:37], vcc
	s_cbranch_execz .LBB4_7986
; %bb.7979:                             ;   in Loop: Header=BB4_7680 Depth=3
	v_bfe_u32 v8, v2, 23, 8
	v_cmp_gt_u32_e64 s[28:29], s46, v8
	v_sub_u32_e32 v2, 0x71, v8
	v_cmp_eq_u32_e32 vcc, 0, v8
	v_cndmask_b32_e64 v2, 0, v2, s[28:29]
	v_mov_b32_e32 v9, 0x70
	v_cndmask_b32_e32 v9, v2, v9, vcc
	v_add_u32_e32 v2, 21, v9
	v_or_b32_e32 v6, 0x800000, v0
	v_lshlrev_b64 v[13:14], v2, -1
	v_cndmask_b32_e32 v0, v6, v0, vcc
	v_add_u32_e32 v2, 20, v9
	v_bfi_b32 v13, v13, 0, v0
	v_lshlrev_b64 v[15:16], v2, 1
	v_lshrrev_b64 v[0:1], v9, v[0:1]
	v_bfi_b32 v14, v14, 0, 0
	v_cmp_eq_u64_e64 s[28:29], v[13:14], v[15:16]
	v_mov_b32_e32 v2, v1
	v_mov_b32_e32 v1, v0
	s_and_saveexec_b64 s[38:39], s[28:29]
; %bb.7980:                             ;   in Loop: Header=BB4_7680 Depth=3
	v_bfe_u32 v1, v0, 21, 1
	v_add_co_u32_e64 v1, s[28:29], v0, v1
	v_add_co_u32_e64 v1, s[28:29], -1, v1
; %bb.7981:                             ;   in Loop: Header=BB4_7680 Depth=3
	s_or_b64 exec, exec, s[38:39]
	v_add_u32_e32 v2, 0xffffff81, v8
	v_mov_b32_e32 v6, 0xffffff82
	v_cndmask_b32_e32 v2, v2, v6, vcc
	v_lshrrev_b32_e32 v6, 23, v0
	v_add3_u32 v9, v9, v2, v6
	v_add_u32_e32 v8, 14, v9
	v_and_b32_e32 v1, 0x1fffff, v1
	v_add_u32_e32 v0, v1, v0
	v_mov_b32_e32 v1, v17
	v_cmp_ne_u32_e32 vcc, 0, v8
                                        ; implicit-def: $vgpr2
	s_and_saveexec_b64 s[28:29], vcc
	s_xor_b64 s[28:29], exec, s[28:29]
; %bb.7982:                             ;   in Loop: Header=BB4_7680 Depth=3
	v_cmp_lt_u64_e32 vcc, s[88:89], v[0:1]
	v_add_u32_e32 v2, 15, v9
	v_cndmask_b32_e64 v6, 0, 1, vcc
	v_cndmask_b32_e32 v2, v8, v2, vcc
	v_lshrrev_b64 v[0:1], v6, v[0:1]
; %bb.7983:                             ;   in Loop: Header=BB4_7680 Depth=3
	s_andn2_saveexec_b64 s[28:29], s[28:29]
; %bb.7984:                             ;   in Loop: Header=BB4_7680 Depth=3
	v_bfe_u32 v2, v0, 23, 1
; %bb.7985:                             ;   in Loop: Header=BB4_7680 Depth=3
	s_or_b64 exec, exec, s[28:29]
	v_lshrrev_b64 v[0:1], 21, v[0:1]
	v_cmp_gt_i32_e32 vcc, 32, v2
	v_cndmask_b32_e32 v1, 0, v1, vcc
	v_cndmask_b32_e32 v0, 3, v0, vcc
	v_cmp_eq_u64_e64 s[28:29], 0, v[0:1]
	v_min_i32_e32 v1, 31, v2
	v_lshlrev_b32_e32 v1, 2, v1
	v_cmp_eq_u32_e32 vcc, 0, v2
	v_and_b32_e32 v1, 0xfc, v1
	v_and_or_b32 v0, v0, 3, v1
	s_and_b64 s[28:29], vcc, s[28:29]
	v_cndmask_b32_e64 v0, v0, 0, s[28:29]
	v_or_b32_e32 v60, v0, v3
.LBB4_7986:                             ;   in Loop: Header=BB4_7680 Depth=3
	s_or_b64 exec, exec, s[36:37]
                                        ; implicit-def: $vgpr3
.LBB4_7987:                             ;   in Loop: Header=BB4_7680 Depth=3
	s_andn2_saveexec_b64 s[28:29], s[34:35]
; %bb.7988:                             ;   in Loop: Header=BB4_7680 Depth=3
	v_or_b32_e32 v60, 0x7b, v3
; %bb.7989:                             ;   in Loop: Header=BB4_7680 Depth=3
	s_or_b64 exec, exec, s[28:29]
                                        ; implicit-def: $vgpr2
                                        ; implicit-def: $vgpr0_vgpr1
.LBB4_7990:                             ;   in Loop: Header=BB4_7680 Depth=3
	s_andn2_saveexec_b64 s[28:29], s[30:31]
	s_cbranch_execz .LBB4_7996
; %bb.7991:                             ;   in Loop: Header=BB4_7680 Depth=3
	v_cmp_ne_u64_e32 vcc, 0, v[0:1]
                                        ; implicit-def: $vgpr60
	s_and_saveexec_b64 s[30:31], vcc
	s_xor_b64 vcc, exec, s[30:31]
; %bb.7992:                             ;   in Loop: Header=BB4_7680 Depth=3
	v_or_b32_sdwa v60, v2, s47 dst_sel:DWORD dst_unused:UNUSED_PAD src0_sel:BYTE_3 src1_sel:DWORD
                                        ; implicit-def: $vgpr2
; %bb.7993:                             ;   in Loop: Header=BB4_7680 Depth=3
	s_andn2_saveexec_b64 s[30:31], vcc
; %bb.7994:                             ;   in Loop: Header=BB4_7680 Depth=3
	v_cmp_lt_i32_e32 vcc, -1, v2
	v_bfrev_b32_e32 v0, 0.5
	v_cndmask_b32_e32 v60, v0, v52, vcc
; %bb.7995:                             ;   in Loop: Header=BB4_7680 Depth=3
	s_or_b64 exec, exec, s[30:31]
.LBB4_7996:                             ;   in Loop: Header=BB4_7680 Depth=3
	s_or_b64 exec, exec, s[28:29]
	v_cmp_lt_u32_e32 vcc, s57, v10
	v_mov_b32_e32 v1, 0
	s_and_saveexec_b64 s[28:29], vcc
	s_cbranch_execz .LBB4_8004
; %bb.7997:                             ;   in Loop: Header=BB4_7680 Depth=3
	v_lshrrev_b32_e32 v0, 24, v10
	v_cmp_ne_u32_e32 vcc, s96, v0
	v_bfrev_b32_e32 v1, 1
	s_and_saveexec_b64 s[30:31], vcc
	s_cbranch_execz .LBB4_8003
; %bb.7998:                             ;   in Loop: Header=BB4_7680 Depth=3
	v_and_b32_e32 v1, 0x7c000000, v10
	v_bfe_u32 v2, v10, 24, 2
	v_cmp_ne_u32_e32 vcc, s45, v1
                                        ; implicit-def: $vgpr1
	s_and_saveexec_b64 s[34:35], vcc
	s_xor_b64 s[34:35], exec, s[34:35]
	s_cbranch_execz .LBB4_8000
; %bb.7999:                             ;   in Loop: Header=BB4_7680 Depth=3
	v_ffbh_u32_e32 v1, v2
	v_min_u32_e32 v6, 32, v1
	v_subrev_u32_e32 v1, 29, v6
	v_lshlrev_b64 v[0:1], v1, v[0:1]
	v_bfe_u32 v3, v10, 26, 5
	v_sub_u32_e32 v1, 30, v6
	v_and_b32_e32 v0, 3, v0
	v_cmp_eq_u32_e32 vcc, 0, v3
	v_cndmask_b32_e32 v1, v3, v1, vcc
	v_cndmask_b32_e32 v0, v2, v0, vcc
	v_and_b32_e32 v2, 0x80000000, v10
	v_lshl_add_u32 v1, v1, 23, v2
	v_lshl_or_b32 v0, v0, 21, v1
	v_add_u32_e32 v1, 0x38000000, v0
                                        ; implicit-def: $vgpr2
.LBB4_8000:                             ;   in Loop: Header=BB4_7680 Depth=3
	s_andn2_saveexec_b64 s[34:35], s[34:35]
; %bb.8001:                             ;   in Loop: Header=BB4_7680 Depth=3
	v_cmp_lt_i32_e32 vcc, -1, v10
	v_mov_b32_e32 v0, 0xff800000
	v_mov_b32_e32 v1, 0x7f800000
	v_cndmask_b32_e32 v0, v0, v1, vcc
	v_cmp_eq_u32_e32 vcc, 0, v2
	v_mov_b32_e32 v1, 0x7f800001
	v_cndmask_b32_e32 v1, v1, v0, vcc
; %bb.8002:                             ;   in Loop: Header=BB4_7680 Depth=3
	s_or_b64 exec, exec, s[34:35]
.LBB4_8003:                             ;   in Loop: Header=BB4_7680 Depth=3
	s_or_b64 exec, exec, s[30:31]
.LBB4_8004:                             ;   in Loop: Header=BB4_7680 Depth=3
	s_or_b64 exec, exec, s[28:29]
	v_mul_f32_e32 v2, v12, v1
	v_and_b32_e32 v8, 0x7f800000, v2
	v_mov_b32_e32 v9, v17
	v_cmp_ne_u64_e32 vcc, s[76:77], v[8:9]
	v_and_b32_e32 v0, 0x7fffff, v2
	v_mov_b32_e32 v1, v17
                                        ; implicit-def: $vgpr61
	s_and_saveexec_b64 s[28:29], vcc
	s_xor_b64 s[30:31], exec, s[28:29]
	s_cbranch_execz .LBB4_8018
; %bb.8005:                             ;   in Loop: Header=BB4_7680 Depth=3
	v_and_b32_e32 v8, 0x7fffffff, v2
	v_mov_b32_e32 v9, v17
	v_cmp_gt_u64_e32 vcc, s[78:79], v[8:9]
	v_and_b32_sdwa v3, v2, s96 dst_sel:DWORD dst_unused:UNUSED_PAD src0_sel:BYTE_3 src1_sel:DWORD
                                        ; implicit-def: $vgpr61
	s_and_saveexec_b64 s[28:29], vcc
	s_xor_b64 s[34:35], exec, s[28:29]
	s_cbranch_execz .LBB4_8015
; %bb.8006:                             ;   in Loop: Header=BB4_7680 Depth=3
	v_mov_b32_e32 v61, 0
	v_cmp_ne_u32_e32 vcc, 0, v2
	s_and_saveexec_b64 s[36:37], vcc
	s_cbranch_execz .LBB4_8014
; %bb.8007:                             ;   in Loop: Header=BB4_7680 Depth=3
	v_bfe_u32 v8, v2, 23, 8
	v_cmp_gt_u32_e64 s[28:29], s46, v8
	v_sub_u32_e32 v2, 0x71, v8
	v_cmp_eq_u32_e32 vcc, 0, v8
	v_cndmask_b32_e64 v2, 0, v2, s[28:29]
	v_mov_b32_e32 v9, 0x70
	v_cndmask_b32_e32 v9, v2, v9, vcc
	v_add_u32_e32 v2, 21, v9
	v_or_b32_e32 v6, 0x800000, v0
	v_lshlrev_b64 v[13:14], v2, -1
	v_cndmask_b32_e32 v0, v6, v0, vcc
	v_add_u32_e32 v2, 20, v9
	v_bfi_b32 v13, v13, 0, v0
	v_lshlrev_b64 v[15:16], v2, 1
	v_lshrrev_b64 v[0:1], v9, v[0:1]
	v_bfi_b32 v14, v14, 0, 0
	v_cmp_eq_u64_e64 s[28:29], v[13:14], v[15:16]
	v_mov_b32_e32 v2, v1
	v_mov_b32_e32 v1, v0
	s_and_saveexec_b64 s[38:39], s[28:29]
; %bb.8008:                             ;   in Loop: Header=BB4_7680 Depth=3
	v_bfe_u32 v1, v0, 21, 1
	v_add_co_u32_e64 v1, s[28:29], v0, v1
	v_add_co_u32_e64 v1, s[28:29], -1, v1
; %bb.8009:                             ;   in Loop: Header=BB4_7680 Depth=3
	s_or_b64 exec, exec, s[38:39]
	v_add_u32_e32 v2, 0xffffff81, v8
	v_mov_b32_e32 v6, 0xffffff82
	v_cndmask_b32_e32 v2, v2, v6, vcc
	v_lshrrev_b32_e32 v6, 23, v0
	v_add3_u32 v9, v9, v2, v6
	v_add_u32_e32 v8, 14, v9
	v_and_b32_e32 v1, 0x1fffff, v1
	v_add_u32_e32 v0, v1, v0
	v_mov_b32_e32 v1, v17
	v_cmp_ne_u32_e32 vcc, 0, v8
                                        ; implicit-def: $vgpr2
	s_and_saveexec_b64 s[28:29], vcc
	s_xor_b64 s[28:29], exec, s[28:29]
; %bb.8010:                             ;   in Loop: Header=BB4_7680 Depth=3
	v_cmp_lt_u64_e32 vcc, s[88:89], v[0:1]
	v_add_u32_e32 v2, 15, v9
	v_cndmask_b32_e64 v6, 0, 1, vcc
	v_cndmask_b32_e32 v2, v8, v2, vcc
	v_lshrrev_b64 v[0:1], v6, v[0:1]
; %bb.8011:                             ;   in Loop: Header=BB4_7680 Depth=3
	s_andn2_saveexec_b64 s[28:29], s[28:29]
; %bb.8012:                             ;   in Loop: Header=BB4_7680 Depth=3
	v_bfe_u32 v2, v0, 23, 1
; %bb.8013:                             ;   in Loop: Header=BB4_7680 Depth=3
	s_or_b64 exec, exec, s[28:29]
	v_lshrrev_b64 v[0:1], 21, v[0:1]
	v_cmp_gt_i32_e32 vcc, 32, v2
	v_cndmask_b32_e32 v1, 0, v1, vcc
	v_cndmask_b32_e32 v0, 3, v0, vcc
	v_cmp_eq_u64_e64 s[28:29], 0, v[0:1]
	v_min_i32_e32 v1, 31, v2
	v_lshlrev_b32_e32 v1, 2, v1
	v_cmp_eq_u32_e32 vcc, 0, v2
	v_and_b32_e32 v1, 0xfc, v1
	v_and_or_b32 v0, v0, 3, v1
	s_and_b64 s[28:29], vcc, s[28:29]
	v_cndmask_b32_e64 v0, v0, 0, s[28:29]
	v_or_b32_e32 v61, v0, v3
.LBB4_8014:                             ;   in Loop: Header=BB4_7680 Depth=3
	s_or_b64 exec, exec, s[36:37]
                                        ; implicit-def: $vgpr3
.LBB4_8015:                             ;   in Loop: Header=BB4_7680 Depth=3
	s_andn2_saveexec_b64 s[28:29], s[34:35]
; %bb.8016:                             ;   in Loop: Header=BB4_7680 Depth=3
	v_or_b32_e32 v61, 0x7b, v3
; %bb.8017:                             ;   in Loop: Header=BB4_7680 Depth=3
	s_or_b64 exec, exec, s[28:29]
                                        ; implicit-def: $vgpr2
                                        ; implicit-def: $vgpr0_vgpr1
.LBB4_8018:                             ;   in Loop: Header=BB4_7680 Depth=3
	s_andn2_saveexec_b64 s[28:29], s[30:31]
	s_cbranch_execz .LBB4_8024
; %bb.8019:                             ;   in Loop: Header=BB4_7680 Depth=3
	v_cmp_ne_u64_e32 vcc, 0, v[0:1]
                                        ; implicit-def: $vgpr61
	s_and_saveexec_b64 s[30:31], vcc
	s_xor_b64 vcc, exec, s[30:31]
; %bb.8020:                             ;   in Loop: Header=BB4_7680 Depth=3
	v_or_b32_sdwa v61, v2, s47 dst_sel:DWORD dst_unused:UNUSED_PAD src0_sel:BYTE_3 src1_sel:DWORD
                                        ; implicit-def: $vgpr2
; %bb.8021:                             ;   in Loop: Header=BB4_7680 Depth=3
	s_andn2_saveexec_b64 s[30:31], vcc
; %bb.8022:                             ;   in Loop: Header=BB4_7680 Depth=3
	v_cmp_lt_i32_e32 vcc, -1, v2
	v_bfrev_b32_e32 v0, 0.5
	v_cndmask_b32_e32 v61, v0, v52, vcc
; %bb.8023:                             ;   in Loop: Header=BB4_7680 Depth=3
	s_or_b64 exec, exec, s[30:31]
.LBB4_8024:                             ;   in Loop: Header=BB4_7680 Depth=3
	s_or_b64 exec, exec, s[28:29]
	v_mov_b32_e32 v0, v11
	v_mov_b32_e32 v1, v17
	v_cmp_ne_u16_sdwa vcc, v11, v17 src0_sel:BYTE_0 src1_sel:DWORD
	v_mov_b32_e32 v2, 0
	s_and_saveexec_b64 s[28:29], vcc
	s_cbranch_execz .LBB4_8032
; %bb.8025:                             ;   in Loop: Header=BB4_7680 Depth=3
	v_cmp_ne_u16_sdwa vcc, v11, s96 src0_sel:BYTE_0 src1_sel:DWORD
	v_bfrev_b32_e32 v2, 1
	s_and_saveexec_b64 s[30:31], vcc
	s_cbranch_execz .LBB4_8031
; %bb.8026:                             ;   in Loop: Header=BB4_7680 Depth=3
	v_and_b32_e32 v2, 0x7c, v11
	v_and_b32_e32 v3, 3, v11
	v_cmp_ne_u32_e32 vcc, s85, v2
                                        ; implicit-def: $vgpr2
	s_and_saveexec_b64 s[34:35], vcc
	s_xor_b64 s[34:35], exec, s[34:35]
	s_cbranch_execz .LBB4_8028
; %bb.8027:                             ;   in Loop: Header=BB4_7680 Depth=3
	v_ffbh_u32_e32 v2, v3
	v_min_u32_e32 v8, 32, v2
	v_subrev_u32_e32 v2, 29, v8
	v_lshlrev_b64 v[1:2], v2, v[0:1]
	v_bfe_u32 v6, v11, 2, 5
	v_and_b32_e32 v1, 3, v1
	v_cmp_eq_u32_e32 vcc, 0, v6
	v_sub_u32_e32 v2, 30, v8
	v_cndmask_b32_e32 v1, v3, v1, vcc
	v_lshlrev_b32_e32 v3, 24, v11
	v_cndmask_b32_e32 v2, v6, v2, vcc
	v_and_b32_e32 v3, 0x80000000, v3
	v_lshl_add_u32 v2, v2, 23, v3
	v_lshl_or_b32 v1, v1, 21, v2
	v_add_u32_e32 v2, 0x38000000, v1
                                        ; implicit-def: $vgpr3
.LBB4_8028:                             ;   in Loop: Header=BB4_7680 Depth=3
	s_andn2_saveexec_b64 s[34:35], s[34:35]
; %bb.8029:                             ;   in Loop: Header=BB4_7680 Depth=3
	v_mov_b32_e32 v1, -1
	v_cmp_gt_i16_sdwa vcc, sext(v11), v1 src0_sel:BYTE_0 src1_sel:DWORD
	v_mov_b32_e32 v1, 0xff800000
	v_mov_b32_e32 v2, 0x7f800000
	v_cndmask_b32_e32 v1, v1, v2, vcc
	v_cmp_eq_u32_e32 vcc, 0, v3
	v_mov_b32_e32 v2, 0x7f800001
	v_cndmask_b32_e32 v2, v2, v1, vcc
; %bb.8030:                             ;   in Loop: Header=BB4_7680 Depth=3
	s_or_b64 exec, exec, s[34:35]
.LBB4_8031:                             ;   in Loop: Header=BB4_7680 Depth=3
	s_or_b64 exec, exec, s[30:31]
.LBB4_8032:                             ;   in Loop: Header=BB4_7680 Depth=3
	s_or_b64 exec, exec, s[28:29]
	v_mul_f32_e32 v3, v12, v2
	v_and_b32_e32 v8, 0x7f800000, v3
	v_mov_b32_e32 v9, v17
	v_cmp_ne_u64_e32 vcc, s[76:77], v[8:9]
	v_and_b32_e32 v1, 0x7fffff, v3
	v_mov_b32_e32 v2, v17
                                        ; implicit-def: $vgpr32
	s_and_saveexec_b64 s[28:29], vcc
	s_xor_b64 s[30:31], exec, s[28:29]
	s_cbranch_execz .LBB4_8046
; %bb.8033:                             ;   in Loop: Header=BB4_7680 Depth=3
	v_and_b32_e32 v8, 0x7fffffff, v3
	v_mov_b32_e32 v9, v17
	v_cmp_gt_u64_e32 vcc, s[78:79], v[8:9]
	v_and_b32_sdwa v8, v3, s96 dst_sel:DWORD dst_unused:UNUSED_PAD src0_sel:BYTE_3 src1_sel:DWORD
                                        ; implicit-def: $vgpr32
	s_and_saveexec_b64 s[28:29], vcc
	s_xor_b64 s[34:35], exec, s[28:29]
	s_cbranch_execz .LBB4_8043
; %bb.8034:                             ;   in Loop: Header=BB4_7680 Depth=3
	v_mov_b32_e32 v32, 0
	v_cmp_ne_u32_e32 vcc, 0, v3
	s_and_saveexec_b64 s[36:37], vcc
	s_cbranch_execz .LBB4_8042
; %bb.8035:                             ;   in Loop: Header=BB4_7680 Depth=3
	v_bfe_u32 v9, v3, 23, 8
	v_cmp_gt_u32_e64 s[28:29], s46, v9
	v_sub_u32_e32 v3, 0x71, v9
	v_cmp_eq_u32_e32 vcc, 0, v9
	v_cndmask_b32_e64 v3, 0, v3, s[28:29]
	v_mov_b32_e32 v13, 0x70
	v_cndmask_b32_e32 v13, v3, v13, vcc
	v_add_u32_e32 v3, 21, v13
	v_or_b32_e32 v6, 0x800000, v1
	v_lshlrev_b64 v[14:15], v3, -1
	v_cndmask_b32_e32 v1, v6, v1, vcc
	v_add_u32_e32 v3, 20, v13
	v_bfi_b32 v14, v14, 0, v1
	v_lshlrev_b64 v[19:20], v3, 1
	v_lshrrev_b64 v[1:2], v13, v[1:2]
	v_bfi_b32 v15, v15, 0, 0
	v_cmp_eq_u64_e64 s[28:29], v[14:15], v[19:20]
	v_mov_b32_e32 v3, v2
	v_mov_b32_e32 v2, v1
	s_and_saveexec_b64 s[38:39], s[28:29]
; %bb.8036:                             ;   in Loop: Header=BB4_7680 Depth=3
	v_bfe_u32 v2, v1, 21, 1
	v_add_co_u32_e64 v2, s[28:29], v1, v2
	v_add_co_u32_e64 v2, s[28:29], -1, v2
; %bb.8037:                             ;   in Loop: Header=BB4_7680 Depth=3
	s_or_b64 exec, exec, s[38:39]
	v_add_u32_e32 v3, 0xffffff81, v9
	v_mov_b32_e32 v6, 0xffffff82
	v_cndmask_b32_e32 v3, v3, v6, vcc
	v_lshrrev_b32_e32 v6, 23, v1
	v_add3_u32 v13, v13, v3, v6
	v_add_u32_e32 v9, 14, v13
	v_and_b32_e32 v2, 0x1fffff, v2
	v_add_u32_e32 v1, v2, v1
	v_mov_b32_e32 v2, v17
	v_cmp_ne_u32_e32 vcc, 0, v9
                                        ; implicit-def: $vgpr3
	s_and_saveexec_b64 s[28:29], vcc
	s_xor_b64 s[28:29], exec, s[28:29]
; %bb.8038:                             ;   in Loop: Header=BB4_7680 Depth=3
	v_cmp_lt_u64_e32 vcc, s[88:89], v[1:2]
	v_add_u32_e32 v3, 15, v13
	v_cndmask_b32_e64 v6, 0, 1, vcc
	v_cndmask_b32_e32 v3, v9, v3, vcc
	v_lshrrev_b64 v[1:2], v6, v[1:2]
; %bb.8039:                             ;   in Loop: Header=BB4_7680 Depth=3
	s_andn2_saveexec_b64 s[28:29], s[28:29]
; %bb.8040:                             ;   in Loop: Header=BB4_7680 Depth=3
	v_bfe_u32 v3, v1, 23, 1
; %bb.8041:                             ;   in Loop: Header=BB4_7680 Depth=3
	s_or_b64 exec, exec, s[28:29]
	v_lshrrev_b64 v[1:2], 21, v[1:2]
	v_cmp_gt_i32_e32 vcc, 32, v3
	v_cndmask_b32_e32 v2, 0, v2, vcc
	v_cndmask_b32_e32 v1, 3, v1, vcc
	v_cmp_eq_u64_e64 s[28:29], 0, v[1:2]
	v_min_i32_e32 v2, 31, v3
	v_lshlrev_b32_e32 v2, 2, v2
	v_cmp_eq_u32_e32 vcc, 0, v3
	v_and_b32_e32 v2, 0xfc, v2
	v_and_or_b32 v1, v1, 3, v2
	s_and_b64 s[28:29], vcc, s[28:29]
	v_cndmask_b32_e64 v1, v1, 0, s[28:29]
	v_or_b32_e32 v32, v1, v8
.LBB4_8042:                             ;   in Loop: Header=BB4_7680 Depth=3
	s_or_b64 exec, exec, s[36:37]
                                        ; implicit-def: $vgpr8
.LBB4_8043:                             ;   in Loop: Header=BB4_7680 Depth=3
	s_andn2_saveexec_b64 s[28:29], s[34:35]
; %bb.8044:                             ;   in Loop: Header=BB4_7680 Depth=3
	v_or_b32_e32 v32, 0x7b, v8
; %bb.8045:                             ;   in Loop: Header=BB4_7680 Depth=3
	s_or_b64 exec, exec, s[28:29]
                                        ; implicit-def: $vgpr3
                                        ; implicit-def: $vgpr1_vgpr2
.LBB4_8046:                             ;   in Loop: Header=BB4_7680 Depth=3
	s_andn2_saveexec_b64 s[28:29], s[30:31]
	s_cbranch_execz .LBB4_8052
; %bb.8047:                             ;   in Loop: Header=BB4_7680 Depth=3
	v_cmp_ne_u64_e32 vcc, 0, v[1:2]
                                        ; implicit-def: $vgpr32
	s_and_saveexec_b64 s[30:31], vcc
	s_xor_b64 vcc, exec, s[30:31]
; %bb.8048:                             ;   in Loop: Header=BB4_7680 Depth=3
	v_or_b32_sdwa v32, v3, s47 dst_sel:DWORD dst_unused:UNUSED_PAD src0_sel:BYTE_3 src1_sel:DWORD
                                        ; implicit-def: $vgpr3
; %bb.8049:                             ;   in Loop: Header=BB4_7680 Depth=3
	s_andn2_saveexec_b64 s[30:31], vcc
; %bb.8050:                             ;   in Loop: Header=BB4_7680 Depth=3
	v_cmp_lt_i32_e32 vcc, -1, v3
	v_bfrev_b32_e32 v1, 0.5
	v_cndmask_b32_e32 v32, v1, v52, vcc
; %bb.8051:                             ;   in Loop: Header=BB4_7680 Depth=3
	s_or_b64 exec, exec, s[30:31]
.LBB4_8052:                             ;   in Loop: Header=BB4_7680 Depth=3
	s_or_b64 exec, exec, s[28:29]
	v_lshrrev_b16_e32 v1, 8, v0
	v_cmp_ne_u16_e32 vcc, 0, v1
	v_mov_b32_e32 v2, 0
	s_and_saveexec_b64 s[28:29], vcc
	s_cbranch_execz .LBB4_8060
; %bb.8053:                             ;   in Loop: Header=BB4_7680 Depth=3
	v_cmp_ne_u16_e32 vcc, s96, v1
	v_bfrev_b32_e32 v2, 1
	s_and_saveexec_b64 s[30:31], vcc
	s_cbranch_execz .LBB4_8059
; %bb.8054:                             ;   in Loop: Header=BB4_7680 Depth=3
	v_and_b32_e32 v2, 0x7c, v1
	v_and_b32_e32 v3, 3, v1
	v_cmp_ne_u32_e32 vcc, s85, v2
                                        ; implicit-def: $vgpr2
	s_and_saveexec_b64 s[34:35], vcc
	s_xor_b64 s[34:35], exec, s[34:35]
	s_cbranch_execz .LBB4_8056
; %bb.8055:                             ;   in Loop: Header=BB4_7680 Depth=3
	v_ffbh_u32_e32 v8, v3
	v_min_u32_e32 v8, 32, v8
	v_mov_b32_e32 v2, v17
	v_subrev_u32_e32 v9, 29, v8
	v_bfe_u32 v6, v1, 2, 5
	v_lshlrev_b64 v[1:2], v9, v[1:2]
	v_sub_u32_e32 v2, 30, v8
	v_cmp_eq_u32_e32 vcc, 0, v6
	v_lshlrev_b32_e32 v0, 16, v0
	v_and_b32_e32 v1, 3, v1
	v_cndmask_b32_e32 v2, v6, v2, vcc
	v_and_b32_e32 v0, 0x80000000, v0
	v_cndmask_b32_e32 v1, v3, v1, vcc
	v_lshl_add_u32 v0, v2, 23, v0
	v_lshl_or_b32 v0, v1, 21, v0
	v_add_u32_e32 v2, 0x38000000, v0
                                        ; implicit-def: $vgpr3
                                        ; implicit-def: $vgpr0_vgpr1
.LBB4_8056:                             ;   in Loop: Header=BB4_7680 Depth=3
	s_andn2_saveexec_b64 s[34:35], s[34:35]
; %bb.8057:                             ;   in Loop: Header=BB4_7680 Depth=3
	v_cmp_lt_i16_e32 vcc, -1, v0
	v_mov_b32_e32 v0, 0xff800000
	v_mov_b32_e32 v1, 0x7f800000
	v_cndmask_b32_e32 v0, v0, v1, vcc
	v_cmp_eq_u32_e32 vcc, 0, v3
	v_mov_b32_e32 v1, 0x7f800001
	v_cndmask_b32_e32 v2, v1, v0, vcc
; %bb.8058:                             ;   in Loop: Header=BB4_7680 Depth=3
	s_or_b64 exec, exec, s[34:35]
.LBB4_8059:                             ;   in Loop: Header=BB4_7680 Depth=3
	s_or_b64 exec, exec, s[30:31]
.LBB4_8060:                             ;   in Loop: Header=BB4_7680 Depth=3
	s_or_b64 exec, exec, s[28:29]
	v_mul_f32_e32 v2, v12, v2
	v_and_b32_e32 v8, 0x7f800000, v2
	v_mov_b32_e32 v9, v17
	v_cmp_ne_u64_e32 vcc, s[76:77], v[8:9]
	v_and_b32_e32 v0, 0x7fffff, v2
	v_mov_b32_e32 v1, v17
                                        ; implicit-def: $vgpr50
	s_and_saveexec_b64 s[28:29], vcc
	s_xor_b64 s[30:31], exec, s[28:29]
	s_cbranch_execz .LBB4_8074
; %bb.8061:                             ;   in Loop: Header=BB4_7680 Depth=3
	v_and_b32_e32 v8, 0x7fffffff, v2
	v_mov_b32_e32 v9, v17
	v_cmp_gt_u64_e32 vcc, s[78:79], v[8:9]
	v_and_b32_sdwa v3, v2, s96 dst_sel:DWORD dst_unused:UNUSED_PAD src0_sel:BYTE_3 src1_sel:DWORD
                                        ; implicit-def: $vgpr50
	s_and_saveexec_b64 s[28:29], vcc
	s_xor_b64 s[34:35], exec, s[28:29]
	s_cbranch_execz .LBB4_8071
; %bb.8062:                             ;   in Loop: Header=BB4_7680 Depth=3
	v_mov_b32_e32 v50, 0
	v_cmp_ne_u32_e32 vcc, 0, v2
	s_and_saveexec_b64 s[36:37], vcc
	s_cbranch_execz .LBB4_8070
; %bb.8063:                             ;   in Loop: Header=BB4_7680 Depth=3
	v_bfe_u32 v8, v2, 23, 8
	v_cmp_gt_u32_e64 s[28:29], s46, v8
	v_sub_u32_e32 v2, 0x71, v8
	v_cmp_eq_u32_e32 vcc, 0, v8
	v_cndmask_b32_e64 v2, 0, v2, s[28:29]
	v_mov_b32_e32 v9, 0x70
	v_cndmask_b32_e32 v9, v2, v9, vcc
	v_add_u32_e32 v2, 21, v9
	v_or_b32_e32 v6, 0x800000, v0
	v_lshlrev_b64 v[13:14], v2, -1
	v_cndmask_b32_e32 v0, v6, v0, vcc
	v_add_u32_e32 v2, 20, v9
	v_bfi_b32 v13, v13, 0, v0
	v_lshlrev_b64 v[15:16], v2, 1
	v_lshrrev_b64 v[0:1], v9, v[0:1]
	v_bfi_b32 v14, v14, 0, 0
	v_cmp_eq_u64_e64 s[28:29], v[13:14], v[15:16]
	v_mov_b32_e32 v2, v1
	v_mov_b32_e32 v1, v0
	s_and_saveexec_b64 s[38:39], s[28:29]
; %bb.8064:                             ;   in Loop: Header=BB4_7680 Depth=3
	v_bfe_u32 v1, v0, 21, 1
	v_add_co_u32_e64 v1, s[28:29], v0, v1
	v_add_co_u32_e64 v1, s[28:29], -1, v1
; %bb.8065:                             ;   in Loop: Header=BB4_7680 Depth=3
	s_or_b64 exec, exec, s[38:39]
	v_add_u32_e32 v2, 0xffffff81, v8
	v_mov_b32_e32 v6, 0xffffff82
	v_cndmask_b32_e32 v2, v2, v6, vcc
	v_lshrrev_b32_e32 v6, 23, v0
	v_add3_u32 v9, v9, v2, v6
	v_add_u32_e32 v8, 14, v9
	v_and_b32_e32 v1, 0x1fffff, v1
	v_add_u32_e32 v0, v1, v0
	v_mov_b32_e32 v1, v17
	v_cmp_ne_u32_e32 vcc, 0, v8
                                        ; implicit-def: $vgpr2
	s_and_saveexec_b64 s[28:29], vcc
	s_xor_b64 s[28:29], exec, s[28:29]
; %bb.8066:                             ;   in Loop: Header=BB4_7680 Depth=3
	v_cmp_lt_u64_e32 vcc, s[88:89], v[0:1]
	v_add_u32_e32 v2, 15, v9
	v_cndmask_b32_e64 v6, 0, 1, vcc
	v_cndmask_b32_e32 v2, v8, v2, vcc
	v_lshrrev_b64 v[0:1], v6, v[0:1]
; %bb.8067:                             ;   in Loop: Header=BB4_7680 Depth=3
	s_andn2_saveexec_b64 s[28:29], s[28:29]
; %bb.8068:                             ;   in Loop: Header=BB4_7680 Depth=3
	v_bfe_u32 v2, v0, 23, 1
; %bb.8069:                             ;   in Loop: Header=BB4_7680 Depth=3
	s_or_b64 exec, exec, s[28:29]
	v_lshrrev_b64 v[0:1], 21, v[0:1]
	v_cmp_gt_i32_e32 vcc, 32, v2
	v_cndmask_b32_e32 v1, 0, v1, vcc
	v_cndmask_b32_e32 v0, 3, v0, vcc
	v_cmp_eq_u64_e64 s[28:29], 0, v[0:1]
	v_min_i32_e32 v1, 31, v2
	v_lshlrev_b32_e32 v1, 2, v1
	v_cmp_eq_u32_e32 vcc, 0, v2
	v_and_b32_e32 v1, 0xfc, v1
	v_and_or_b32 v0, v0, 3, v1
	s_and_b64 s[28:29], vcc, s[28:29]
	v_cndmask_b32_e64 v0, v0, 0, s[28:29]
	v_or_b32_e32 v50, v0, v3
.LBB4_8070:                             ;   in Loop: Header=BB4_7680 Depth=3
	s_or_b64 exec, exec, s[36:37]
                                        ; implicit-def: $vgpr3
.LBB4_8071:                             ;   in Loop: Header=BB4_7680 Depth=3
	s_andn2_saveexec_b64 s[28:29], s[34:35]
; %bb.8072:                             ;   in Loop: Header=BB4_7680 Depth=3
	v_or_b32_e32 v50, 0x7b, v3
; %bb.8073:                             ;   in Loop: Header=BB4_7680 Depth=3
	s_or_b64 exec, exec, s[28:29]
                                        ; implicit-def: $vgpr2
                                        ; implicit-def: $vgpr0_vgpr1
.LBB4_8074:                             ;   in Loop: Header=BB4_7680 Depth=3
	s_andn2_saveexec_b64 s[28:29], s[30:31]
	s_cbranch_execz .LBB4_8080
; %bb.8075:                             ;   in Loop: Header=BB4_7680 Depth=3
	v_cmp_ne_u64_e32 vcc, 0, v[0:1]
                                        ; implicit-def: $vgpr50
	s_and_saveexec_b64 s[30:31], vcc
	s_xor_b64 vcc, exec, s[30:31]
; %bb.8076:                             ;   in Loop: Header=BB4_7680 Depth=3
	v_or_b32_sdwa v50, v2, s47 dst_sel:DWORD dst_unused:UNUSED_PAD src0_sel:BYTE_3 src1_sel:DWORD
                                        ; implicit-def: $vgpr2
; %bb.8077:                             ;   in Loop: Header=BB4_7680 Depth=3
	s_andn2_saveexec_b64 s[30:31], vcc
; %bb.8078:                             ;   in Loop: Header=BB4_7680 Depth=3
	v_cmp_lt_i32_e32 vcc, -1, v2
	v_bfrev_b32_e32 v0, 0.5
	v_cndmask_b32_e32 v50, v0, v52, vcc
; %bb.8079:                             ;   in Loop: Header=BB4_7680 Depth=3
	s_or_b64 exec, exec, s[30:31]
.LBB4_8080:                             ;   in Loop: Header=BB4_7680 Depth=3
	s_or_b64 exec, exec, s[28:29]
	v_lshrrev_b32_e32 v0, 16, v11
	v_cmp_ne_u16_sdwa vcc, v0, v17 src0_sel:BYTE_0 src1_sel:DWORD
	v_mov_b32_e32 v1, 0
	s_and_saveexec_b64 s[28:29], vcc
	s_cbranch_execz .LBB4_8088
; %bb.8081:                             ;   in Loop: Header=BB4_7680 Depth=3
	v_cmp_ne_u16_sdwa vcc, v0, s96 src0_sel:BYTE_0 src1_sel:DWORD
	v_bfrev_b32_e32 v1, 1
	s_and_saveexec_b64 s[30:31], vcc
	s_cbranch_execz .LBB4_8087
; %bb.8082:                             ;   in Loop: Header=BB4_7680 Depth=3
	v_and_b32_e32 v1, 0x7c0000, v11
	v_bfe_u32 v2, v11, 16, 2
	v_cmp_ne_u32_e32 vcc, s44, v1
                                        ; implicit-def: $vgpr1
	s_and_saveexec_b64 s[34:35], vcc
	s_xor_b64 s[34:35], exec, s[34:35]
	s_cbranch_execz .LBB4_8084
; %bb.8083:                             ;   in Loop: Header=BB4_7680 Depth=3
	v_ffbh_u32_e32 v1, v2
	v_min_u32_e32 v6, 32, v1
	v_subrev_u32_e32 v1, 29, v6
	v_lshlrev_b64 v[0:1], v1, v[0:1]
	v_bfe_u32 v3, v11, 18, 5
	v_and_b32_e32 v0, 3, v0
	v_cmp_eq_u32_e32 vcc, 0, v3
	v_sub_u32_e32 v1, 30, v6
	v_cndmask_b32_e32 v0, v2, v0, vcc
	v_lshlrev_b32_e32 v2, 8, v11
	v_cndmask_b32_e32 v1, v3, v1, vcc
	v_and_b32_e32 v2, 0x80000000, v2
	v_lshl_add_u32 v1, v1, 23, v2
	v_lshl_or_b32 v0, v0, 21, v1
	v_add_u32_e32 v1, 0x38000000, v0
                                        ; implicit-def: $vgpr2
                                        ; implicit-def: $vgpr0
.LBB4_8084:                             ;   in Loop: Header=BB4_7680 Depth=3
	s_andn2_saveexec_b64 s[34:35], s[34:35]
; %bb.8085:                             ;   in Loop: Header=BB4_7680 Depth=3
	v_mov_b32_e32 v1, -1
	v_cmp_gt_i16_sdwa vcc, sext(v0), v1 src0_sel:BYTE_0 src1_sel:DWORD
	v_mov_b32_e32 v0, 0xff800000
	v_mov_b32_e32 v1, 0x7f800000
	v_cndmask_b32_e32 v0, v0, v1, vcc
	v_cmp_eq_u32_e32 vcc, 0, v2
	v_mov_b32_e32 v1, 0x7f800001
	v_cndmask_b32_e32 v1, v1, v0, vcc
; %bb.8086:                             ;   in Loop: Header=BB4_7680 Depth=3
	s_or_b64 exec, exec, s[34:35]
.LBB4_8087:                             ;   in Loop: Header=BB4_7680 Depth=3
	s_or_b64 exec, exec, s[30:31]
.LBB4_8088:                             ;   in Loop: Header=BB4_7680 Depth=3
	s_or_b64 exec, exec, s[28:29]
	v_mul_f32_e32 v2, v12, v1
	v_and_b32_e32 v8, 0x7f800000, v2
	v_mov_b32_e32 v9, v17
	v_cmp_ne_u64_e32 vcc, s[76:77], v[8:9]
	v_and_b32_e32 v0, 0x7fffff, v2
	v_mov_b32_e32 v1, v17
                                        ; implicit-def: $vgpr54
	s_and_saveexec_b64 s[28:29], vcc
	s_xor_b64 s[30:31], exec, s[28:29]
	s_cbranch_execz .LBB4_8102
; %bb.8089:                             ;   in Loop: Header=BB4_7680 Depth=3
	v_and_b32_e32 v8, 0x7fffffff, v2
	v_mov_b32_e32 v9, v17
	v_cmp_gt_u64_e32 vcc, s[78:79], v[8:9]
	v_and_b32_sdwa v3, v2, s96 dst_sel:DWORD dst_unused:UNUSED_PAD src0_sel:BYTE_3 src1_sel:DWORD
                                        ; implicit-def: $vgpr54
	s_and_saveexec_b64 s[28:29], vcc
	s_xor_b64 s[34:35], exec, s[28:29]
	s_cbranch_execz .LBB4_8099
; %bb.8090:                             ;   in Loop: Header=BB4_7680 Depth=3
	v_mov_b32_e32 v54, 0
	v_cmp_ne_u32_e32 vcc, 0, v2
	s_and_saveexec_b64 s[36:37], vcc
	s_cbranch_execz .LBB4_8098
; %bb.8091:                             ;   in Loop: Header=BB4_7680 Depth=3
	v_bfe_u32 v8, v2, 23, 8
	v_cmp_gt_u32_e64 s[28:29], s46, v8
	v_sub_u32_e32 v2, 0x71, v8
	v_cmp_eq_u32_e32 vcc, 0, v8
	v_cndmask_b32_e64 v2, 0, v2, s[28:29]
	v_mov_b32_e32 v9, 0x70
	v_cndmask_b32_e32 v9, v2, v9, vcc
	v_add_u32_e32 v2, 21, v9
	v_or_b32_e32 v6, 0x800000, v0
	v_lshlrev_b64 v[13:14], v2, -1
	v_cndmask_b32_e32 v0, v6, v0, vcc
	v_add_u32_e32 v2, 20, v9
	v_bfi_b32 v13, v13, 0, v0
	v_lshlrev_b64 v[15:16], v2, 1
	v_lshrrev_b64 v[0:1], v9, v[0:1]
	v_bfi_b32 v14, v14, 0, 0
	v_cmp_eq_u64_e64 s[28:29], v[13:14], v[15:16]
	v_mov_b32_e32 v2, v1
	v_mov_b32_e32 v1, v0
	s_and_saveexec_b64 s[38:39], s[28:29]
; %bb.8092:                             ;   in Loop: Header=BB4_7680 Depth=3
	v_bfe_u32 v1, v0, 21, 1
	v_add_co_u32_e64 v1, s[28:29], v0, v1
	v_add_co_u32_e64 v1, s[28:29], -1, v1
; %bb.8093:                             ;   in Loop: Header=BB4_7680 Depth=3
	s_or_b64 exec, exec, s[38:39]
	v_add_u32_e32 v2, 0xffffff81, v8
	v_mov_b32_e32 v6, 0xffffff82
	v_cndmask_b32_e32 v2, v2, v6, vcc
	v_lshrrev_b32_e32 v6, 23, v0
	v_add3_u32 v9, v9, v2, v6
	v_add_u32_e32 v8, 14, v9
	v_and_b32_e32 v1, 0x1fffff, v1
	v_add_u32_e32 v0, v1, v0
	v_mov_b32_e32 v1, v17
	v_cmp_ne_u32_e32 vcc, 0, v8
                                        ; implicit-def: $vgpr2
	s_and_saveexec_b64 s[28:29], vcc
	s_xor_b64 s[28:29], exec, s[28:29]
; %bb.8094:                             ;   in Loop: Header=BB4_7680 Depth=3
	v_cmp_lt_u64_e32 vcc, s[88:89], v[0:1]
	v_add_u32_e32 v2, 15, v9
	v_cndmask_b32_e64 v6, 0, 1, vcc
	v_cndmask_b32_e32 v2, v8, v2, vcc
	v_lshrrev_b64 v[0:1], v6, v[0:1]
; %bb.8095:                             ;   in Loop: Header=BB4_7680 Depth=3
	s_andn2_saveexec_b64 s[28:29], s[28:29]
; %bb.8096:                             ;   in Loop: Header=BB4_7680 Depth=3
	v_bfe_u32 v2, v0, 23, 1
; %bb.8097:                             ;   in Loop: Header=BB4_7680 Depth=3
	s_or_b64 exec, exec, s[28:29]
	v_lshrrev_b64 v[0:1], 21, v[0:1]
	v_cmp_gt_i32_e32 vcc, 32, v2
	v_cndmask_b32_e32 v1, 0, v1, vcc
	v_cndmask_b32_e32 v0, 3, v0, vcc
	v_cmp_eq_u64_e64 s[28:29], 0, v[0:1]
	v_min_i32_e32 v1, 31, v2
	v_lshlrev_b32_e32 v1, 2, v1
	v_cmp_eq_u32_e32 vcc, 0, v2
	v_and_b32_e32 v1, 0xfc, v1
	v_and_or_b32 v0, v0, 3, v1
	s_and_b64 s[28:29], vcc, s[28:29]
	v_cndmask_b32_e64 v0, v0, 0, s[28:29]
	v_or_b32_e32 v54, v0, v3
.LBB4_8098:                             ;   in Loop: Header=BB4_7680 Depth=3
	s_or_b64 exec, exec, s[36:37]
                                        ; implicit-def: $vgpr3
.LBB4_8099:                             ;   in Loop: Header=BB4_7680 Depth=3
	s_andn2_saveexec_b64 s[28:29], s[34:35]
; %bb.8100:                             ;   in Loop: Header=BB4_7680 Depth=3
	v_or_b32_e32 v54, 0x7b, v3
; %bb.8101:                             ;   in Loop: Header=BB4_7680 Depth=3
	s_or_b64 exec, exec, s[28:29]
                                        ; implicit-def: $vgpr2
                                        ; implicit-def: $vgpr0_vgpr1
.LBB4_8102:                             ;   in Loop: Header=BB4_7680 Depth=3
	s_andn2_saveexec_b64 s[28:29], s[30:31]
	s_cbranch_execz .LBB4_8108
; %bb.8103:                             ;   in Loop: Header=BB4_7680 Depth=3
	v_cmp_ne_u64_e32 vcc, 0, v[0:1]
                                        ; implicit-def: $vgpr54
	s_and_saveexec_b64 s[30:31], vcc
	s_xor_b64 vcc, exec, s[30:31]
; %bb.8104:                             ;   in Loop: Header=BB4_7680 Depth=3
	v_or_b32_sdwa v54, v2, s47 dst_sel:DWORD dst_unused:UNUSED_PAD src0_sel:BYTE_3 src1_sel:DWORD
                                        ; implicit-def: $vgpr2
; %bb.8105:                             ;   in Loop: Header=BB4_7680 Depth=3
	s_andn2_saveexec_b64 s[30:31], vcc
; %bb.8106:                             ;   in Loop: Header=BB4_7680 Depth=3
	v_cmp_lt_i32_e32 vcc, -1, v2
	v_bfrev_b32_e32 v0, 0.5
	v_cndmask_b32_e32 v54, v0, v52, vcc
; %bb.8107:                             ;   in Loop: Header=BB4_7680 Depth=3
	s_or_b64 exec, exec, s[30:31]
.LBB4_8108:                             ;   in Loop: Header=BB4_7680 Depth=3
	s_or_b64 exec, exec, s[28:29]
	v_cmp_lt_u64_e32 vcc, s[56:57], v[10:11]
	v_mov_b32_e32 v1, 0
	s_and_saveexec_b64 s[28:29], vcc
	s_cbranch_execz .LBB4_8116
; %bb.8109:                             ;   in Loop: Header=BB4_7680 Depth=3
	v_lshrrev_b32_e32 v0, 24, v11
	v_cmp_ne_u32_e32 vcc, s96, v0
	v_bfrev_b32_e32 v1, 1
	s_and_saveexec_b64 s[30:31], vcc
	s_cbranch_execz .LBB4_8115
; %bb.8110:                             ;   in Loop: Header=BB4_7680 Depth=3
	v_and_b32_e32 v1, 0x7c000000, v11
	v_bfe_u32 v2, v11, 24, 2
	v_cmp_ne_u32_e32 vcc, s45, v1
                                        ; implicit-def: $vgpr1
	s_and_saveexec_b64 s[34:35], vcc
	s_xor_b64 s[34:35], exec, s[34:35]
	s_cbranch_execz .LBB4_8112
; %bb.8111:                             ;   in Loop: Header=BB4_7680 Depth=3
	v_ffbh_u32_e32 v1, v2
	v_min_u32_e32 v6, 32, v1
	v_subrev_u32_e32 v1, 29, v6
	v_lshlrev_b64 v[0:1], v1, v[0:1]
	v_bfe_u32 v3, v11, 26, 5
	v_sub_u32_e32 v1, 30, v6
	v_and_b32_e32 v0, 3, v0
	v_cmp_eq_u32_e32 vcc, 0, v3
	v_cndmask_b32_e32 v1, v3, v1, vcc
	v_cndmask_b32_e32 v0, v2, v0, vcc
	v_and_b32_e32 v2, 0x80000000, v11
	v_lshl_add_u32 v1, v1, 23, v2
	v_lshl_or_b32 v0, v0, 21, v1
	v_add_u32_e32 v1, 0x38000000, v0
                                        ; implicit-def: $vgpr2
                                        ; implicit-def: $vgpr10_vgpr11
.LBB4_8112:                             ;   in Loop: Header=BB4_7680 Depth=3
	s_andn2_saveexec_b64 s[34:35], s[34:35]
; %bb.8113:                             ;   in Loop: Header=BB4_7680 Depth=3
	v_cmp_lt_i64_e32 vcc, -1, v[10:11]
	v_mov_b32_e32 v0, 0xff800000
	v_mov_b32_e32 v1, 0x7f800000
	v_cndmask_b32_e32 v0, v0, v1, vcc
	v_cmp_eq_u32_e32 vcc, 0, v2
	v_mov_b32_e32 v1, 0x7f800001
	v_cndmask_b32_e32 v1, v1, v0, vcc
; %bb.8114:                             ;   in Loop: Header=BB4_7680 Depth=3
	s_or_b64 exec, exec, s[34:35]
.LBB4_8115:                             ;   in Loop: Header=BB4_7680 Depth=3
	s_or_b64 exec, exec, s[30:31]
.LBB4_8116:                             ;   in Loop: Header=BB4_7680 Depth=3
	s_or_b64 exec, exec, s[28:29]
	v_mul_f32_e32 v2, v12, v1
	v_and_b32_e32 v8, 0x7f800000, v2
	v_mov_b32_e32 v9, v17
	v_cmp_ne_u64_e32 vcc, s[76:77], v[8:9]
	v_and_b32_e32 v0, 0x7fffff, v2
	v_mov_b32_e32 v1, v17
                                        ; implicit-def: $vgpr59
	s_and_saveexec_b64 s[28:29], vcc
	s_xor_b64 s[30:31], exec, s[28:29]
	s_cbranch_execz .LBB4_8130
; %bb.8117:                             ;   in Loop: Header=BB4_7680 Depth=3
	v_and_b32_e32 v8, 0x7fffffff, v2
	v_mov_b32_e32 v9, v17
	v_cmp_gt_u64_e32 vcc, s[78:79], v[8:9]
	v_and_b32_sdwa v3, v2, s96 dst_sel:DWORD dst_unused:UNUSED_PAD src0_sel:BYTE_3 src1_sel:DWORD
                                        ; implicit-def: $vgpr59
	s_and_saveexec_b64 s[28:29], vcc
	s_xor_b64 s[34:35], exec, s[28:29]
	s_cbranch_execz .LBB4_8127
; %bb.8118:                             ;   in Loop: Header=BB4_7680 Depth=3
	v_mov_b32_e32 v59, 0
	v_cmp_ne_u32_e32 vcc, 0, v2
	s_and_saveexec_b64 s[36:37], vcc
	s_cbranch_execz .LBB4_8126
; %bb.8119:                             ;   in Loop: Header=BB4_7680 Depth=3
	v_bfe_u32 v8, v2, 23, 8
	v_cmp_gt_u32_e64 s[28:29], s46, v8
	v_sub_u32_e32 v2, 0x71, v8
	v_cmp_eq_u32_e32 vcc, 0, v8
	v_cndmask_b32_e64 v2, 0, v2, s[28:29]
	v_mov_b32_e32 v9, 0x70
	v_cndmask_b32_e32 v9, v2, v9, vcc
	v_add_u32_e32 v2, 21, v9
	v_or_b32_e32 v6, 0x800000, v0
	v_lshlrev_b64 v[10:11], v2, -1
	v_cndmask_b32_e32 v0, v6, v0, vcc
	v_add_u32_e32 v2, 20, v9
	v_bfi_b32 v10, v10, 0, v0
	v_lshlrev_b64 v[13:14], v2, 1
	v_lshrrev_b64 v[0:1], v9, v[0:1]
	v_bfi_b32 v11, v11, 0, 0
	v_cmp_eq_u64_e64 s[28:29], v[10:11], v[13:14]
	v_mov_b32_e32 v2, v1
	v_mov_b32_e32 v1, v0
	s_and_saveexec_b64 s[38:39], s[28:29]
; %bb.8120:                             ;   in Loop: Header=BB4_7680 Depth=3
	v_bfe_u32 v1, v0, 21, 1
	v_add_co_u32_e64 v1, s[28:29], v0, v1
	v_add_co_u32_e64 v1, s[28:29], -1, v1
; %bb.8121:                             ;   in Loop: Header=BB4_7680 Depth=3
	s_or_b64 exec, exec, s[38:39]
	v_add_u32_e32 v2, 0xffffff81, v8
	v_mov_b32_e32 v6, 0xffffff82
	v_cndmask_b32_e32 v2, v2, v6, vcc
	v_lshrrev_b32_e32 v6, 23, v0
	v_add3_u32 v9, v9, v2, v6
	v_add_u32_e32 v8, 14, v9
	v_and_b32_e32 v1, 0x1fffff, v1
	v_add_u32_e32 v0, v1, v0
	v_mov_b32_e32 v1, v17
	v_cmp_ne_u32_e32 vcc, 0, v8
                                        ; implicit-def: $vgpr2
	s_and_saveexec_b64 s[28:29], vcc
	s_xor_b64 s[28:29], exec, s[28:29]
; %bb.8122:                             ;   in Loop: Header=BB4_7680 Depth=3
	v_cmp_lt_u64_e32 vcc, s[88:89], v[0:1]
	v_add_u32_e32 v2, 15, v9
	v_cndmask_b32_e64 v6, 0, 1, vcc
	v_cndmask_b32_e32 v2, v8, v2, vcc
	v_lshrrev_b64 v[0:1], v6, v[0:1]
; %bb.8123:                             ;   in Loop: Header=BB4_7680 Depth=3
	s_andn2_saveexec_b64 s[28:29], s[28:29]
; %bb.8124:                             ;   in Loop: Header=BB4_7680 Depth=3
	v_bfe_u32 v2, v0, 23, 1
; %bb.8125:                             ;   in Loop: Header=BB4_7680 Depth=3
	s_or_b64 exec, exec, s[28:29]
	v_lshrrev_b64 v[0:1], 21, v[0:1]
	v_cmp_gt_i32_e32 vcc, 32, v2
	v_cndmask_b32_e32 v1, 0, v1, vcc
	v_cndmask_b32_e32 v0, 3, v0, vcc
	v_cmp_eq_u64_e64 s[28:29], 0, v[0:1]
	v_min_i32_e32 v1, 31, v2
	v_lshlrev_b32_e32 v1, 2, v1
	v_cmp_eq_u32_e32 vcc, 0, v2
	v_and_b32_e32 v1, 0xfc, v1
	v_and_or_b32 v0, v0, 3, v1
	s_and_b64 s[28:29], vcc, s[28:29]
	v_cndmask_b32_e64 v0, v0, 0, s[28:29]
	v_or_b32_e32 v59, v0, v3
.LBB4_8126:                             ;   in Loop: Header=BB4_7680 Depth=3
	s_or_b64 exec, exec, s[36:37]
                                        ; implicit-def: $vgpr3
.LBB4_8127:                             ;   in Loop: Header=BB4_7680 Depth=3
	s_andn2_saveexec_b64 s[28:29], s[34:35]
; %bb.8128:                             ;   in Loop: Header=BB4_7680 Depth=3
	v_or_b32_e32 v59, 0x7b, v3
; %bb.8129:                             ;   in Loop: Header=BB4_7680 Depth=3
	s_or_b64 exec, exec, s[28:29]
                                        ; implicit-def: $vgpr2
                                        ; implicit-def: $vgpr0_vgpr1
.LBB4_8130:                             ;   in Loop: Header=BB4_7680 Depth=3
	s_andn2_saveexec_b64 s[28:29], s[30:31]
	s_cbranch_execz .LBB4_8136
; %bb.8131:                             ;   in Loop: Header=BB4_7680 Depth=3
	v_cmp_ne_u64_e32 vcc, 0, v[0:1]
                                        ; implicit-def: $vgpr59
	s_and_saveexec_b64 s[30:31], vcc
	s_xor_b64 vcc, exec, s[30:31]
; %bb.8132:                             ;   in Loop: Header=BB4_7680 Depth=3
	v_or_b32_sdwa v59, v2, s47 dst_sel:DWORD dst_unused:UNUSED_PAD src0_sel:BYTE_3 src1_sel:DWORD
                                        ; implicit-def: $vgpr2
; %bb.8133:                             ;   in Loop: Header=BB4_7680 Depth=3
	s_andn2_saveexec_b64 s[30:31], vcc
; %bb.8134:                             ;   in Loop: Header=BB4_7680 Depth=3
	v_cmp_lt_i32_e32 vcc, -1, v2
	v_bfrev_b32_e32 v0, 0.5
	v_cndmask_b32_e32 v59, v0, v52, vcc
; %bb.8135:                             ;   in Loop: Header=BB4_7680 Depth=3
	s_or_b64 exec, exec, s[30:31]
.LBB4_8136:                             ;   in Loop: Header=BB4_7680 Depth=3
	s_or_b64 exec, exec, s[28:29]
	global_load_dwordx4 v[8:11], v[55:56], off offset:1024 glc slc
	v_mov_b32_e32 v0, 0
	s_waitcnt vmcnt(0)
	v_cmp_ne_u16_sdwa vcc, v8, v17 src0_sel:BYTE_0 src1_sel:DWORD
	s_and_saveexec_b64 s[28:29], vcc
	s_cbranch_execz .LBB4_8144
; %bb.8137:                             ;   in Loop: Header=BB4_7680 Depth=3
	v_cmp_ne_u16_sdwa vcc, sext(v8), s97 src0_sel:BYTE_0 src1_sel:DWORD
	v_bfrev_b32_e32 v0, 1
	s_and_saveexec_b64 s[30:31], vcc
	s_cbranch_execz .LBB4_8143
; %bb.8138:                             ;   in Loop: Header=BB4_7680 Depth=3
	v_and_b32_e32 v0, 0x7c, v8
	v_and_b32_e32 v1, 3, v8
	v_cmp_ne_u32_e32 vcc, s85, v0
                                        ; implicit-def: $vgpr0
	s_and_saveexec_b64 s[34:35], vcc
	s_xor_b64 s[34:35], exec, s[34:35]
	s_cbranch_execz .LBB4_8140
; %bb.8139:                             ;   in Loop: Header=BB4_7680 Depth=3
	v_ffbh_u32_e32 v2, v1
	v_min_u32_e32 v6, 32, v2
	v_subrev_u32_e32 v2, 29, v6
	v_lshlrev_b64 v[2:3], v2, v[8:9]
	v_bfe_u32 v0, v8, 2, 5
	v_and_b32_e32 v2, 3, v2
	v_cmp_eq_u32_e32 vcc, 0, v0
	v_sub_u32_e32 v3, 30, v6
	v_cndmask_b32_e32 v1, v1, v2, vcc
	v_lshlrev_b32_e32 v2, 24, v8
	v_cndmask_b32_e32 v0, v0, v3, vcc
	v_and_b32_e32 v2, 0x80000000, v2
	v_lshl_add_u32 v0, v0, 23, v2
	v_lshl_or_b32 v0, v1, 21, v0
	v_add_u32_e32 v0, 0x38000000, v0
                                        ; implicit-def: $vgpr1
.LBB4_8140:                             ;   in Loop: Header=BB4_7680 Depth=3
	s_andn2_saveexec_b64 s[34:35], s[34:35]
; %bb.8141:                             ;   in Loop: Header=BB4_7680 Depth=3
	v_mov_b32_e32 v0, -1
	v_cmp_gt_i16_sdwa vcc, sext(v8), v0 src0_sel:BYTE_0 src1_sel:DWORD
	v_mov_b32_e32 v0, 0xff800000
	v_mov_b32_e32 v2, 0x7f800000
	v_cndmask_b32_e32 v0, v0, v2, vcc
	v_cmp_eq_u32_e32 vcc, 0, v1
	v_mov_b32_e32 v1, 0x7f800001
	v_cndmask_b32_e32 v0, v1, v0, vcc
; %bb.8142:                             ;   in Loop: Header=BB4_7680 Depth=3
	s_or_b64 exec, exec, s[34:35]
.LBB4_8143:                             ;   in Loop: Header=BB4_7680 Depth=3
	s_or_b64 exec, exec, s[30:31]
.LBB4_8144:                             ;   in Loop: Header=BB4_7680 Depth=3
	s_or_b64 exec, exec, s[28:29]
	v_mul_f32_e32 v2, v12, v0
	v_and_b32_e32 v13, 0x7f800000, v2
	v_mov_b32_e32 v14, v17
	v_cmp_ne_u64_e32 vcc, s[76:77], v[13:14]
	v_and_b32_e32 v0, 0x7fffff, v2
	v_mov_b32_e32 v1, v17
                                        ; implicit-def: $vgpr25
	s_and_saveexec_b64 s[28:29], vcc
	s_xor_b64 s[30:31], exec, s[28:29]
	s_cbranch_execz .LBB4_8158
; %bb.8145:                             ;   in Loop: Header=BB4_7680 Depth=3
	v_and_b32_e32 v13, 0x7fffffff, v2
	v_mov_b32_e32 v14, v17
	v_cmp_gt_u64_e32 vcc, s[78:79], v[13:14]
	v_and_b32_sdwa v3, v2, s96 dst_sel:DWORD dst_unused:UNUSED_PAD src0_sel:BYTE_3 src1_sel:DWORD
                                        ; implicit-def: $vgpr25
	s_and_saveexec_b64 s[28:29], vcc
	s_xor_b64 s[34:35], exec, s[28:29]
	s_cbranch_execz .LBB4_8155
; %bb.8146:                             ;   in Loop: Header=BB4_7680 Depth=3
	v_mov_b32_e32 v25, 0
	v_cmp_ne_u32_e32 vcc, 0, v2
	s_and_saveexec_b64 s[36:37], vcc
	s_cbranch_execz .LBB4_8154
; %bb.8147:                             ;   in Loop: Header=BB4_7680 Depth=3
	v_bfe_u32 v13, v2, 23, 8
	v_cmp_gt_u32_e64 s[28:29], s46, v13
	v_sub_u32_e32 v2, 0x71, v13
	v_cmp_eq_u32_e32 vcc, 0, v13
	v_cndmask_b32_e64 v2, 0, v2, s[28:29]
	v_mov_b32_e32 v14, 0x70
	v_cndmask_b32_e32 v14, v2, v14, vcc
	v_add_u32_e32 v2, 21, v14
	v_or_b32_e32 v6, 0x800000, v0
	v_lshlrev_b64 v[15:16], v2, -1
	v_cndmask_b32_e32 v0, v6, v0, vcc
	v_add_u32_e32 v2, 20, v14
	v_bfi_b32 v15, v15, 0, v0
	v_lshlrev_b64 v[19:20], v2, 1
	v_lshrrev_b64 v[0:1], v14, v[0:1]
	v_bfi_b32 v16, v16, 0, 0
	v_cmp_eq_u64_e64 s[28:29], v[15:16], v[19:20]
	v_mov_b32_e32 v2, v1
	v_mov_b32_e32 v1, v0
	s_and_saveexec_b64 s[38:39], s[28:29]
; %bb.8148:                             ;   in Loop: Header=BB4_7680 Depth=3
	v_bfe_u32 v1, v0, 21, 1
	v_add_co_u32_e64 v1, s[28:29], v0, v1
	v_add_co_u32_e64 v1, s[28:29], -1, v1
; %bb.8149:                             ;   in Loop: Header=BB4_7680 Depth=3
	s_or_b64 exec, exec, s[38:39]
	v_add_u32_e32 v2, 0xffffff81, v13
	v_mov_b32_e32 v6, 0xffffff82
	v_cndmask_b32_e32 v2, v2, v6, vcc
	v_lshrrev_b32_e32 v6, 23, v0
	v_add3_u32 v14, v14, v2, v6
	v_add_u32_e32 v13, 14, v14
	v_and_b32_e32 v1, 0x1fffff, v1
	v_add_u32_e32 v0, v1, v0
	v_mov_b32_e32 v1, v17
	v_cmp_ne_u32_e32 vcc, 0, v13
                                        ; implicit-def: $vgpr2
	s_and_saveexec_b64 s[28:29], vcc
	s_xor_b64 s[28:29], exec, s[28:29]
; %bb.8150:                             ;   in Loop: Header=BB4_7680 Depth=3
	v_cmp_lt_u64_e32 vcc, s[88:89], v[0:1]
	v_add_u32_e32 v2, 15, v14
	v_cndmask_b32_e64 v6, 0, 1, vcc
	v_lshrrev_b64 v[0:1], v6, v[0:1]
	v_cndmask_b32_e32 v2, v13, v2, vcc
; %bb.8151:                             ;   in Loop: Header=BB4_7680 Depth=3
	s_andn2_saveexec_b64 s[28:29], s[28:29]
; %bb.8152:                             ;   in Loop: Header=BB4_7680 Depth=3
	v_bfe_u32 v2, v0, 23, 1
; %bb.8153:                             ;   in Loop: Header=BB4_7680 Depth=3
	s_or_b64 exec, exec, s[28:29]
	v_lshrrev_b64 v[0:1], 21, v[0:1]
	v_cmp_gt_i32_e32 vcc, 32, v2
	v_cndmask_b32_e32 v1, 0, v1, vcc
	v_cndmask_b32_e32 v0, 3, v0, vcc
	v_cmp_eq_u64_e64 s[28:29], 0, v[0:1]
	v_min_i32_e32 v1, 31, v2
	v_lshlrev_b32_e32 v1, 2, v1
	v_cmp_eq_u32_e32 vcc, 0, v2
	v_and_b32_e32 v1, 0xfc, v1
	v_and_or_b32 v0, v0, 3, v1
	s_and_b64 s[28:29], vcc, s[28:29]
	v_cndmask_b32_e64 v0, v0, 0, s[28:29]
	v_or_b32_e32 v25, v0, v3
.LBB4_8154:                             ;   in Loop: Header=BB4_7680 Depth=3
	s_or_b64 exec, exec, s[36:37]
                                        ; implicit-def: $vgpr3
.LBB4_8155:                             ;   in Loop: Header=BB4_7680 Depth=3
	s_andn2_saveexec_b64 s[28:29], s[34:35]
; %bb.8156:                             ;   in Loop: Header=BB4_7680 Depth=3
	v_or_b32_e32 v25, 0x7b, v3
; %bb.8157:                             ;   in Loop: Header=BB4_7680 Depth=3
	s_or_b64 exec, exec, s[28:29]
                                        ; implicit-def: $vgpr2
                                        ; implicit-def: $vgpr0_vgpr1
.LBB4_8158:                             ;   in Loop: Header=BB4_7680 Depth=3
	s_andn2_saveexec_b64 s[28:29], s[30:31]
	s_cbranch_execz .LBB4_8164
; %bb.8159:                             ;   in Loop: Header=BB4_7680 Depth=3
	v_cmp_ne_u64_e32 vcc, 0, v[0:1]
                                        ; implicit-def: $vgpr25
	s_and_saveexec_b64 s[30:31], vcc
	s_xor_b64 vcc, exec, s[30:31]
; %bb.8160:                             ;   in Loop: Header=BB4_7680 Depth=3
	v_or_b32_sdwa v25, v2, s47 dst_sel:DWORD dst_unused:UNUSED_PAD src0_sel:BYTE_3 src1_sel:DWORD
                                        ; implicit-def: $vgpr2
; %bb.8161:                             ;   in Loop: Header=BB4_7680 Depth=3
	s_andn2_saveexec_b64 s[30:31], vcc
; %bb.8162:                             ;   in Loop: Header=BB4_7680 Depth=3
	v_cmp_lt_i32_e32 vcc, -1, v2
	v_bfrev_b32_e32 v0, 0.5
	v_cndmask_b32_e32 v25, v0, v52, vcc
; %bb.8163:                             ;   in Loop: Header=BB4_7680 Depth=3
	s_or_b64 exec, exec, s[30:31]
.LBB4_8164:                             ;   in Loop: Header=BB4_7680 Depth=3
	s_or_b64 exec, exec, s[28:29]
	v_lshrrev_b16_e32 v0, 8, v8
	v_cmp_ne_u16_e32 vcc, 0, v0
	v_mov_b32_e32 v1, 0
	s_and_saveexec_b64 s[28:29], vcc
	s_cbranch_execz .LBB4_8172
; %bb.8165:                             ;   in Loop: Header=BB4_7680 Depth=3
	v_cmp_ne_u16_e32 vcc, s96, v0
	v_bfrev_b32_e32 v1, 1
	s_and_saveexec_b64 s[30:31], vcc
	s_cbranch_execz .LBB4_8171
; %bb.8166:                             ;   in Loop: Header=BB4_7680 Depth=3
	v_and_b32_e32 v1, 0x7c, v0
	v_and_b32_e32 v2, 3, v0
	v_cmp_ne_u32_e32 vcc, s85, v1
                                        ; implicit-def: $vgpr1
	s_and_saveexec_b64 s[34:35], vcc
	s_xor_b64 s[34:35], exec, s[34:35]
	s_cbranch_execz .LBB4_8168
; %bb.8167:                             ;   in Loop: Header=BB4_7680 Depth=3
	v_ffbh_u32_e32 v6, v2
	v_min_u32_e32 v6, 32, v6
	v_mov_b32_e32 v1, v17
	v_subrev_u32_e32 v13, 29, v6
	v_bfe_u32 v3, v0, 2, 5
	v_lshlrev_b64 v[0:1], v13, v[0:1]
	v_cmp_eq_u32_e32 vcc, 0, v3
	v_and_b32_e32 v0, 3, v0
	v_sub_u32_e32 v1, 30, v6
	v_cndmask_b32_e32 v0, v2, v0, vcc
	v_lshlrev_b32_e32 v2, 16, v8
	v_cndmask_b32_e32 v1, v3, v1, vcc
	v_and_b32_e32 v2, 0x80000000, v2
	v_lshl_add_u32 v1, v1, 23, v2
	v_lshl_or_b32 v0, v0, 21, v1
	v_add_u32_e32 v1, 0x38000000, v0
                                        ; implicit-def: $vgpr2
.LBB4_8168:                             ;   in Loop: Header=BB4_7680 Depth=3
	s_andn2_saveexec_b64 s[34:35], s[34:35]
; %bb.8169:                             ;   in Loop: Header=BB4_7680 Depth=3
	v_cmp_lt_i16_e32 vcc, -1, v8
	v_mov_b32_e32 v0, 0xff800000
	v_mov_b32_e32 v1, 0x7f800000
	v_cndmask_b32_e32 v0, v0, v1, vcc
	v_cmp_eq_u32_e32 vcc, 0, v2
	v_mov_b32_e32 v1, 0x7f800001
	v_cndmask_b32_e32 v1, v1, v0, vcc
; %bb.8170:                             ;   in Loop: Header=BB4_7680 Depth=3
	s_or_b64 exec, exec, s[34:35]
.LBB4_8171:                             ;   in Loop: Header=BB4_7680 Depth=3
	s_or_b64 exec, exec, s[30:31]
.LBB4_8172:                             ;   in Loop: Header=BB4_7680 Depth=3
	s_or_b64 exec, exec, s[28:29]
	v_mul_f32_e32 v2, v12, v1
	v_and_b32_e32 v13, 0x7f800000, v2
	v_mov_b32_e32 v14, v17
	v_cmp_ne_u64_e32 vcc, s[76:77], v[13:14]
	v_and_b32_e32 v0, 0x7fffff, v2
	v_mov_b32_e32 v1, v17
                                        ; implicit-def: $vgpr35
	s_and_saveexec_b64 s[28:29], vcc
	s_xor_b64 s[30:31], exec, s[28:29]
	s_cbranch_execz .LBB4_8186
; %bb.8173:                             ;   in Loop: Header=BB4_7680 Depth=3
	v_and_b32_e32 v13, 0x7fffffff, v2
	v_mov_b32_e32 v14, v17
	v_cmp_gt_u64_e32 vcc, s[78:79], v[13:14]
	v_and_b32_sdwa v3, v2, s96 dst_sel:DWORD dst_unused:UNUSED_PAD src0_sel:BYTE_3 src1_sel:DWORD
                                        ; implicit-def: $vgpr35
	s_and_saveexec_b64 s[28:29], vcc
	s_xor_b64 s[34:35], exec, s[28:29]
	s_cbranch_execz .LBB4_8183
; %bb.8174:                             ;   in Loop: Header=BB4_7680 Depth=3
	v_mov_b32_e32 v35, 0
	v_cmp_ne_u32_e32 vcc, 0, v2
	s_and_saveexec_b64 s[36:37], vcc
	s_cbranch_execz .LBB4_8182
; %bb.8175:                             ;   in Loop: Header=BB4_7680 Depth=3
	v_bfe_u32 v13, v2, 23, 8
	v_cmp_gt_u32_e64 s[28:29], s46, v13
	v_sub_u32_e32 v2, 0x71, v13
	v_cmp_eq_u32_e32 vcc, 0, v13
	v_cndmask_b32_e64 v2, 0, v2, s[28:29]
	v_mov_b32_e32 v14, 0x70
	v_cndmask_b32_e32 v14, v2, v14, vcc
	v_add_u32_e32 v2, 21, v14
	v_or_b32_e32 v6, 0x800000, v0
	v_lshlrev_b64 v[15:16], v2, -1
	v_cndmask_b32_e32 v0, v6, v0, vcc
	v_add_u32_e32 v2, 20, v14
	v_bfi_b32 v15, v15, 0, v0
	v_lshlrev_b64 v[19:20], v2, 1
	v_lshrrev_b64 v[0:1], v14, v[0:1]
	v_bfi_b32 v16, v16, 0, 0
	v_cmp_eq_u64_e64 s[28:29], v[15:16], v[19:20]
	v_mov_b32_e32 v2, v1
	v_mov_b32_e32 v1, v0
	s_and_saveexec_b64 s[38:39], s[28:29]
; %bb.8176:                             ;   in Loop: Header=BB4_7680 Depth=3
	v_bfe_u32 v1, v0, 21, 1
	v_add_co_u32_e64 v1, s[28:29], v0, v1
	v_add_co_u32_e64 v1, s[28:29], -1, v1
; %bb.8177:                             ;   in Loop: Header=BB4_7680 Depth=3
	s_or_b64 exec, exec, s[38:39]
	v_add_u32_e32 v2, 0xffffff81, v13
	v_mov_b32_e32 v6, 0xffffff82
	v_cndmask_b32_e32 v2, v2, v6, vcc
	v_lshrrev_b32_e32 v6, 23, v0
	v_add3_u32 v14, v14, v2, v6
	v_add_u32_e32 v13, 14, v14
	v_and_b32_e32 v1, 0x1fffff, v1
	v_add_u32_e32 v0, v1, v0
	v_mov_b32_e32 v1, v17
	v_cmp_ne_u32_e32 vcc, 0, v13
                                        ; implicit-def: $vgpr2
	s_and_saveexec_b64 s[28:29], vcc
	s_xor_b64 s[28:29], exec, s[28:29]
; %bb.8178:                             ;   in Loop: Header=BB4_7680 Depth=3
	v_cmp_lt_u64_e32 vcc, s[88:89], v[0:1]
	v_add_u32_e32 v2, 15, v14
	v_cndmask_b32_e64 v6, 0, 1, vcc
	v_lshrrev_b64 v[0:1], v6, v[0:1]
	v_cndmask_b32_e32 v2, v13, v2, vcc
; %bb.8179:                             ;   in Loop: Header=BB4_7680 Depth=3
	s_andn2_saveexec_b64 s[28:29], s[28:29]
; %bb.8180:                             ;   in Loop: Header=BB4_7680 Depth=3
	v_bfe_u32 v2, v0, 23, 1
; %bb.8181:                             ;   in Loop: Header=BB4_7680 Depth=3
	s_or_b64 exec, exec, s[28:29]
	v_lshrrev_b64 v[0:1], 21, v[0:1]
	v_cmp_gt_i32_e32 vcc, 32, v2
	v_cndmask_b32_e32 v1, 0, v1, vcc
	v_cndmask_b32_e32 v0, 3, v0, vcc
	v_cmp_eq_u64_e64 s[28:29], 0, v[0:1]
	v_min_i32_e32 v1, 31, v2
	v_lshlrev_b32_e32 v1, 2, v1
	v_cmp_eq_u32_e32 vcc, 0, v2
	v_and_b32_e32 v1, 0xfc, v1
	v_and_or_b32 v0, v0, 3, v1
	s_and_b64 s[28:29], vcc, s[28:29]
	v_cndmask_b32_e64 v0, v0, 0, s[28:29]
	v_or_b32_e32 v35, v0, v3
.LBB4_8182:                             ;   in Loop: Header=BB4_7680 Depth=3
	s_or_b64 exec, exec, s[36:37]
                                        ; implicit-def: $vgpr3
.LBB4_8183:                             ;   in Loop: Header=BB4_7680 Depth=3
	s_andn2_saveexec_b64 s[28:29], s[34:35]
; %bb.8184:                             ;   in Loop: Header=BB4_7680 Depth=3
	v_or_b32_e32 v35, 0x7b, v3
; %bb.8185:                             ;   in Loop: Header=BB4_7680 Depth=3
	s_or_b64 exec, exec, s[28:29]
                                        ; implicit-def: $vgpr2
                                        ; implicit-def: $vgpr0_vgpr1
.LBB4_8186:                             ;   in Loop: Header=BB4_7680 Depth=3
	s_andn2_saveexec_b64 s[28:29], s[30:31]
	s_cbranch_execz .LBB4_8192
; %bb.8187:                             ;   in Loop: Header=BB4_7680 Depth=3
	v_cmp_ne_u64_e32 vcc, 0, v[0:1]
                                        ; implicit-def: $vgpr35
	s_and_saveexec_b64 s[30:31], vcc
	s_xor_b64 vcc, exec, s[30:31]
; %bb.8188:                             ;   in Loop: Header=BB4_7680 Depth=3
	v_or_b32_sdwa v35, v2, s47 dst_sel:DWORD dst_unused:UNUSED_PAD src0_sel:BYTE_3 src1_sel:DWORD
                                        ; implicit-def: $vgpr2
; %bb.8189:                             ;   in Loop: Header=BB4_7680 Depth=3
	s_andn2_saveexec_b64 s[30:31], vcc
; %bb.8190:                             ;   in Loop: Header=BB4_7680 Depth=3
	v_cmp_lt_i32_e32 vcc, -1, v2
	v_bfrev_b32_e32 v0, 0.5
	v_cndmask_b32_e32 v35, v0, v52, vcc
; %bb.8191:                             ;   in Loop: Header=BB4_7680 Depth=3
	s_or_b64 exec, exec, s[30:31]
.LBB4_8192:                             ;   in Loop: Header=BB4_7680 Depth=3
	s_or_b64 exec, exec, s[28:29]
	v_lshrrev_b32_e32 v0, 16, v8
	v_cmp_ne_u16_sdwa vcc, v0, v17 src0_sel:BYTE_0 src1_sel:DWORD
	v_mov_b32_e32 v1, 0
	s_and_saveexec_b64 s[28:29], vcc
	s_cbranch_execz .LBB4_8200
; %bb.8193:                             ;   in Loop: Header=BB4_7680 Depth=3
	v_cmp_ne_u16_sdwa vcc, v0, s96 src0_sel:BYTE_0 src1_sel:DWORD
	v_bfrev_b32_e32 v1, 1
	s_and_saveexec_b64 s[30:31], vcc
	s_cbranch_execz .LBB4_8199
; %bb.8194:                             ;   in Loop: Header=BB4_7680 Depth=3
	v_and_b32_e32 v1, 0x7c0000, v8
	v_bfe_u32 v2, v8, 16, 2
	v_cmp_ne_u32_e32 vcc, s44, v1
                                        ; implicit-def: $vgpr1
	s_and_saveexec_b64 s[34:35], vcc
	s_xor_b64 s[34:35], exec, s[34:35]
	s_cbranch_execz .LBB4_8196
; %bb.8195:                             ;   in Loop: Header=BB4_7680 Depth=3
	v_ffbh_u32_e32 v1, v2
	v_min_u32_e32 v6, 32, v1
	v_subrev_u32_e32 v1, 29, v6
	v_lshlrev_b64 v[0:1], v1, v[0:1]
	v_bfe_u32 v3, v8, 18, 5
	v_and_b32_e32 v0, 3, v0
	v_cmp_eq_u32_e32 vcc, 0, v3
	v_sub_u32_e32 v1, 30, v6
	v_cndmask_b32_e32 v0, v2, v0, vcc
	v_lshlrev_b32_e32 v2, 8, v8
	v_cndmask_b32_e32 v1, v3, v1, vcc
	v_and_b32_e32 v2, 0x80000000, v2
	v_lshl_add_u32 v1, v1, 23, v2
	v_lshl_or_b32 v0, v0, 21, v1
	v_add_u32_e32 v1, 0x38000000, v0
                                        ; implicit-def: $vgpr2
                                        ; implicit-def: $vgpr0
.LBB4_8196:                             ;   in Loop: Header=BB4_7680 Depth=3
	s_andn2_saveexec_b64 s[34:35], s[34:35]
; %bb.8197:                             ;   in Loop: Header=BB4_7680 Depth=3
	v_mov_b32_e32 v1, -1
	v_cmp_gt_i16_sdwa vcc, sext(v0), v1 src0_sel:BYTE_0 src1_sel:DWORD
	v_mov_b32_e32 v0, 0xff800000
	v_mov_b32_e32 v1, 0x7f800000
	v_cndmask_b32_e32 v0, v0, v1, vcc
	v_cmp_eq_u32_e32 vcc, 0, v2
	v_mov_b32_e32 v1, 0x7f800001
	v_cndmask_b32_e32 v1, v1, v0, vcc
; %bb.8198:                             ;   in Loop: Header=BB4_7680 Depth=3
	s_or_b64 exec, exec, s[34:35]
.LBB4_8199:                             ;   in Loop: Header=BB4_7680 Depth=3
	s_or_b64 exec, exec, s[30:31]
.LBB4_8200:                             ;   in Loop: Header=BB4_7680 Depth=3
	s_or_b64 exec, exec, s[28:29]
	v_mul_f32_e32 v2, v12, v1
	v_and_b32_e32 v13, 0x7f800000, v2
	v_mov_b32_e32 v14, v17
	v_cmp_ne_u64_e32 vcc, s[76:77], v[13:14]
	v_and_b32_e32 v0, 0x7fffff, v2
	v_mov_b32_e32 v1, v17
                                        ; implicit-def: $vgpr39
	s_and_saveexec_b64 s[28:29], vcc
	s_xor_b64 s[30:31], exec, s[28:29]
	s_cbranch_execz .LBB4_8214
; %bb.8201:                             ;   in Loop: Header=BB4_7680 Depth=3
	v_and_b32_e32 v13, 0x7fffffff, v2
	v_mov_b32_e32 v14, v17
	v_cmp_gt_u64_e32 vcc, s[78:79], v[13:14]
	v_and_b32_sdwa v3, v2, s96 dst_sel:DWORD dst_unused:UNUSED_PAD src0_sel:BYTE_3 src1_sel:DWORD
                                        ; implicit-def: $vgpr39
	s_and_saveexec_b64 s[28:29], vcc
	s_xor_b64 s[34:35], exec, s[28:29]
	s_cbranch_execz .LBB4_8211
; %bb.8202:                             ;   in Loop: Header=BB4_7680 Depth=3
	v_mov_b32_e32 v39, 0
	v_cmp_ne_u32_e32 vcc, 0, v2
	s_and_saveexec_b64 s[36:37], vcc
	s_cbranch_execz .LBB4_8210
; %bb.8203:                             ;   in Loop: Header=BB4_7680 Depth=3
	v_bfe_u32 v13, v2, 23, 8
	v_cmp_gt_u32_e64 s[28:29], s46, v13
	v_sub_u32_e32 v2, 0x71, v13
	v_cmp_eq_u32_e32 vcc, 0, v13
	v_cndmask_b32_e64 v2, 0, v2, s[28:29]
	v_mov_b32_e32 v14, 0x70
	v_cndmask_b32_e32 v14, v2, v14, vcc
	v_add_u32_e32 v2, 21, v14
	v_or_b32_e32 v6, 0x800000, v0
	v_lshlrev_b64 v[15:16], v2, -1
	v_cndmask_b32_e32 v0, v6, v0, vcc
	v_add_u32_e32 v2, 20, v14
	v_bfi_b32 v15, v15, 0, v0
	v_lshlrev_b64 v[19:20], v2, 1
	v_lshrrev_b64 v[0:1], v14, v[0:1]
	v_bfi_b32 v16, v16, 0, 0
	v_cmp_eq_u64_e64 s[28:29], v[15:16], v[19:20]
	v_mov_b32_e32 v2, v1
	v_mov_b32_e32 v1, v0
	s_and_saveexec_b64 s[38:39], s[28:29]
; %bb.8204:                             ;   in Loop: Header=BB4_7680 Depth=3
	v_bfe_u32 v1, v0, 21, 1
	v_add_co_u32_e64 v1, s[28:29], v0, v1
	v_add_co_u32_e64 v1, s[28:29], -1, v1
; %bb.8205:                             ;   in Loop: Header=BB4_7680 Depth=3
	s_or_b64 exec, exec, s[38:39]
	v_add_u32_e32 v2, 0xffffff81, v13
	v_mov_b32_e32 v6, 0xffffff82
	v_cndmask_b32_e32 v2, v2, v6, vcc
	v_lshrrev_b32_e32 v6, 23, v0
	v_add3_u32 v14, v14, v2, v6
	v_add_u32_e32 v13, 14, v14
	v_and_b32_e32 v1, 0x1fffff, v1
	v_add_u32_e32 v0, v1, v0
	v_mov_b32_e32 v1, v17
	v_cmp_ne_u32_e32 vcc, 0, v13
                                        ; implicit-def: $vgpr2
	s_and_saveexec_b64 s[28:29], vcc
	s_xor_b64 s[28:29], exec, s[28:29]
; %bb.8206:                             ;   in Loop: Header=BB4_7680 Depth=3
	v_cmp_lt_u64_e32 vcc, s[88:89], v[0:1]
	v_add_u32_e32 v2, 15, v14
	v_cndmask_b32_e64 v6, 0, 1, vcc
	v_lshrrev_b64 v[0:1], v6, v[0:1]
	v_cndmask_b32_e32 v2, v13, v2, vcc
; %bb.8207:                             ;   in Loop: Header=BB4_7680 Depth=3
	s_andn2_saveexec_b64 s[28:29], s[28:29]
; %bb.8208:                             ;   in Loop: Header=BB4_7680 Depth=3
	v_bfe_u32 v2, v0, 23, 1
; %bb.8209:                             ;   in Loop: Header=BB4_7680 Depth=3
	s_or_b64 exec, exec, s[28:29]
	v_lshrrev_b64 v[0:1], 21, v[0:1]
	v_cmp_gt_i32_e32 vcc, 32, v2
	v_cndmask_b32_e32 v1, 0, v1, vcc
	v_cndmask_b32_e32 v0, 3, v0, vcc
	v_cmp_eq_u64_e64 s[28:29], 0, v[0:1]
	v_min_i32_e32 v1, 31, v2
	v_lshlrev_b32_e32 v1, 2, v1
	v_cmp_eq_u32_e32 vcc, 0, v2
	v_and_b32_e32 v1, 0xfc, v1
	v_and_or_b32 v0, v0, 3, v1
	s_and_b64 s[28:29], vcc, s[28:29]
	v_cndmask_b32_e64 v0, v0, 0, s[28:29]
	v_or_b32_e32 v39, v0, v3
.LBB4_8210:                             ;   in Loop: Header=BB4_7680 Depth=3
	s_or_b64 exec, exec, s[36:37]
                                        ; implicit-def: $vgpr3
.LBB4_8211:                             ;   in Loop: Header=BB4_7680 Depth=3
	s_andn2_saveexec_b64 s[28:29], s[34:35]
; %bb.8212:                             ;   in Loop: Header=BB4_7680 Depth=3
	v_or_b32_e32 v39, 0x7b, v3
; %bb.8213:                             ;   in Loop: Header=BB4_7680 Depth=3
	s_or_b64 exec, exec, s[28:29]
                                        ; implicit-def: $vgpr2
                                        ; implicit-def: $vgpr0_vgpr1
.LBB4_8214:                             ;   in Loop: Header=BB4_7680 Depth=3
	s_andn2_saveexec_b64 s[28:29], s[30:31]
	s_cbranch_execz .LBB4_8220
; %bb.8215:                             ;   in Loop: Header=BB4_7680 Depth=3
	v_cmp_ne_u64_e32 vcc, 0, v[0:1]
                                        ; implicit-def: $vgpr39
	s_and_saveexec_b64 s[30:31], vcc
	s_xor_b64 vcc, exec, s[30:31]
; %bb.8216:                             ;   in Loop: Header=BB4_7680 Depth=3
	v_or_b32_sdwa v39, v2, s47 dst_sel:DWORD dst_unused:UNUSED_PAD src0_sel:BYTE_3 src1_sel:DWORD
                                        ; implicit-def: $vgpr2
; %bb.8217:                             ;   in Loop: Header=BB4_7680 Depth=3
	s_andn2_saveexec_b64 s[30:31], vcc
; %bb.8218:                             ;   in Loop: Header=BB4_7680 Depth=3
	v_cmp_lt_i32_e32 vcc, -1, v2
	v_bfrev_b32_e32 v0, 0.5
	v_cndmask_b32_e32 v39, v0, v52, vcc
; %bb.8219:                             ;   in Loop: Header=BB4_7680 Depth=3
	s_or_b64 exec, exec, s[30:31]
.LBB4_8220:                             ;   in Loop: Header=BB4_7680 Depth=3
	s_or_b64 exec, exec, s[28:29]
	v_cmp_lt_u32_e32 vcc, s57, v8
	v_mov_b32_e32 v1, 0
	s_and_saveexec_b64 s[28:29], vcc
	s_cbranch_execz .LBB4_8228
; %bb.8221:                             ;   in Loop: Header=BB4_7680 Depth=3
	v_lshrrev_b32_e32 v0, 24, v8
	v_cmp_ne_u32_e32 vcc, s96, v0
	v_bfrev_b32_e32 v1, 1
	s_and_saveexec_b64 s[30:31], vcc
	s_cbranch_execz .LBB4_8227
; %bb.8222:                             ;   in Loop: Header=BB4_7680 Depth=3
	v_and_b32_e32 v1, 0x7c000000, v8
	v_bfe_u32 v2, v8, 24, 2
	v_cmp_ne_u32_e32 vcc, s45, v1
                                        ; implicit-def: $vgpr1
	s_and_saveexec_b64 s[34:35], vcc
	s_xor_b64 s[34:35], exec, s[34:35]
	s_cbranch_execz .LBB4_8224
; %bb.8223:                             ;   in Loop: Header=BB4_7680 Depth=3
	v_ffbh_u32_e32 v1, v2
	v_min_u32_e32 v6, 32, v1
	v_subrev_u32_e32 v1, 29, v6
	v_lshlrev_b64 v[0:1], v1, v[0:1]
	v_bfe_u32 v3, v8, 26, 5
	v_sub_u32_e32 v1, 30, v6
	v_and_b32_e32 v0, 3, v0
	v_cmp_eq_u32_e32 vcc, 0, v3
	v_cndmask_b32_e32 v1, v3, v1, vcc
	v_cndmask_b32_e32 v0, v2, v0, vcc
	v_and_b32_e32 v2, 0x80000000, v8
	v_lshl_add_u32 v1, v1, 23, v2
	v_lshl_or_b32 v0, v0, 21, v1
	v_add_u32_e32 v1, 0x38000000, v0
                                        ; implicit-def: $vgpr2
.LBB4_8224:                             ;   in Loop: Header=BB4_7680 Depth=3
	s_andn2_saveexec_b64 s[34:35], s[34:35]
; %bb.8225:                             ;   in Loop: Header=BB4_7680 Depth=3
	v_cmp_lt_i32_e32 vcc, -1, v8
	v_mov_b32_e32 v0, 0xff800000
	v_mov_b32_e32 v1, 0x7f800000
	v_cndmask_b32_e32 v0, v0, v1, vcc
	v_cmp_eq_u32_e32 vcc, 0, v2
	v_mov_b32_e32 v1, 0x7f800001
	v_cndmask_b32_e32 v1, v1, v0, vcc
; %bb.8226:                             ;   in Loop: Header=BB4_7680 Depth=3
	s_or_b64 exec, exec, s[34:35]
.LBB4_8227:                             ;   in Loop: Header=BB4_7680 Depth=3
	s_or_b64 exec, exec, s[30:31]
.LBB4_8228:                             ;   in Loop: Header=BB4_7680 Depth=3
	s_or_b64 exec, exec, s[28:29]
	v_mul_f32_e32 v2, v12, v1
	v_and_b32_e32 v13, 0x7f800000, v2
	v_mov_b32_e32 v14, v17
	v_cmp_ne_u64_e32 vcc, s[76:77], v[13:14]
	v_and_b32_e32 v0, 0x7fffff, v2
	v_mov_b32_e32 v1, v17
                                        ; implicit-def: $vgpr53
	s_and_saveexec_b64 s[28:29], vcc
	s_xor_b64 s[30:31], exec, s[28:29]
	s_cbranch_execz .LBB4_8242
; %bb.8229:                             ;   in Loop: Header=BB4_7680 Depth=3
	v_and_b32_e32 v13, 0x7fffffff, v2
	v_mov_b32_e32 v14, v17
	v_cmp_gt_u64_e32 vcc, s[78:79], v[13:14]
	v_and_b32_sdwa v3, v2, s96 dst_sel:DWORD dst_unused:UNUSED_PAD src0_sel:BYTE_3 src1_sel:DWORD
                                        ; implicit-def: $vgpr53
	s_and_saveexec_b64 s[28:29], vcc
	s_xor_b64 s[34:35], exec, s[28:29]
	s_cbranch_execz .LBB4_8239
; %bb.8230:                             ;   in Loop: Header=BB4_7680 Depth=3
	v_mov_b32_e32 v53, 0
	v_cmp_ne_u32_e32 vcc, 0, v2
	s_and_saveexec_b64 s[36:37], vcc
	s_cbranch_execz .LBB4_8238
; %bb.8231:                             ;   in Loop: Header=BB4_7680 Depth=3
	v_bfe_u32 v13, v2, 23, 8
	v_cmp_gt_u32_e64 s[28:29], s46, v13
	v_sub_u32_e32 v2, 0x71, v13
	v_cmp_eq_u32_e32 vcc, 0, v13
	v_cndmask_b32_e64 v2, 0, v2, s[28:29]
	v_mov_b32_e32 v14, 0x70
	v_cndmask_b32_e32 v14, v2, v14, vcc
	v_add_u32_e32 v2, 21, v14
	v_or_b32_e32 v6, 0x800000, v0
	v_lshlrev_b64 v[15:16], v2, -1
	v_cndmask_b32_e32 v0, v6, v0, vcc
	v_add_u32_e32 v2, 20, v14
	v_bfi_b32 v15, v15, 0, v0
	v_lshlrev_b64 v[19:20], v2, 1
	v_lshrrev_b64 v[0:1], v14, v[0:1]
	v_bfi_b32 v16, v16, 0, 0
	v_cmp_eq_u64_e64 s[28:29], v[15:16], v[19:20]
	v_mov_b32_e32 v2, v1
	v_mov_b32_e32 v1, v0
	s_and_saveexec_b64 s[38:39], s[28:29]
; %bb.8232:                             ;   in Loop: Header=BB4_7680 Depth=3
	v_bfe_u32 v1, v0, 21, 1
	v_add_co_u32_e64 v1, s[28:29], v0, v1
	v_add_co_u32_e64 v1, s[28:29], -1, v1
; %bb.8233:                             ;   in Loop: Header=BB4_7680 Depth=3
	s_or_b64 exec, exec, s[38:39]
	v_add_u32_e32 v2, 0xffffff81, v13
	v_mov_b32_e32 v6, 0xffffff82
	v_cndmask_b32_e32 v2, v2, v6, vcc
	v_lshrrev_b32_e32 v6, 23, v0
	v_add3_u32 v14, v14, v2, v6
	v_add_u32_e32 v13, 14, v14
	v_and_b32_e32 v1, 0x1fffff, v1
	v_add_u32_e32 v0, v1, v0
	v_mov_b32_e32 v1, v17
	v_cmp_ne_u32_e32 vcc, 0, v13
                                        ; implicit-def: $vgpr2
	s_and_saveexec_b64 s[28:29], vcc
	s_xor_b64 s[28:29], exec, s[28:29]
; %bb.8234:                             ;   in Loop: Header=BB4_7680 Depth=3
	v_cmp_lt_u64_e32 vcc, s[88:89], v[0:1]
	v_add_u32_e32 v2, 15, v14
	v_cndmask_b32_e64 v6, 0, 1, vcc
	v_lshrrev_b64 v[0:1], v6, v[0:1]
	v_cndmask_b32_e32 v2, v13, v2, vcc
; %bb.8235:                             ;   in Loop: Header=BB4_7680 Depth=3
	s_andn2_saveexec_b64 s[28:29], s[28:29]
; %bb.8236:                             ;   in Loop: Header=BB4_7680 Depth=3
	v_bfe_u32 v2, v0, 23, 1
; %bb.8237:                             ;   in Loop: Header=BB4_7680 Depth=3
	s_or_b64 exec, exec, s[28:29]
	v_lshrrev_b64 v[0:1], 21, v[0:1]
	v_cmp_gt_i32_e32 vcc, 32, v2
	v_cndmask_b32_e32 v1, 0, v1, vcc
	v_cndmask_b32_e32 v0, 3, v0, vcc
	v_cmp_eq_u64_e64 s[28:29], 0, v[0:1]
	v_min_i32_e32 v1, 31, v2
	v_lshlrev_b32_e32 v1, 2, v1
	v_cmp_eq_u32_e32 vcc, 0, v2
	v_and_b32_e32 v1, 0xfc, v1
	v_and_or_b32 v0, v0, 3, v1
	s_and_b64 s[28:29], vcc, s[28:29]
	v_cndmask_b32_e64 v0, v0, 0, s[28:29]
	v_or_b32_e32 v53, v0, v3
.LBB4_8238:                             ;   in Loop: Header=BB4_7680 Depth=3
	s_or_b64 exec, exec, s[36:37]
                                        ; implicit-def: $vgpr3
.LBB4_8239:                             ;   in Loop: Header=BB4_7680 Depth=3
	s_andn2_saveexec_b64 s[28:29], s[34:35]
; %bb.8240:                             ;   in Loop: Header=BB4_7680 Depth=3
	v_or_b32_e32 v53, 0x7b, v3
; %bb.8241:                             ;   in Loop: Header=BB4_7680 Depth=3
	s_or_b64 exec, exec, s[28:29]
                                        ; implicit-def: $vgpr2
                                        ; implicit-def: $vgpr0_vgpr1
.LBB4_8242:                             ;   in Loop: Header=BB4_7680 Depth=3
	s_andn2_saveexec_b64 s[28:29], s[30:31]
	s_cbranch_execz .LBB4_8248
; %bb.8243:                             ;   in Loop: Header=BB4_7680 Depth=3
	v_cmp_ne_u64_e32 vcc, 0, v[0:1]
                                        ; implicit-def: $vgpr53
	s_and_saveexec_b64 s[30:31], vcc
	s_xor_b64 vcc, exec, s[30:31]
; %bb.8244:                             ;   in Loop: Header=BB4_7680 Depth=3
	v_or_b32_sdwa v53, v2, s47 dst_sel:DWORD dst_unused:UNUSED_PAD src0_sel:BYTE_3 src1_sel:DWORD
                                        ; implicit-def: $vgpr2
; %bb.8245:                             ;   in Loop: Header=BB4_7680 Depth=3
	s_andn2_saveexec_b64 s[30:31], vcc
; %bb.8246:                             ;   in Loop: Header=BB4_7680 Depth=3
	v_cmp_lt_i32_e32 vcc, -1, v2
	v_bfrev_b32_e32 v0, 0.5
	v_cndmask_b32_e32 v53, v0, v52, vcc
; %bb.8247:                             ;   in Loop: Header=BB4_7680 Depth=3
	s_or_b64 exec, exec, s[30:31]
.LBB4_8248:                             ;   in Loop: Header=BB4_7680 Depth=3
	s_or_b64 exec, exec, s[28:29]
	v_mov_b32_e32 v0, v9
	v_mov_b32_e32 v1, v17
	v_cmp_ne_u16_sdwa vcc, v9, v17 src0_sel:BYTE_0 src1_sel:DWORD
	v_mov_b32_e32 v2, 0
	s_and_saveexec_b64 s[28:29], vcc
	s_cbranch_execz .LBB4_8256
; %bb.8249:                             ;   in Loop: Header=BB4_7680 Depth=3
	v_cmp_ne_u16_sdwa vcc, v9, s96 src0_sel:BYTE_0 src1_sel:DWORD
	v_bfrev_b32_e32 v2, 1
	s_and_saveexec_b64 s[30:31], vcc
	s_cbranch_execz .LBB4_8255
; %bb.8250:                             ;   in Loop: Header=BB4_7680 Depth=3
	v_and_b32_e32 v2, 0x7c, v9
	v_and_b32_e32 v3, 3, v9
	v_cmp_ne_u32_e32 vcc, s85, v2
                                        ; implicit-def: $vgpr2
	s_and_saveexec_b64 s[34:35], vcc
	s_xor_b64 s[34:35], exec, s[34:35]
	s_cbranch_execz .LBB4_8252
; %bb.8251:                             ;   in Loop: Header=BB4_7680 Depth=3
	v_ffbh_u32_e32 v2, v3
	v_min_u32_e32 v13, 32, v2
	v_subrev_u32_e32 v2, 29, v13
	v_lshlrev_b64 v[1:2], v2, v[0:1]
	v_bfe_u32 v6, v9, 2, 5
	v_and_b32_e32 v1, 3, v1
	v_cmp_eq_u32_e32 vcc, 0, v6
	v_sub_u32_e32 v2, 30, v13
	v_cndmask_b32_e32 v1, v3, v1, vcc
	v_lshlrev_b32_e32 v3, 24, v9
	v_cndmask_b32_e32 v2, v6, v2, vcc
	v_and_b32_e32 v3, 0x80000000, v3
	v_lshl_add_u32 v2, v2, 23, v3
	v_lshl_or_b32 v1, v1, 21, v2
	v_add_u32_e32 v2, 0x38000000, v1
                                        ; implicit-def: $vgpr3
.LBB4_8252:                             ;   in Loop: Header=BB4_7680 Depth=3
	s_andn2_saveexec_b64 s[34:35], s[34:35]
; %bb.8253:                             ;   in Loop: Header=BB4_7680 Depth=3
	v_mov_b32_e32 v1, -1
	v_cmp_gt_i16_sdwa vcc, sext(v9), v1 src0_sel:BYTE_0 src1_sel:DWORD
	v_mov_b32_e32 v1, 0xff800000
	v_mov_b32_e32 v2, 0x7f800000
	v_cndmask_b32_e32 v1, v1, v2, vcc
	v_cmp_eq_u32_e32 vcc, 0, v3
	v_mov_b32_e32 v2, 0x7f800001
	v_cndmask_b32_e32 v2, v2, v1, vcc
; %bb.8254:                             ;   in Loop: Header=BB4_7680 Depth=3
	s_or_b64 exec, exec, s[34:35]
.LBB4_8255:                             ;   in Loop: Header=BB4_7680 Depth=3
	s_or_b64 exec, exec, s[30:31]
.LBB4_8256:                             ;   in Loop: Header=BB4_7680 Depth=3
	s_or_b64 exec, exec, s[28:29]
	v_mul_f32_e32 v3, v12, v2
	v_and_b32_e32 v13, 0x7f800000, v3
	v_mov_b32_e32 v14, v17
	v_cmp_ne_u64_e32 vcc, s[76:77], v[13:14]
	v_and_b32_e32 v1, 0x7fffff, v3
	v_mov_b32_e32 v2, v17
                                        ; implicit-def: $vgpr21
	s_and_saveexec_b64 s[28:29], vcc
	s_xor_b64 s[30:31], exec, s[28:29]
	s_cbranch_execz .LBB4_8270
; %bb.8257:                             ;   in Loop: Header=BB4_7680 Depth=3
	v_and_b32_e32 v13, 0x7fffffff, v3
	v_mov_b32_e32 v14, v17
	v_cmp_gt_u64_e32 vcc, s[78:79], v[13:14]
	v_and_b32_sdwa v13, v3, s96 dst_sel:DWORD dst_unused:UNUSED_PAD src0_sel:BYTE_3 src1_sel:DWORD
                                        ; implicit-def: $vgpr21
	s_and_saveexec_b64 s[28:29], vcc
	s_xor_b64 s[34:35], exec, s[28:29]
	s_cbranch_execz .LBB4_8267
; %bb.8258:                             ;   in Loop: Header=BB4_7680 Depth=3
	v_mov_b32_e32 v21, 0
	v_cmp_ne_u32_e32 vcc, 0, v3
	s_and_saveexec_b64 s[36:37], vcc
	s_cbranch_execz .LBB4_8266
; %bb.8259:                             ;   in Loop: Header=BB4_7680 Depth=3
	v_bfe_u32 v14, v3, 23, 8
	v_cmp_gt_u32_e64 s[28:29], s46, v14
	v_sub_u32_e32 v3, 0x71, v14
	v_cmp_eq_u32_e32 vcc, 0, v14
	v_cndmask_b32_e64 v3, 0, v3, s[28:29]
	v_mov_b32_e32 v15, 0x70
	v_cndmask_b32_e32 v15, v3, v15, vcc
	v_add_u32_e32 v3, 21, v15
	v_or_b32_e32 v6, 0x800000, v1
	v_lshlrev_b64 v[19:20], v3, -1
	v_cndmask_b32_e32 v1, v6, v1, vcc
	v_add_u32_e32 v3, 20, v15
	v_bfi_b32 v19, v19, 0, v1
	v_lshlrev_b64 v[23:24], v3, 1
	v_lshrrev_b64 v[1:2], v15, v[1:2]
	v_bfi_b32 v20, v20, 0, 0
	v_cmp_eq_u64_e64 s[28:29], v[19:20], v[23:24]
	v_mov_b32_e32 v3, v2
	v_mov_b32_e32 v2, v1
	s_and_saveexec_b64 s[38:39], s[28:29]
; %bb.8260:                             ;   in Loop: Header=BB4_7680 Depth=3
	v_bfe_u32 v2, v1, 21, 1
	v_add_co_u32_e64 v2, s[28:29], v1, v2
	v_add_co_u32_e64 v2, s[28:29], -1, v2
; %bb.8261:                             ;   in Loop: Header=BB4_7680 Depth=3
	s_or_b64 exec, exec, s[38:39]
	v_add_u32_e32 v3, 0xffffff81, v14
	v_mov_b32_e32 v6, 0xffffff82
	v_cndmask_b32_e32 v3, v3, v6, vcc
	v_lshrrev_b32_e32 v6, 23, v1
	v_add3_u32 v15, v15, v3, v6
	v_add_u32_e32 v14, 14, v15
	v_and_b32_e32 v2, 0x1fffff, v2
	v_add_u32_e32 v1, v2, v1
	v_mov_b32_e32 v2, v17
	v_cmp_ne_u32_e32 vcc, 0, v14
                                        ; implicit-def: $vgpr3
	s_and_saveexec_b64 s[28:29], vcc
	s_xor_b64 s[28:29], exec, s[28:29]
; %bb.8262:                             ;   in Loop: Header=BB4_7680 Depth=3
	v_cmp_lt_u64_e32 vcc, s[88:89], v[1:2]
	v_add_u32_e32 v3, 15, v15
	v_cndmask_b32_e64 v6, 0, 1, vcc
	v_lshrrev_b64 v[1:2], v6, v[1:2]
	v_cndmask_b32_e32 v3, v14, v3, vcc
; %bb.8263:                             ;   in Loop: Header=BB4_7680 Depth=3
	s_andn2_saveexec_b64 s[28:29], s[28:29]
; %bb.8264:                             ;   in Loop: Header=BB4_7680 Depth=3
	v_bfe_u32 v3, v1, 23, 1
; %bb.8265:                             ;   in Loop: Header=BB4_7680 Depth=3
	s_or_b64 exec, exec, s[28:29]
	v_lshrrev_b64 v[1:2], 21, v[1:2]
	v_cmp_gt_i32_e32 vcc, 32, v3
	v_cndmask_b32_e32 v2, 0, v2, vcc
	v_cndmask_b32_e32 v1, 3, v1, vcc
	v_cmp_eq_u64_e64 s[28:29], 0, v[1:2]
	v_min_i32_e32 v2, 31, v3
	v_lshlrev_b32_e32 v2, 2, v2
	v_cmp_eq_u32_e32 vcc, 0, v3
	v_and_b32_e32 v2, 0xfc, v2
	v_and_or_b32 v1, v1, 3, v2
	s_and_b64 s[28:29], vcc, s[28:29]
	v_cndmask_b32_e64 v1, v1, 0, s[28:29]
	v_or_b32_e32 v21, v1, v13
.LBB4_8266:                             ;   in Loop: Header=BB4_7680 Depth=3
	s_or_b64 exec, exec, s[36:37]
                                        ; implicit-def: $vgpr13
.LBB4_8267:                             ;   in Loop: Header=BB4_7680 Depth=3
	s_andn2_saveexec_b64 s[28:29], s[34:35]
; %bb.8268:                             ;   in Loop: Header=BB4_7680 Depth=3
	v_or_b32_e32 v21, 0x7b, v13
; %bb.8269:                             ;   in Loop: Header=BB4_7680 Depth=3
	s_or_b64 exec, exec, s[28:29]
                                        ; implicit-def: $vgpr3
                                        ; implicit-def: $vgpr1_vgpr2
.LBB4_8270:                             ;   in Loop: Header=BB4_7680 Depth=3
	s_andn2_saveexec_b64 s[28:29], s[30:31]
	s_cbranch_execz .LBB4_8276
; %bb.8271:                             ;   in Loop: Header=BB4_7680 Depth=3
	v_cmp_ne_u64_e32 vcc, 0, v[1:2]
                                        ; implicit-def: $vgpr21
	s_and_saveexec_b64 s[30:31], vcc
	s_xor_b64 vcc, exec, s[30:31]
; %bb.8272:                             ;   in Loop: Header=BB4_7680 Depth=3
	v_or_b32_sdwa v21, v3, s47 dst_sel:DWORD dst_unused:UNUSED_PAD src0_sel:BYTE_3 src1_sel:DWORD
                                        ; implicit-def: $vgpr3
; %bb.8273:                             ;   in Loop: Header=BB4_7680 Depth=3
	s_andn2_saveexec_b64 s[30:31], vcc
; %bb.8274:                             ;   in Loop: Header=BB4_7680 Depth=3
	v_cmp_lt_i32_e32 vcc, -1, v3
	v_bfrev_b32_e32 v1, 0.5
	v_cndmask_b32_e32 v21, v1, v52, vcc
; %bb.8275:                             ;   in Loop: Header=BB4_7680 Depth=3
	s_or_b64 exec, exec, s[30:31]
.LBB4_8276:                             ;   in Loop: Header=BB4_7680 Depth=3
	s_or_b64 exec, exec, s[28:29]
	v_lshrrev_b16_e32 v1, 8, v0
	v_cmp_ne_u16_e32 vcc, 0, v1
	v_mov_b32_e32 v2, 0
	s_and_saveexec_b64 s[28:29], vcc
	s_cbranch_execz .LBB4_8284
; %bb.8277:                             ;   in Loop: Header=BB4_7680 Depth=3
	v_cmp_ne_u16_e32 vcc, s96, v1
	v_bfrev_b32_e32 v2, 1
	s_and_saveexec_b64 s[30:31], vcc
	s_cbranch_execz .LBB4_8283
; %bb.8278:                             ;   in Loop: Header=BB4_7680 Depth=3
	v_and_b32_e32 v2, 0x7c, v1
	v_and_b32_e32 v3, 3, v1
	v_cmp_ne_u32_e32 vcc, s85, v2
                                        ; implicit-def: $vgpr2
	s_and_saveexec_b64 s[34:35], vcc
	s_xor_b64 s[34:35], exec, s[34:35]
	s_cbranch_execz .LBB4_8280
; %bb.8279:                             ;   in Loop: Header=BB4_7680 Depth=3
	v_ffbh_u32_e32 v13, v3
	v_min_u32_e32 v13, 32, v13
	v_mov_b32_e32 v2, v17
	v_subrev_u32_e32 v14, 29, v13
	v_bfe_u32 v6, v1, 2, 5
	v_lshlrev_b64 v[1:2], v14, v[1:2]
	v_sub_u32_e32 v2, 30, v13
	v_cmp_eq_u32_e32 vcc, 0, v6
	v_lshlrev_b32_e32 v0, 16, v0
	v_and_b32_e32 v1, 3, v1
	v_cndmask_b32_e32 v2, v6, v2, vcc
	v_and_b32_e32 v0, 0x80000000, v0
	v_cndmask_b32_e32 v1, v3, v1, vcc
	v_lshl_add_u32 v0, v2, 23, v0
	v_lshl_or_b32 v0, v1, 21, v0
	v_add_u32_e32 v2, 0x38000000, v0
                                        ; implicit-def: $vgpr3
                                        ; implicit-def: $vgpr0_vgpr1
.LBB4_8280:                             ;   in Loop: Header=BB4_7680 Depth=3
	s_andn2_saveexec_b64 s[34:35], s[34:35]
; %bb.8281:                             ;   in Loop: Header=BB4_7680 Depth=3
	v_cmp_lt_i16_e32 vcc, -1, v0
	v_mov_b32_e32 v0, 0xff800000
	v_mov_b32_e32 v1, 0x7f800000
	v_cndmask_b32_e32 v0, v0, v1, vcc
	v_cmp_eq_u32_e32 vcc, 0, v3
	v_mov_b32_e32 v1, 0x7f800001
	v_cndmask_b32_e32 v2, v1, v0, vcc
; %bb.8282:                             ;   in Loop: Header=BB4_7680 Depth=3
	s_or_b64 exec, exec, s[34:35]
.LBB4_8283:                             ;   in Loop: Header=BB4_7680 Depth=3
	s_or_b64 exec, exec, s[30:31]
.LBB4_8284:                             ;   in Loop: Header=BB4_7680 Depth=3
	s_or_b64 exec, exec, s[28:29]
	v_mul_f32_e32 v2, v12, v2
	v_and_b32_e32 v13, 0x7f800000, v2
	v_mov_b32_e32 v14, v17
	v_cmp_ne_u64_e32 vcc, s[76:77], v[13:14]
	v_and_b32_e32 v0, 0x7fffff, v2
	v_mov_b32_e32 v1, v17
                                        ; implicit-def: $vgpr30
	s_and_saveexec_b64 s[28:29], vcc
	s_xor_b64 s[30:31], exec, s[28:29]
	s_cbranch_execz .LBB4_8298
; %bb.8285:                             ;   in Loop: Header=BB4_7680 Depth=3
	v_and_b32_e32 v13, 0x7fffffff, v2
	v_mov_b32_e32 v14, v17
	v_cmp_gt_u64_e32 vcc, s[78:79], v[13:14]
	v_and_b32_sdwa v3, v2, s96 dst_sel:DWORD dst_unused:UNUSED_PAD src0_sel:BYTE_3 src1_sel:DWORD
                                        ; implicit-def: $vgpr30
	s_and_saveexec_b64 s[28:29], vcc
	s_xor_b64 s[34:35], exec, s[28:29]
	s_cbranch_execz .LBB4_8295
; %bb.8286:                             ;   in Loop: Header=BB4_7680 Depth=3
	v_mov_b32_e32 v30, 0
	v_cmp_ne_u32_e32 vcc, 0, v2
	s_and_saveexec_b64 s[36:37], vcc
	s_cbranch_execz .LBB4_8294
; %bb.8287:                             ;   in Loop: Header=BB4_7680 Depth=3
	v_bfe_u32 v13, v2, 23, 8
	v_cmp_gt_u32_e64 s[28:29], s46, v13
	v_sub_u32_e32 v2, 0x71, v13
	v_cmp_eq_u32_e32 vcc, 0, v13
	v_cndmask_b32_e64 v2, 0, v2, s[28:29]
	v_mov_b32_e32 v14, 0x70
	v_cndmask_b32_e32 v14, v2, v14, vcc
	v_add_u32_e32 v2, 21, v14
	v_or_b32_e32 v6, 0x800000, v0
	v_lshlrev_b64 v[15:16], v2, -1
	v_cndmask_b32_e32 v0, v6, v0, vcc
	v_add_u32_e32 v2, 20, v14
	v_bfi_b32 v15, v15, 0, v0
	v_lshlrev_b64 v[19:20], v2, 1
	v_lshrrev_b64 v[0:1], v14, v[0:1]
	v_bfi_b32 v16, v16, 0, 0
	v_cmp_eq_u64_e64 s[28:29], v[15:16], v[19:20]
	v_mov_b32_e32 v2, v1
	v_mov_b32_e32 v1, v0
	s_and_saveexec_b64 s[38:39], s[28:29]
; %bb.8288:                             ;   in Loop: Header=BB4_7680 Depth=3
	v_bfe_u32 v1, v0, 21, 1
	v_add_co_u32_e64 v1, s[28:29], v0, v1
	v_add_co_u32_e64 v1, s[28:29], -1, v1
; %bb.8289:                             ;   in Loop: Header=BB4_7680 Depth=3
	s_or_b64 exec, exec, s[38:39]
	v_add_u32_e32 v2, 0xffffff81, v13
	v_mov_b32_e32 v6, 0xffffff82
	v_cndmask_b32_e32 v2, v2, v6, vcc
	v_lshrrev_b32_e32 v6, 23, v0
	v_add3_u32 v14, v14, v2, v6
	v_add_u32_e32 v13, 14, v14
	v_and_b32_e32 v1, 0x1fffff, v1
	v_add_u32_e32 v0, v1, v0
	v_mov_b32_e32 v1, v17
	v_cmp_ne_u32_e32 vcc, 0, v13
                                        ; implicit-def: $vgpr2
	s_and_saveexec_b64 s[28:29], vcc
	s_xor_b64 s[28:29], exec, s[28:29]
; %bb.8290:                             ;   in Loop: Header=BB4_7680 Depth=3
	v_cmp_lt_u64_e32 vcc, s[88:89], v[0:1]
	v_add_u32_e32 v2, 15, v14
	v_cndmask_b32_e64 v6, 0, 1, vcc
	v_lshrrev_b64 v[0:1], v6, v[0:1]
	v_cndmask_b32_e32 v2, v13, v2, vcc
; %bb.8291:                             ;   in Loop: Header=BB4_7680 Depth=3
	s_andn2_saveexec_b64 s[28:29], s[28:29]
; %bb.8292:                             ;   in Loop: Header=BB4_7680 Depth=3
	v_bfe_u32 v2, v0, 23, 1
; %bb.8293:                             ;   in Loop: Header=BB4_7680 Depth=3
	s_or_b64 exec, exec, s[28:29]
	v_lshrrev_b64 v[0:1], 21, v[0:1]
	v_cmp_gt_i32_e32 vcc, 32, v2
	v_cndmask_b32_e32 v1, 0, v1, vcc
	v_cndmask_b32_e32 v0, 3, v0, vcc
	v_cmp_eq_u64_e64 s[28:29], 0, v[0:1]
	v_min_i32_e32 v1, 31, v2
	v_lshlrev_b32_e32 v1, 2, v1
	v_cmp_eq_u32_e32 vcc, 0, v2
	v_and_b32_e32 v1, 0xfc, v1
	v_and_or_b32 v0, v0, 3, v1
	s_and_b64 s[28:29], vcc, s[28:29]
	v_cndmask_b32_e64 v0, v0, 0, s[28:29]
	v_or_b32_e32 v30, v0, v3
.LBB4_8294:                             ;   in Loop: Header=BB4_7680 Depth=3
	s_or_b64 exec, exec, s[36:37]
                                        ; implicit-def: $vgpr3
.LBB4_8295:                             ;   in Loop: Header=BB4_7680 Depth=3
	s_andn2_saveexec_b64 s[28:29], s[34:35]
; %bb.8296:                             ;   in Loop: Header=BB4_7680 Depth=3
	v_or_b32_e32 v30, 0x7b, v3
; %bb.8297:                             ;   in Loop: Header=BB4_7680 Depth=3
	s_or_b64 exec, exec, s[28:29]
                                        ; implicit-def: $vgpr2
                                        ; implicit-def: $vgpr0_vgpr1
.LBB4_8298:                             ;   in Loop: Header=BB4_7680 Depth=3
	s_andn2_saveexec_b64 s[28:29], s[30:31]
	s_cbranch_execz .LBB4_8304
; %bb.8299:                             ;   in Loop: Header=BB4_7680 Depth=3
	v_cmp_ne_u64_e32 vcc, 0, v[0:1]
                                        ; implicit-def: $vgpr30
	s_and_saveexec_b64 s[30:31], vcc
	s_xor_b64 vcc, exec, s[30:31]
; %bb.8300:                             ;   in Loop: Header=BB4_7680 Depth=3
	v_or_b32_sdwa v30, v2, s47 dst_sel:DWORD dst_unused:UNUSED_PAD src0_sel:BYTE_3 src1_sel:DWORD
                                        ; implicit-def: $vgpr2
; %bb.8301:                             ;   in Loop: Header=BB4_7680 Depth=3
	s_andn2_saveexec_b64 s[30:31], vcc
; %bb.8302:                             ;   in Loop: Header=BB4_7680 Depth=3
	v_cmp_lt_i32_e32 vcc, -1, v2
	v_bfrev_b32_e32 v0, 0.5
	v_cndmask_b32_e32 v30, v0, v52, vcc
; %bb.8303:                             ;   in Loop: Header=BB4_7680 Depth=3
	s_or_b64 exec, exec, s[30:31]
.LBB4_8304:                             ;   in Loop: Header=BB4_7680 Depth=3
	s_or_b64 exec, exec, s[28:29]
	v_lshrrev_b32_e32 v0, 16, v9
	v_cmp_ne_u16_sdwa vcc, v0, v17 src0_sel:BYTE_0 src1_sel:DWORD
	v_mov_b32_e32 v1, 0
	s_and_saveexec_b64 s[28:29], vcc
	s_cbranch_execz .LBB4_8312
; %bb.8305:                             ;   in Loop: Header=BB4_7680 Depth=3
	v_cmp_ne_u16_sdwa vcc, v0, s96 src0_sel:BYTE_0 src1_sel:DWORD
	v_bfrev_b32_e32 v1, 1
	s_and_saveexec_b64 s[30:31], vcc
	s_cbranch_execz .LBB4_8311
; %bb.8306:                             ;   in Loop: Header=BB4_7680 Depth=3
	v_and_b32_e32 v1, 0x7c0000, v9
	v_bfe_u32 v2, v9, 16, 2
	v_cmp_ne_u32_e32 vcc, s44, v1
                                        ; implicit-def: $vgpr1
	s_and_saveexec_b64 s[34:35], vcc
	s_xor_b64 s[34:35], exec, s[34:35]
	s_cbranch_execz .LBB4_8308
; %bb.8307:                             ;   in Loop: Header=BB4_7680 Depth=3
	v_ffbh_u32_e32 v1, v2
	v_min_u32_e32 v6, 32, v1
	v_subrev_u32_e32 v1, 29, v6
	v_lshlrev_b64 v[0:1], v1, v[0:1]
	v_bfe_u32 v3, v9, 18, 5
	v_and_b32_e32 v0, 3, v0
	v_cmp_eq_u32_e32 vcc, 0, v3
	v_sub_u32_e32 v1, 30, v6
	v_cndmask_b32_e32 v0, v2, v0, vcc
	v_lshlrev_b32_e32 v2, 8, v9
	v_cndmask_b32_e32 v1, v3, v1, vcc
	v_and_b32_e32 v2, 0x80000000, v2
	v_lshl_add_u32 v1, v1, 23, v2
	v_lshl_or_b32 v0, v0, 21, v1
	v_add_u32_e32 v1, 0x38000000, v0
                                        ; implicit-def: $vgpr2
                                        ; implicit-def: $vgpr0
.LBB4_8308:                             ;   in Loop: Header=BB4_7680 Depth=3
	s_andn2_saveexec_b64 s[34:35], s[34:35]
; %bb.8309:                             ;   in Loop: Header=BB4_7680 Depth=3
	v_mov_b32_e32 v1, -1
	v_cmp_gt_i16_sdwa vcc, sext(v0), v1 src0_sel:BYTE_0 src1_sel:DWORD
	v_mov_b32_e32 v0, 0xff800000
	v_mov_b32_e32 v1, 0x7f800000
	v_cndmask_b32_e32 v0, v0, v1, vcc
	v_cmp_eq_u32_e32 vcc, 0, v2
	v_mov_b32_e32 v1, 0x7f800001
	v_cndmask_b32_e32 v1, v1, v0, vcc
; %bb.8310:                             ;   in Loop: Header=BB4_7680 Depth=3
	s_or_b64 exec, exec, s[34:35]
.LBB4_8311:                             ;   in Loop: Header=BB4_7680 Depth=3
	s_or_b64 exec, exec, s[30:31]
.LBB4_8312:                             ;   in Loop: Header=BB4_7680 Depth=3
	s_or_b64 exec, exec, s[28:29]
	v_mul_f32_e32 v2, v12, v1
	v_and_b32_e32 v13, 0x7f800000, v2
	v_mov_b32_e32 v14, v17
	v_cmp_ne_u64_e32 vcc, s[76:77], v[13:14]
	v_and_b32_e32 v0, 0x7fffff, v2
	v_mov_b32_e32 v1, v17
                                        ; implicit-def: $vgpr34
	s_and_saveexec_b64 s[28:29], vcc
	s_xor_b64 s[30:31], exec, s[28:29]
	s_cbranch_execz .LBB4_8326
; %bb.8313:                             ;   in Loop: Header=BB4_7680 Depth=3
	v_and_b32_e32 v13, 0x7fffffff, v2
	v_mov_b32_e32 v14, v17
	v_cmp_gt_u64_e32 vcc, s[78:79], v[13:14]
	v_and_b32_sdwa v3, v2, s96 dst_sel:DWORD dst_unused:UNUSED_PAD src0_sel:BYTE_3 src1_sel:DWORD
                                        ; implicit-def: $vgpr34
	s_and_saveexec_b64 s[28:29], vcc
	s_xor_b64 s[34:35], exec, s[28:29]
	s_cbranch_execz .LBB4_8323
; %bb.8314:                             ;   in Loop: Header=BB4_7680 Depth=3
	v_mov_b32_e32 v34, 0
	v_cmp_ne_u32_e32 vcc, 0, v2
	s_and_saveexec_b64 s[36:37], vcc
	s_cbranch_execz .LBB4_8322
; %bb.8315:                             ;   in Loop: Header=BB4_7680 Depth=3
	v_bfe_u32 v13, v2, 23, 8
	v_cmp_gt_u32_e64 s[28:29], s46, v13
	v_sub_u32_e32 v2, 0x71, v13
	v_cmp_eq_u32_e32 vcc, 0, v13
	v_cndmask_b32_e64 v2, 0, v2, s[28:29]
	v_mov_b32_e32 v14, 0x70
	v_cndmask_b32_e32 v14, v2, v14, vcc
	v_add_u32_e32 v2, 21, v14
	v_or_b32_e32 v6, 0x800000, v0
	v_lshlrev_b64 v[15:16], v2, -1
	v_cndmask_b32_e32 v0, v6, v0, vcc
	v_add_u32_e32 v2, 20, v14
	v_bfi_b32 v15, v15, 0, v0
	v_lshlrev_b64 v[19:20], v2, 1
	v_lshrrev_b64 v[0:1], v14, v[0:1]
	v_bfi_b32 v16, v16, 0, 0
	v_cmp_eq_u64_e64 s[28:29], v[15:16], v[19:20]
	v_mov_b32_e32 v2, v1
	v_mov_b32_e32 v1, v0
	s_and_saveexec_b64 s[38:39], s[28:29]
; %bb.8316:                             ;   in Loop: Header=BB4_7680 Depth=3
	v_bfe_u32 v1, v0, 21, 1
	v_add_co_u32_e64 v1, s[28:29], v0, v1
	v_add_co_u32_e64 v1, s[28:29], -1, v1
; %bb.8317:                             ;   in Loop: Header=BB4_7680 Depth=3
	s_or_b64 exec, exec, s[38:39]
	v_add_u32_e32 v2, 0xffffff81, v13
	v_mov_b32_e32 v6, 0xffffff82
	v_cndmask_b32_e32 v2, v2, v6, vcc
	v_lshrrev_b32_e32 v6, 23, v0
	v_add3_u32 v14, v14, v2, v6
	v_add_u32_e32 v13, 14, v14
	v_and_b32_e32 v1, 0x1fffff, v1
	v_add_u32_e32 v0, v1, v0
	v_mov_b32_e32 v1, v17
	v_cmp_ne_u32_e32 vcc, 0, v13
                                        ; implicit-def: $vgpr2
	s_and_saveexec_b64 s[28:29], vcc
	s_xor_b64 s[28:29], exec, s[28:29]
; %bb.8318:                             ;   in Loop: Header=BB4_7680 Depth=3
	v_cmp_lt_u64_e32 vcc, s[88:89], v[0:1]
	v_add_u32_e32 v2, 15, v14
	v_cndmask_b32_e64 v6, 0, 1, vcc
	v_lshrrev_b64 v[0:1], v6, v[0:1]
	v_cndmask_b32_e32 v2, v13, v2, vcc
; %bb.8319:                             ;   in Loop: Header=BB4_7680 Depth=3
	s_andn2_saveexec_b64 s[28:29], s[28:29]
; %bb.8320:                             ;   in Loop: Header=BB4_7680 Depth=3
	v_bfe_u32 v2, v0, 23, 1
; %bb.8321:                             ;   in Loop: Header=BB4_7680 Depth=3
	s_or_b64 exec, exec, s[28:29]
	v_lshrrev_b64 v[0:1], 21, v[0:1]
	v_cmp_gt_i32_e32 vcc, 32, v2
	v_cndmask_b32_e32 v1, 0, v1, vcc
	v_cndmask_b32_e32 v0, 3, v0, vcc
	v_cmp_eq_u64_e64 s[28:29], 0, v[0:1]
	v_min_i32_e32 v1, 31, v2
	v_lshlrev_b32_e32 v1, 2, v1
	v_cmp_eq_u32_e32 vcc, 0, v2
	v_and_b32_e32 v1, 0xfc, v1
	v_and_or_b32 v0, v0, 3, v1
	s_and_b64 s[28:29], vcc, s[28:29]
	v_cndmask_b32_e64 v0, v0, 0, s[28:29]
	v_or_b32_e32 v34, v0, v3
.LBB4_8322:                             ;   in Loop: Header=BB4_7680 Depth=3
	s_or_b64 exec, exec, s[36:37]
                                        ; implicit-def: $vgpr3
.LBB4_8323:                             ;   in Loop: Header=BB4_7680 Depth=3
	s_andn2_saveexec_b64 s[28:29], s[34:35]
; %bb.8324:                             ;   in Loop: Header=BB4_7680 Depth=3
	v_or_b32_e32 v34, 0x7b, v3
; %bb.8325:                             ;   in Loop: Header=BB4_7680 Depth=3
	s_or_b64 exec, exec, s[28:29]
                                        ; implicit-def: $vgpr2
                                        ; implicit-def: $vgpr0_vgpr1
.LBB4_8326:                             ;   in Loop: Header=BB4_7680 Depth=3
	s_andn2_saveexec_b64 s[28:29], s[30:31]
	s_cbranch_execz .LBB4_8332
; %bb.8327:                             ;   in Loop: Header=BB4_7680 Depth=3
	v_cmp_ne_u64_e32 vcc, 0, v[0:1]
                                        ; implicit-def: $vgpr34
	s_and_saveexec_b64 s[30:31], vcc
	s_xor_b64 vcc, exec, s[30:31]
; %bb.8328:                             ;   in Loop: Header=BB4_7680 Depth=3
	v_or_b32_sdwa v34, v2, s47 dst_sel:DWORD dst_unused:UNUSED_PAD src0_sel:BYTE_3 src1_sel:DWORD
                                        ; implicit-def: $vgpr2
; %bb.8329:                             ;   in Loop: Header=BB4_7680 Depth=3
	s_andn2_saveexec_b64 s[30:31], vcc
; %bb.8330:                             ;   in Loop: Header=BB4_7680 Depth=3
	v_cmp_lt_i32_e32 vcc, -1, v2
	v_bfrev_b32_e32 v0, 0.5
	v_cndmask_b32_e32 v34, v0, v52, vcc
; %bb.8331:                             ;   in Loop: Header=BB4_7680 Depth=3
	s_or_b64 exec, exec, s[30:31]
.LBB4_8332:                             ;   in Loop: Header=BB4_7680 Depth=3
	s_or_b64 exec, exec, s[28:29]
	v_cmp_lt_u64_e32 vcc, s[56:57], v[8:9]
	v_mov_b32_e32 v1, 0
	s_and_saveexec_b64 s[28:29], vcc
	s_cbranch_execz .LBB4_8340
; %bb.8333:                             ;   in Loop: Header=BB4_7680 Depth=3
	v_lshrrev_b32_e32 v0, 24, v9
	v_cmp_ne_u32_e32 vcc, s96, v0
	v_bfrev_b32_e32 v1, 1
	s_and_saveexec_b64 s[30:31], vcc
	s_cbranch_execz .LBB4_8339
; %bb.8334:                             ;   in Loop: Header=BB4_7680 Depth=3
	v_and_b32_e32 v1, 0x7c000000, v9
	v_bfe_u32 v2, v9, 24, 2
	v_cmp_ne_u32_e32 vcc, s45, v1
                                        ; implicit-def: $vgpr1
	s_and_saveexec_b64 s[34:35], vcc
	s_xor_b64 s[34:35], exec, s[34:35]
	s_cbranch_execz .LBB4_8336
; %bb.8335:                             ;   in Loop: Header=BB4_7680 Depth=3
	v_ffbh_u32_e32 v1, v2
	v_min_u32_e32 v6, 32, v1
	v_subrev_u32_e32 v1, 29, v6
	v_lshlrev_b64 v[0:1], v1, v[0:1]
	v_bfe_u32 v3, v9, 26, 5
	v_sub_u32_e32 v1, 30, v6
	v_and_b32_e32 v0, 3, v0
	v_cmp_eq_u32_e32 vcc, 0, v3
	v_cndmask_b32_e32 v1, v3, v1, vcc
	v_cndmask_b32_e32 v0, v2, v0, vcc
	v_and_b32_e32 v2, 0x80000000, v9
	v_lshl_add_u32 v1, v1, 23, v2
	v_lshl_or_b32 v0, v0, 21, v1
	v_add_u32_e32 v1, 0x38000000, v0
                                        ; implicit-def: $vgpr2
.LBB4_8336:                             ;   in Loop: Header=BB4_7680 Depth=3
	s_andn2_saveexec_b64 s[34:35], s[34:35]
; %bb.8337:                             ;   in Loop: Header=BB4_7680 Depth=3
	v_cmp_lt_i64_e32 vcc, -1, v[8:9]
	v_mov_b32_e32 v0, 0xff800000
	v_mov_b32_e32 v1, 0x7f800000
	v_cndmask_b32_e32 v0, v0, v1, vcc
	v_cmp_eq_u32_e32 vcc, 0, v2
	v_mov_b32_e32 v1, 0x7f800001
	v_cndmask_b32_e32 v1, v1, v0, vcc
; %bb.8338:                             ;   in Loop: Header=BB4_7680 Depth=3
	s_or_b64 exec, exec, s[34:35]
.LBB4_8339:                             ;   in Loop: Header=BB4_7680 Depth=3
	s_or_b64 exec, exec, s[30:31]
.LBB4_8340:                             ;   in Loop: Header=BB4_7680 Depth=3
	s_or_b64 exec, exec, s[28:29]
	v_mul_f32_e32 v2, v12, v1
	v_and_b32_e32 v8, 0x7f800000, v2
	v_mov_b32_e32 v9, v17
	v_cmp_ne_u64_e32 vcc, s[76:77], v[8:9]
	v_and_b32_e32 v0, 0x7fffff, v2
	v_mov_b32_e32 v1, v17
                                        ; implicit-def: $vgpr38
	s_and_saveexec_b64 s[28:29], vcc
	s_xor_b64 s[30:31], exec, s[28:29]
	s_cbranch_execz .LBB4_8354
; %bb.8341:                             ;   in Loop: Header=BB4_7680 Depth=3
	v_and_b32_e32 v8, 0x7fffffff, v2
	v_mov_b32_e32 v9, v17
	v_cmp_gt_u64_e32 vcc, s[78:79], v[8:9]
	v_and_b32_sdwa v3, v2, s96 dst_sel:DWORD dst_unused:UNUSED_PAD src0_sel:BYTE_3 src1_sel:DWORD
                                        ; implicit-def: $vgpr38
	s_and_saveexec_b64 s[28:29], vcc
	s_xor_b64 s[34:35], exec, s[28:29]
	s_cbranch_execz .LBB4_8351
; %bb.8342:                             ;   in Loop: Header=BB4_7680 Depth=3
	v_mov_b32_e32 v38, 0
	v_cmp_ne_u32_e32 vcc, 0, v2
	s_and_saveexec_b64 s[36:37], vcc
	s_cbranch_execz .LBB4_8350
; %bb.8343:                             ;   in Loop: Header=BB4_7680 Depth=3
	v_bfe_u32 v8, v2, 23, 8
	v_cmp_gt_u32_e64 s[28:29], s46, v8
	v_sub_u32_e32 v2, 0x71, v8
	v_cmp_eq_u32_e32 vcc, 0, v8
	v_cndmask_b32_e64 v2, 0, v2, s[28:29]
	v_mov_b32_e32 v9, 0x70
	v_cndmask_b32_e32 v9, v2, v9, vcc
	v_add_u32_e32 v2, 21, v9
	v_or_b32_e32 v6, 0x800000, v0
	v_lshlrev_b64 v[13:14], v2, -1
	v_cndmask_b32_e32 v0, v6, v0, vcc
	v_add_u32_e32 v2, 20, v9
	v_bfi_b32 v13, v13, 0, v0
	v_lshlrev_b64 v[15:16], v2, 1
	v_lshrrev_b64 v[0:1], v9, v[0:1]
	v_bfi_b32 v14, v14, 0, 0
	v_cmp_eq_u64_e64 s[28:29], v[13:14], v[15:16]
	v_mov_b32_e32 v2, v1
	v_mov_b32_e32 v1, v0
	s_and_saveexec_b64 s[38:39], s[28:29]
; %bb.8344:                             ;   in Loop: Header=BB4_7680 Depth=3
	v_bfe_u32 v1, v0, 21, 1
	v_add_co_u32_e64 v1, s[28:29], v0, v1
	v_add_co_u32_e64 v1, s[28:29], -1, v1
; %bb.8345:                             ;   in Loop: Header=BB4_7680 Depth=3
	s_or_b64 exec, exec, s[38:39]
	v_add_u32_e32 v2, 0xffffff81, v8
	v_mov_b32_e32 v6, 0xffffff82
	v_cndmask_b32_e32 v2, v2, v6, vcc
	v_lshrrev_b32_e32 v6, 23, v0
	v_add3_u32 v9, v9, v2, v6
	v_add_u32_e32 v8, 14, v9
	v_and_b32_e32 v1, 0x1fffff, v1
	v_add_u32_e32 v0, v1, v0
	v_mov_b32_e32 v1, v17
	v_cmp_ne_u32_e32 vcc, 0, v8
                                        ; implicit-def: $vgpr2
	s_and_saveexec_b64 s[28:29], vcc
	s_xor_b64 s[28:29], exec, s[28:29]
; %bb.8346:                             ;   in Loop: Header=BB4_7680 Depth=3
	v_cmp_lt_u64_e32 vcc, s[88:89], v[0:1]
	v_add_u32_e32 v2, 15, v9
	v_cndmask_b32_e64 v6, 0, 1, vcc
	v_lshrrev_b64 v[0:1], v6, v[0:1]
	v_cndmask_b32_e32 v2, v8, v2, vcc
; %bb.8347:                             ;   in Loop: Header=BB4_7680 Depth=3
	s_andn2_saveexec_b64 s[28:29], s[28:29]
; %bb.8348:                             ;   in Loop: Header=BB4_7680 Depth=3
	v_bfe_u32 v2, v0, 23, 1
; %bb.8349:                             ;   in Loop: Header=BB4_7680 Depth=3
	s_or_b64 exec, exec, s[28:29]
	v_lshrrev_b64 v[0:1], 21, v[0:1]
	v_cmp_gt_i32_e32 vcc, 32, v2
	v_cndmask_b32_e32 v1, 0, v1, vcc
	v_cndmask_b32_e32 v0, 3, v0, vcc
	v_cmp_eq_u64_e64 s[28:29], 0, v[0:1]
	v_min_i32_e32 v1, 31, v2
	v_lshlrev_b32_e32 v1, 2, v1
	v_cmp_eq_u32_e32 vcc, 0, v2
	v_and_b32_e32 v1, 0xfc, v1
	v_and_or_b32 v0, v0, 3, v1
	s_and_b64 s[28:29], vcc, s[28:29]
	v_cndmask_b32_e64 v0, v0, 0, s[28:29]
	v_or_b32_e32 v38, v0, v3
.LBB4_8350:                             ;   in Loop: Header=BB4_7680 Depth=3
	s_or_b64 exec, exec, s[36:37]
                                        ; implicit-def: $vgpr3
.LBB4_8351:                             ;   in Loop: Header=BB4_7680 Depth=3
	s_andn2_saveexec_b64 s[28:29], s[34:35]
; %bb.8352:                             ;   in Loop: Header=BB4_7680 Depth=3
	v_or_b32_e32 v38, 0x7b, v3
; %bb.8353:                             ;   in Loop: Header=BB4_7680 Depth=3
	s_or_b64 exec, exec, s[28:29]
                                        ; implicit-def: $vgpr2
                                        ; implicit-def: $vgpr0_vgpr1
.LBB4_8354:                             ;   in Loop: Header=BB4_7680 Depth=3
	s_andn2_saveexec_b64 s[28:29], s[30:31]
	s_cbranch_execz .LBB4_8360
; %bb.8355:                             ;   in Loop: Header=BB4_7680 Depth=3
	v_cmp_ne_u64_e32 vcc, 0, v[0:1]
                                        ; implicit-def: $vgpr38
	s_and_saveexec_b64 s[30:31], vcc
	s_xor_b64 vcc, exec, s[30:31]
; %bb.8356:                             ;   in Loop: Header=BB4_7680 Depth=3
	v_or_b32_sdwa v38, v2, s47 dst_sel:DWORD dst_unused:UNUSED_PAD src0_sel:BYTE_3 src1_sel:DWORD
                                        ; implicit-def: $vgpr2
; %bb.8357:                             ;   in Loop: Header=BB4_7680 Depth=3
	s_andn2_saveexec_b64 s[30:31], vcc
; %bb.8358:                             ;   in Loop: Header=BB4_7680 Depth=3
	v_cmp_lt_i32_e32 vcc, -1, v2
	v_bfrev_b32_e32 v0, 0.5
	v_cndmask_b32_e32 v38, v0, v52, vcc
; %bb.8359:                             ;   in Loop: Header=BB4_7680 Depth=3
	s_or_b64 exec, exec, s[30:31]
.LBB4_8360:                             ;   in Loop: Header=BB4_7680 Depth=3
	s_or_b64 exec, exec, s[28:29]
	v_cmp_ne_u16_sdwa vcc, v10, v17 src0_sel:BYTE_0 src1_sel:DWORD
	v_mov_b32_e32 v0, 0
	s_and_saveexec_b64 s[28:29], vcc
	s_cbranch_execz .LBB4_8368
; %bb.8361:                             ;   in Loop: Header=BB4_7680 Depth=3
	v_cmp_ne_u16_sdwa vcc, sext(v10), s97 src0_sel:BYTE_0 src1_sel:DWORD
	v_bfrev_b32_e32 v0, 1
	s_and_saveexec_b64 s[30:31], vcc
	s_cbranch_execz .LBB4_8367
; %bb.8362:                             ;   in Loop: Header=BB4_7680 Depth=3
	v_and_b32_e32 v0, 0x7c, v10
	v_and_b32_e32 v1, 3, v10
	v_cmp_ne_u32_e32 vcc, s85, v0
                                        ; implicit-def: $vgpr0
	s_and_saveexec_b64 s[34:35], vcc
	s_xor_b64 s[34:35], exec, s[34:35]
	s_cbranch_execz .LBB4_8364
; %bb.8363:                             ;   in Loop: Header=BB4_7680 Depth=3
	v_ffbh_u32_e32 v2, v1
	v_min_u32_e32 v6, 32, v2
	v_subrev_u32_e32 v2, 29, v6
	v_lshlrev_b64 v[2:3], v2, v[10:11]
	v_bfe_u32 v0, v10, 2, 5
	v_and_b32_e32 v2, 3, v2
	v_cmp_eq_u32_e32 vcc, 0, v0
	v_sub_u32_e32 v3, 30, v6
	v_cndmask_b32_e32 v1, v1, v2, vcc
	v_lshlrev_b32_e32 v2, 24, v10
	v_cndmask_b32_e32 v0, v0, v3, vcc
	v_and_b32_e32 v2, 0x80000000, v2
	v_lshl_add_u32 v0, v0, 23, v2
	v_lshl_or_b32 v0, v1, 21, v0
	v_add_u32_e32 v0, 0x38000000, v0
                                        ; implicit-def: $vgpr1
.LBB4_8364:                             ;   in Loop: Header=BB4_7680 Depth=3
	s_andn2_saveexec_b64 s[34:35], s[34:35]
; %bb.8365:                             ;   in Loop: Header=BB4_7680 Depth=3
	v_mov_b32_e32 v0, -1
	v_cmp_gt_i16_sdwa vcc, sext(v10), v0 src0_sel:BYTE_0 src1_sel:DWORD
	v_mov_b32_e32 v0, 0xff800000
	v_mov_b32_e32 v2, 0x7f800000
	v_cndmask_b32_e32 v0, v0, v2, vcc
	v_cmp_eq_u32_e32 vcc, 0, v1
	v_mov_b32_e32 v1, 0x7f800001
	v_cndmask_b32_e32 v0, v1, v0, vcc
; %bb.8366:                             ;   in Loop: Header=BB4_7680 Depth=3
	s_or_b64 exec, exec, s[34:35]
.LBB4_8367:                             ;   in Loop: Header=BB4_7680 Depth=3
	s_or_b64 exec, exec, s[30:31]
.LBB4_8368:                             ;   in Loop: Header=BB4_7680 Depth=3
	s_or_b64 exec, exec, s[28:29]
	v_mul_f32_e32 v2, v12, v0
	v_and_b32_e32 v8, 0x7f800000, v2
	v_mov_b32_e32 v9, v17
	v_cmp_ne_u64_e32 vcc, s[76:77], v[8:9]
	v_and_b32_e32 v0, 0x7fffff, v2
	v_mov_b32_e32 v1, v17
                                        ; implicit-def: $vgpr19
	s_and_saveexec_b64 s[28:29], vcc
	s_xor_b64 s[30:31], exec, s[28:29]
	s_cbranch_execz .LBB4_8382
; %bb.8369:                             ;   in Loop: Header=BB4_7680 Depth=3
	v_and_b32_e32 v8, 0x7fffffff, v2
	v_mov_b32_e32 v9, v17
	v_cmp_gt_u64_e32 vcc, s[78:79], v[8:9]
	v_and_b32_sdwa v3, v2, s96 dst_sel:DWORD dst_unused:UNUSED_PAD src0_sel:BYTE_3 src1_sel:DWORD
                                        ; implicit-def: $vgpr19
	s_and_saveexec_b64 s[28:29], vcc
	s_xor_b64 s[34:35], exec, s[28:29]
	s_cbranch_execz .LBB4_8379
; %bb.8370:                             ;   in Loop: Header=BB4_7680 Depth=3
	v_mov_b32_e32 v19, 0
	v_cmp_ne_u32_e32 vcc, 0, v2
	s_and_saveexec_b64 s[36:37], vcc
	s_cbranch_execz .LBB4_8378
; %bb.8371:                             ;   in Loop: Header=BB4_7680 Depth=3
	v_bfe_u32 v8, v2, 23, 8
	v_cmp_gt_u32_e64 s[28:29], s46, v8
	v_sub_u32_e32 v2, 0x71, v8
	v_cmp_eq_u32_e32 vcc, 0, v8
	v_cndmask_b32_e64 v2, 0, v2, s[28:29]
	v_mov_b32_e32 v9, 0x70
	v_cndmask_b32_e32 v9, v2, v9, vcc
	v_add_u32_e32 v2, 21, v9
	v_or_b32_e32 v6, 0x800000, v0
	v_lshlrev_b64 v[13:14], v2, -1
	v_cndmask_b32_e32 v0, v6, v0, vcc
	v_add_u32_e32 v2, 20, v9
	v_bfi_b32 v13, v13, 0, v0
	v_lshlrev_b64 v[15:16], v2, 1
	v_lshrrev_b64 v[0:1], v9, v[0:1]
	v_bfi_b32 v14, v14, 0, 0
	v_cmp_eq_u64_e64 s[28:29], v[13:14], v[15:16]
	v_mov_b32_e32 v2, v1
	v_mov_b32_e32 v1, v0
	s_and_saveexec_b64 s[38:39], s[28:29]
; %bb.8372:                             ;   in Loop: Header=BB4_7680 Depth=3
	v_bfe_u32 v1, v0, 21, 1
	v_add_co_u32_e64 v1, s[28:29], v0, v1
	v_add_co_u32_e64 v1, s[28:29], -1, v1
; %bb.8373:                             ;   in Loop: Header=BB4_7680 Depth=3
	s_or_b64 exec, exec, s[38:39]
	v_add_u32_e32 v2, 0xffffff81, v8
	v_mov_b32_e32 v6, 0xffffff82
	v_cndmask_b32_e32 v2, v2, v6, vcc
	v_lshrrev_b32_e32 v6, 23, v0
	v_add3_u32 v9, v9, v2, v6
	v_add_u32_e32 v8, 14, v9
	v_and_b32_e32 v1, 0x1fffff, v1
	v_add_u32_e32 v0, v1, v0
	v_mov_b32_e32 v1, v17
	v_cmp_ne_u32_e32 vcc, 0, v8
                                        ; implicit-def: $vgpr2
	s_and_saveexec_b64 s[28:29], vcc
	s_xor_b64 s[28:29], exec, s[28:29]
; %bb.8374:                             ;   in Loop: Header=BB4_7680 Depth=3
	v_cmp_lt_u64_e32 vcc, s[88:89], v[0:1]
	v_add_u32_e32 v2, 15, v9
	v_cndmask_b32_e64 v6, 0, 1, vcc
	v_lshrrev_b64 v[0:1], v6, v[0:1]
	v_cndmask_b32_e32 v2, v8, v2, vcc
; %bb.8375:                             ;   in Loop: Header=BB4_7680 Depth=3
	s_andn2_saveexec_b64 s[28:29], s[28:29]
; %bb.8376:                             ;   in Loop: Header=BB4_7680 Depth=3
	v_bfe_u32 v2, v0, 23, 1
; %bb.8377:                             ;   in Loop: Header=BB4_7680 Depth=3
	s_or_b64 exec, exec, s[28:29]
	v_lshrrev_b64 v[0:1], 21, v[0:1]
	v_cmp_gt_i32_e32 vcc, 32, v2
	v_cndmask_b32_e32 v1, 0, v1, vcc
	v_cndmask_b32_e32 v0, 3, v0, vcc
	v_cmp_eq_u64_e64 s[28:29], 0, v[0:1]
	v_min_i32_e32 v1, 31, v2
	v_lshlrev_b32_e32 v1, 2, v1
	v_cmp_eq_u32_e32 vcc, 0, v2
	v_and_b32_e32 v1, 0xfc, v1
	v_and_or_b32 v0, v0, 3, v1
	s_and_b64 s[28:29], vcc, s[28:29]
	v_cndmask_b32_e64 v0, v0, 0, s[28:29]
	v_or_b32_e32 v19, v0, v3
.LBB4_8378:                             ;   in Loop: Header=BB4_7680 Depth=3
	s_or_b64 exec, exec, s[36:37]
                                        ; implicit-def: $vgpr3
.LBB4_8379:                             ;   in Loop: Header=BB4_7680 Depth=3
	s_andn2_saveexec_b64 s[28:29], s[34:35]
; %bb.8380:                             ;   in Loop: Header=BB4_7680 Depth=3
	v_or_b32_e32 v19, 0x7b, v3
; %bb.8381:                             ;   in Loop: Header=BB4_7680 Depth=3
	s_or_b64 exec, exec, s[28:29]
                                        ; implicit-def: $vgpr2
                                        ; implicit-def: $vgpr0_vgpr1
.LBB4_8382:                             ;   in Loop: Header=BB4_7680 Depth=3
	s_andn2_saveexec_b64 s[28:29], s[30:31]
	s_cbranch_execz .LBB4_8388
; %bb.8383:                             ;   in Loop: Header=BB4_7680 Depth=3
	v_cmp_ne_u64_e32 vcc, 0, v[0:1]
                                        ; implicit-def: $vgpr19
	s_and_saveexec_b64 s[30:31], vcc
	s_xor_b64 vcc, exec, s[30:31]
; %bb.8384:                             ;   in Loop: Header=BB4_7680 Depth=3
	v_or_b32_sdwa v19, v2, s47 dst_sel:DWORD dst_unused:UNUSED_PAD src0_sel:BYTE_3 src1_sel:DWORD
                                        ; implicit-def: $vgpr2
; %bb.8385:                             ;   in Loop: Header=BB4_7680 Depth=3
	s_andn2_saveexec_b64 s[30:31], vcc
; %bb.8386:                             ;   in Loop: Header=BB4_7680 Depth=3
	v_cmp_lt_i32_e32 vcc, -1, v2
	v_bfrev_b32_e32 v0, 0.5
	v_cndmask_b32_e32 v19, v0, v52, vcc
; %bb.8387:                             ;   in Loop: Header=BB4_7680 Depth=3
	s_or_b64 exec, exec, s[30:31]
.LBB4_8388:                             ;   in Loop: Header=BB4_7680 Depth=3
	s_or_b64 exec, exec, s[28:29]
	v_lshrrev_b16_e32 v0, 8, v10
	v_cmp_ne_u16_e32 vcc, 0, v0
	v_mov_b32_e32 v1, 0
	s_and_saveexec_b64 s[28:29], vcc
	s_cbranch_execz .LBB4_8396
; %bb.8389:                             ;   in Loop: Header=BB4_7680 Depth=3
	v_cmp_ne_u16_e32 vcc, s96, v0
	v_bfrev_b32_e32 v1, 1
	s_and_saveexec_b64 s[30:31], vcc
	s_cbranch_execz .LBB4_8395
; %bb.8390:                             ;   in Loop: Header=BB4_7680 Depth=3
	v_and_b32_e32 v1, 0x7c, v0
	v_and_b32_e32 v2, 3, v0
	v_cmp_ne_u32_e32 vcc, s85, v1
                                        ; implicit-def: $vgpr1
	s_and_saveexec_b64 s[34:35], vcc
	s_xor_b64 s[34:35], exec, s[34:35]
	s_cbranch_execz .LBB4_8392
; %bb.8391:                             ;   in Loop: Header=BB4_7680 Depth=3
	v_ffbh_u32_e32 v6, v2
	v_min_u32_e32 v6, 32, v6
	v_mov_b32_e32 v1, v17
	v_subrev_u32_e32 v8, 29, v6
	v_bfe_u32 v3, v0, 2, 5
	v_lshlrev_b64 v[0:1], v8, v[0:1]
	v_cmp_eq_u32_e32 vcc, 0, v3
	v_and_b32_e32 v0, 3, v0
	v_sub_u32_e32 v1, 30, v6
	v_cndmask_b32_e32 v0, v2, v0, vcc
	v_lshlrev_b32_e32 v2, 16, v10
	v_cndmask_b32_e32 v1, v3, v1, vcc
	v_and_b32_e32 v2, 0x80000000, v2
	v_lshl_add_u32 v1, v1, 23, v2
	v_lshl_or_b32 v0, v0, 21, v1
	v_add_u32_e32 v1, 0x38000000, v0
                                        ; implicit-def: $vgpr2
.LBB4_8392:                             ;   in Loop: Header=BB4_7680 Depth=3
	s_andn2_saveexec_b64 s[34:35], s[34:35]
; %bb.8393:                             ;   in Loop: Header=BB4_7680 Depth=3
	v_cmp_lt_i16_e32 vcc, -1, v10
	v_mov_b32_e32 v0, 0xff800000
	v_mov_b32_e32 v1, 0x7f800000
	v_cndmask_b32_e32 v0, v0, v1, vcc
	v_cmp_eq_u32_e32 vcc, 0, v2
	v_mov_b32_e32 v1, 0x7f800001
	v_cndmask_b32_e32 v1, v1, v0, vcc
; %bb.8394:                             ;   in Loop: Header=BB4_7680 Depth=3
	s_or_b64 exec, exec, s[34:35]
.LBB4_8395:                             ;   in Loop: Header=BB4_7680 Depth=3
	s_or_b64 exec, exec, s[30:31]
.LBB4_8396:                             ;   in Loop: Header=BB4_7680 Depth=3
	s_or_b64 exec, exec, s[28:29]
	v_mul_f32_e32 v2, v12, v1
	v_and_b32_e32 v8, 0x7f800000, v2
	v_mov_b32_e32 v9, v17
	v_cmp_ne_u64_e32 vcc, s[76:77], v[8:9]
	v_and_b32_e32 v0, 0x7fffff, v2
	v_mov_b32_e32 v1, v17
                                        ; implicit-def: $vgpr24
	s_and_saveexec_b64 s[28:29], vcc
	s_xor_b64 s[30:31], exec, s[28:29]
	s_cbranch_execz .LBB4_8410
; %bb.8397:                             ;   in Loop: Header=BB4_7680 Depth=3
	v_and_b32_e32 v8, 0x7fffffff, v2
	v_mov_b32_e32 v9, v17
	v_cmp_gt_u64_e32 vcc, s[78:79], v[8:9]
	v_and_b32_sdwa v3, v2, s96 dst_sel:DWORD dst_unused:UNUSED_PAD src0_sel:BYTE_3 src1_sel:DWORD
                                        ; implicit-def: $vgpr24
	s_and_saveexec_b64 s[28:29], vcc
	s_xor_b64 s[34:35], exec, s[28:29]
	s_cbranch_execz .LBB4_8407
; %bb.8398:                             ;   in Loop: Header=BB4_7680 Depth=3
	v_mov_b32_e32 v24, 0
	v_cmp_ne_u32_e32 vcc, 0, v2
	s_and_saveexec_b64 s[36:37], vcc
	s_cbranch_execz .LBB4_8406
; %bb.8399:                             ;   in Loop: Header=BB4_7680 Depth=3
	v_bfe_u32 v8, v2, 23, 8
	v_cmp_gt_u32_e64 s[28:29], s46, v8
	v_sub_u32_e32 v2, 0x71, v8
	v_cmp_eq_u32_e32 vcc, 0, v8
	v_cndmask_b32_e64 v2, 0, v2, s[28:29]
	v_mov_b32_e32 v9, 0x70
	v_cndmask_b32_e32 v9, v2, v9, vcc
	v_add_u32_e32 v2, 21, v9
	v_or_b32_e32 v6, 0x800000, v0
	v_lshlrev_b64 v[13:14], v2, -1
	v_cndmask_b32_e32 v0, v6, v0, vcc
	v_add_u32_e32 v2, 20, v9
	v_bfi_b32 v13, v13, 0, v0
	v_lshlrev_b64 v[15:16], v2, 1
	v_lshrrev_b64 v[0:1], v9, v[0:1]
	v_bfi_b32 v14, v14, 0, 0
	v_cmp_eq_u64_e64 s[28:29], v[13:14], v[15:16]
	v_mov_b32_e32 v2, v1
	v_mov_b32_e32 v1, v0
	s_and_saveexec_b64 s[38:39], s[28:29]
; %bb.8400:                             ;   in Loop: Header=BB4_7680 Depth=3
	v_bfe_u32 v1, v0, 21, 1
	v_add_co_u32_e64 v1, s[28:29], v0, v1
	v_add_co_u32_e64 v1, s[28:29], -1, v1
; %bb.8401:                             ;   in Loop: Header=BB4_7680 Depth=3
	s_or_b64 exec, exec, s[38:39]
	v_add_u32_e32 v2, 0xffffff81, v8
	v_mov_b32_e32 v6, 0xffffff82
	v_cndmask_b32_e32 v2, v2, v6, vcc
	v_lshrrev_b32_e32 v6, 23, v0
	v_add3_u32 v9, v9, v2, v6
	v_add_u32_e32 v8, 14, v9
	v_and_b32_e32 v1, 0x1fffff, v1
	v_add_u32_e32 v0, v1, v0
	v_mov_b32_e32 v1, v17
	v_cmp_ne_u32_e32 vcc, 0, v8
                                        ; implicit-def: $vgpr2
	s_and_saveexec_b64 s[28:29], vcc
	s_xor_b64 s[28:29], exec, s[28:29]
; %bb.8402:                             ;   in Loop: Header=BB4_7680 Depth=3
	v_cmp_lt_u64_e32 vcc, s[88:89], v[0:1]
	v_add_u32_e32 v2, 15, v9
	v_cndmask_b32_e64 v6, 0, 1, vcc
	v_lshrrev_b64 v[0:1], v6, v[0:1]
	v_cndmask_b32_e32 v2, v8, v2, vcc
; %bb.8403:                             ;   in Loop: Header=BB4_7680 Depth=3
	s_andn2_saveexec_b64 s[28:29], s[28:29]
; %bb.8404:                             ;   in Loop: Header=BB4_7680 Depth=3
	v_bfe_u32 v2, v0, 23, 1
; %bb.8405:                             ;   in Loop: Header=BB4_7680 Depth=3
	s_or_b64 exec, exec, s[28:29]
	v_lshrrev_b64 v[0:1], 21, v[0:1]
	v_cmp_gt_i32_e32 vcc, 32, v2
	v_cndmask_b32_e32 v1, 0, v1, vcc
	v_cndmask_b32_e32 v0, 3, v0, vcc
	v_cmp_eq_u64_e64 s[28:29], 0, v[0:1]
	v_min_i32_e32 v1, 31, v2
	v_lshlrev_b32_e32 v1, 2, v1
	v_cmp_eq_u32_e32 vcc, 0, v2
	v_and_b32_e32 v1, 0xfc, v1
	v_and_or_b32 v0, v0, 3, v1
	s_and_b64 s[28:29], vcc, s[28:29]
	v_cndmask_b32_e64 v0, v0, 0, s[28:29]
	v_or_b32_e32 v24, v0, v3
.LBB4_8406:                             ;   in Loop: Header=BB4_7680 Depth=3
	s_or_b64 exec, exec, s[36:37]
                                        ; implicit-def: $vgpr3
.LBB4_8407:                             ;   in Loop: Header=BB4_7680 Depth=3
	s_andn2_saveexec_b64 s[28:29], s[34:35]
; %bb.8408:                             ;   in Loop: Header=BB4_7680 Depth=3
	v_or_b32_e32 v24, 0x7b, v3
; %bb.8409:                             ;   in Loop: Header=BB4_7680 Depth=3
	s_or_b64 exec, exec, s[28:29]
                                        ; implicit-def: $vgpr2
                                        ; implicit-def: $vgpr0_vgpr1
.LBB4_8410:                             ;   in Loop: Header=BB4_7680 Depth=3
	s_andn2_saveexec_b64 s[28:29], s[30:31]
	s_cbranch_execz .LBB4_8416
; %bb.8411:                             ;   in Loop: Header=BB4_7680 Depth=3
	v_cmp_ne_u64_e32 vcc, 0, v[0:1]
                                        ; implicit-def: $vgpr24
	s_and_saveexec_b64 s[30:31], vcc
	s_xor_b64 vcc, exec, s[30:31]
; %bb.8412:                             ;   in Loop: Header=BB4_7680 Depth=3
	v_or_b32_sdwa v24, v2, s47 dst_sel:DWORD dst_unused:UNUSED_PAD src0_sel:BYTE_3 src1_sel:DWORD
                                        ; implicit-def: $vgpr2
; %bb.8413:                             ;   in Loop: Header=BB4_7680 Depth=3
	s_andn2_saveexec_b64 s[30:31], vcc
; %bb.8414:                             ;   in Loop: Header=BB4_7680 Depth=3
	v_cmp_lt_i32_e32 vcc, -1, v2
	v_bfrev_b32_e32 v0, 0.5
	v_cndmask_b32_e32 v24, v0, v52, vcc
; %bb.8415:                             ;   in Loop: Header=BB4_7680 Depth=3
	s_or_b64 exec, exec, s[30:31]
.LBB4_8416:                             ;   in Loop: Header=BB4_7680 Depth=3
	s_or_b64 exec, exec, s[28:29]
	v_lshrrev_b32_e32 v0, 16, v10
	v_cmp_ne_u16_sdwa vcc, v0, v17 src0_sel:BYTE_0 src1_sel:DWORD
	v_mov_b32_e32 v1, 0
	s_and_saveexec_b64 s[28:29], vcc
	s_cbranch_execz .LBB4_8424
; %bb.8417:                             ;   in Loop: Header=BB4_7680 Depth=3
	v_cmp_ne_u16_sdwa vcc, v0, s96 src0_sel:BYTE_0 src1_sel:DWORD
	v_bfrev_b32_e32 v1, 1
	s_and_saveexec_b64 s[30:31], vcc
	s_cbranch_execz .LBB4_8423
; %bb.8418:                             ;   in Loop: Header=BB4_7680 Depth=3
	v_and_b32_e32 v1, 0x7c0000, v10
	v_bfe_u32 v2, v10, 16, 2
	v_cmp_ne_u32_e32 vcc, s44, v1
                                        ; implicit-def: $vgpr1
	s_and_saveexec_b64 s[34:35], vcc
	s_xor_b64 s[34:35], exec, s[34:35]
	s_cbranch_execz .LBB4_8420
; %bb.8419:                             ;   in Loop: Header=BB4_7680 Depth=3
	v_ffbh_u32_e32 v1, v2
	v_min_u32_e32 v6, 32, v1
	v_subrev_u32_e32 v1, 29, v6
	v_lshlrev_b64 v[0:1], v1, v[0:1]
	v_bfe_u32 v3, v10, 18, 5
	v_and_b32_e32 v0, 3, v0
	v_cmp_eq_u32_e32 vcc, 0, v3
	v_sub_u32_e32 v1, 30, v6
	v_cndmask_b32_e32 v0, v2, v0, vcc
	v_lshlrev_b32_e32 v2, 8, v10
	v_cndmask_b32_e32 v1, v3, v1, vcc
	v_and_b32_e32 v2, 0x80000000, v2
	v_lshl_add_u32 v1, v1, 23, v2
	v_lshl_or_b32 v0, v0, 21, v1
	v_add_u32_e32 v1, 0x38000000, v0
                                        ; implicit-def: $vgpr2
                                        ; implicit-def: $vgpr0
.LBB4_8420:                             ;   in Loop: Header=BB4_7680 Depth=3
	s_andn2_saveexec_b64 s[34:35], s[34:35]
; %bb.8421:                             ;   in Loop: Header=BB4_7680 Depth=3
	v_mov_b32_e32 v1, -1
	v_cmp_gt_i16_sdwa vcc, sext(v0), v1 src0_sel:BYTE_0 src1_sel:DWORD
	v_mov_b32_e32 v0, 0xff800000
	v_mov_b32_e32 v1, 0x7f800000
	v_cndmask_b32_e32 v0, v0, v1, vcc
	v_cmp_eq_u32_e32 vcc, 0, v2
	v_mov_b32_e32 v1, 0x7f800001
	v_cndmask_b32_e32 v1, v1, v0, vcc
; %bb.8422:                             ;   in Loop: Header=BB4_7680 Depth=3
	s_or_b64 exec, exec, s[34:35]
.LBB4_8423:                             ;   in Loop: Header=BB4_7680 Depth=3
	s_or_b64 exec, exec, s[30:31]
.LBB4_8424:                             ;   in Loop: Header=BB4_7680 Depth=3
	s_or_b64 exec, exec, s[28:29]
	v_mul_f32_e32 v2, v12, v1
	v_and_b32_e32 v8, 0x7f800000, v2
	v_mov_b32_e32 v9, v17
	v_cmp_ne_u64_e32 vcc, s[76:77], v[8:9]
	v_and_b32_e32 v0, 0x7fffff, v2
	v_mov_b32_e32 v1, v17
                                        ; implicit-def: $vgpr26
	s_and_saveexec_b64 s[28:29], vcc
	s_xor_b64 s[30:31], exec, s[28:29]
	s_cbranch_execz .LBB4_8438
; %bb.8425:                             ;   in Loop: Header=BB4_7680 Depth=3
	v_and_b32_e32 v8, 0x7fffffff, v2
	v_mov_b32_e32 v9, v17
	v_cmp_gt_u64_e32 vcc, s[78:79], v[8:9]
	v_and_b32_sdwa v3, v2, s96 dst_sel:DWORD dst_unused:UNUSED_PAD src0_sel:BYTE_3 src1_sel:DWORD
                                        ; implicit-def: $vgpr26
	s_and_saveexec_b64 s[28:29], vcc
	s_xor_b64 s[34:35], exec, s[28:29]
	s_cbranch_execz .LBB4_8435
; %bb.8426:                             ;   in Loop: Header=BB4_7680 Depth=3
	v_mov_b32_e32 v26, 0
	v_cmp_ne_u32_e32 vcc, 0, v2
	s_and_saveexec_b64 s[36:37], vcc
	s_cbranch_execz .LBB4_8434
; %bb.8427:                             ;   in Loop: Header=BB4_7680 Depth=3
	v_bfe_u32 v8, v2, 23, 8
	v_cmp_gt_u32_e64 s[28:29], s46, v8
	v_sub_u32_e32 v2, 0x71, v8
	v_cmp_eq_u32_e32 vcc, 0, v8
	v_cndmask_b32_e64 v2, 0, v2, s[28:29]
	v_mov_b32_e32 v9, 0x70
	v_cndmask_b32_e32 v9, v2, v9, vcc
	v_add_u32_e32 v2, 21, v9
	v_or_b32_e32 v6, 0x800000, v0
	v_lshlrev_b64 v[13:14], v2, -1
	v_cndmask_b32_e32 v0, v6, v0, vcc
	v_add_u32_e32 v2, 20, v9
	v_bfi_b32 v13, v13, 0, v0
	v_lshlrev_b64 v[15:16], v2, 1
	v_lshrrev_b64 v[0:1], v9, v[0:1]
	v_bfi_b32 v14, v14, 0, 0
	v_cmp_eq_u64_e64 s[28:29], v[13:14], v[15:16]
	v_mov_b32_e32 v2, v1
	v_mov_b32_e32 v1, v0
	s_and_saveexec_b64 s[38:39], s[28:29]
; %bb.8428:                             ;   in Loop: Header=BB4_7680 Depth=3
	v_bfe_u32 v1, v0, 21, 1
	v_add_co_u32_e64 v1, s[28:29], v0, v1
	v_add_co_u32_e64 v1, s[28:29], -1, v1
; %bb.8429:                             ;   in Loop: Header=BB4_7680 Depth=3
	s_or_b64 exec, exec, s[38:39]
	v_add_u32_e32 v2, 0xffffff81, v8
	v_mov_b32_e32 v6, 0xffffff82
	v_cndmask_b32_e32 v2, v2, v6, vcc
	v_lshrrev_b32_e32 v6, 23, v0
	v_add3_u32 v9, v9, v2, v6
	v_add_u32_e32 v8, 14, v9
	v_and_b32_e32 v1, 0x1fffff, v1
	v_add_u32_e32 v0, v1, v0
	v_mov_b32_e32 v1, v17
	v_cmp_ne_u32_e32 vcc, 0, v8
                                        ; implicit-def: $vgpr2
	s_and_saveexec_b64 s[28:29], vcc
	s_xor_b64 s[28:29], exec, s[28:29]
; %bb.8430:                             ;   in Loop: Header=BB4_7680 Depth=3
	v_cmp_lt_u64_e32 vcc, s[88:89], v[0:1]
	v_add_u32_e32 v2, 15, v9
	v_cndmask_b32_e64 v6, 0, 1, vcc
	v_lshrrev_b64 v[0:1], v6, v[0:1]
	v_cndmask_b32_e32 v2, v8, v2, vcc
; %bb.8431:                             ;   in Loop: Header=BB4_7680 Depth=3
	s_andn2_saveexec_b64 s[28:29], s[28:29]
; %bb.8432:                             ;   in Loop: Header=BB4_7680 Depth=3
	v_bfe_u32 v2, v0, 23, 1
; %bb.8433:                             ;   in Loop: Header=BB4_7680 Depth=3
	s_or_b64 exec, exec, s[28:29]
	v_lshrrev_b64 v[0:1], 21, v[0:1]
	v_cmp_gt_i32_e32 vcc, 32, v2
	v_cndmask_b32_e32 v1, 0, v1, vcc
	v_cndmask_b32_e32 v0, 3, v0, vcc
	v_cmp_eq_u64_e64 s[28:29], 0, v[0:1]
	v_min_i32_e32 v1, 31, v2
	v_lshlrev_b32_e32 v1, 2, v1
	v_cmp_eq_u32_e32 vcc, 0, v2
	v_and_b32_e32 v1, 0xfc, v1
	v_and_or_b32 v0, v0, 3, v1
	s_and_b64 s[28:29], vcc, s[28:29]
	v_cndmask_b32_e64 v0, v0, 0, s[28:29]
	v_or_b32_e32 v26, v0, v3
.LBB4_8434:                             ;   in Loop: Header=BB4_7680 Depth=3
	s_or_b64 exec, exec, s[36:37]
                                        ; implicit-def: $vgpr3
.LBB4_8435:                             ;   in Loop: Header=BB4_7680 Depth=3
	s_andn2_saveexec_b64 s[28:29], s[34:35]
; %bb.8436:                             ;   in Loop: Header=BB4_7680 Depth=3
	v_or_b32_e32 v26, 0x7b, v3
; %bb.8437:                             ;   in Loop: Header=BB4_7680 Depth=3
	s_or_b64 exec, exec, s[28:29]
                                        ; implicit-def: $vgpr2
                                        ; implicit-def: $vgpr0_vgpr1
.LBB4_8438:                             ;   in Loop: Header=BB4_7680 Depth=3
	s_andn2_saveexec_b64 s[28:29], s[30:31]
	s_cbranch_execz .LBB4_8444
; %bb.8439:                             ;   in Loop: Header=BB4_7680 Depth=3
	v_cmp_ne_u64_e32 vcc, 0, v[0:1]
                                        ; implicit-def: $vgpr26
	s_and_saveexec_b64 s[30:31], vcc
	s_xor_b64 vcc, exec, s[30:31]
; %bb.8440:                             ;   in Loop: Header=BB4_7680 Depth=3
	v_or_b32_sdwa v26, v2, s47 dst_sel:DWORD dst_unused:UNUSED_PAD src0_sel:BYTE_3 src1_sel:DWORD
                                        ; implicit-def: $vgpr2
; %bb.8441:                             ;   in Loop: Header=BB4_7680 Depth=3
	s_andn2_saveexec_b64 s[30:31], vcc
; %bb.8442:                             ;   in Loop: Header=BB4_7680 Depth=3
	v_cmp_lt_i32_e32 vcc, -1, v2
	v_bfrev_b32_e32 v0, 0.5
	v_cndmask_b32_e32 v26, v0, v52, vcc
; %bb.8443:                             ;   in Loop: Header=BB4_7680 Depth=3
	s_or_b64 exec, exec, s[30:31]
.LBB4_8444:                             ;   in Loop: Header=BB4_7680 Depth=3
	s_or_b64 exec, exec, s[28:29]
	v_cmp_lt_u32_e32 vcc, s57, v10
	v_mov_b32_e32 v1, 0
	s_and_saveexec_b64 s[28:29], vcc
	s_cbranch_execz .LBB4_8452
; %bb.8445:                             ;   in Loop: Header=BB4_7680 Depth=3
	v_lshrrev_b32_e32 v0, 24, v10
	v_cmp_ne_u32_e32 vcc, s96, v0
	v_bfrev_b32_e32 v1, 1
	s_and_saveexec_b64 s[30:31], vcc
	s_cbranch_execz .LBB4_8451
; %bb.8446:                             ;   in Loop: Header=BB4_7680 Depth=3
	v_and_b32_e32 v1, 0x7c000000, v10
	v_bfe_u32 v2, v10, 24, 2
	v_cmp_ne_u32_e32 vcc, s45, v1
                                        ; implicit-def: $vgpr1
	s_and_saveexec_b64 s[34:35], vcc
	s_xor_b64 s[34:35], exec, s[34:35]
	s_cbranch_execz .LBB4_8448
; %bb.8447:                             ;   in Loop: Header=BB4_7680 Depth=3
	v_ffbh_u32_e32 v1, v2
	v_min_u32_e32 v6, 32, v1
	v_subrev_u32_e32 v1, 29, v6
	v_lshlrev_b64 v[0:1], v1, v[0:1]
	v_bfe_u32 v3, v10, 26, 5
	v_sub_u32_e32 v1, 30, v6
	v_and_b32_e32 v0, 3, v0
	v_cmp_eq_u32_e32 vcc, 0, v3
	v_cndmask_b32_e32 v1, v3, v1, vcc
	v_cndmask_b32_e32 v0, v2, v0, vcc
	v_and_b32_e32 v2, 0x80000000, v10
	v_lshl_add_u32 v1, v1, 23, v2
	v_lshl_or_b32 v0, v0, 21, v1
	v_add_u32_e32 v1, 0x38000000, v0
                                        ; implicit-def: $vgpr2
.LBB4_8448:                             ;   in Loop: Header=BB4_7680 Depth=3
	s_andn2_saveexec_b64 s[34:35], s[34:35]
; %bb.8449:                             ;   in Loop: Header=BB4_7680 Depth=3
	v_cmp_lt_i32_e32 vcc, -1, v10
	v_mov_b32_e32 v0, 0xff800000
	v_mov_b32_e32 v1, 0x7f800000
	v_cndmask_b32_e32 v0, v0, v1, vcc
	v_cmp_eq_u32_e32 vcc, 0, v2
	v_mov_b32_e32 v1, 0x7f800001
	v_cndmask_b32_e32 v1, v1, v0, vcc
; %bb.8450:                             ;   in Loop: Header=BB4_7680 Depth=3
	s_or_b64 exec, exec, s[34:35]
.LBB4_8451:                             ;   in Loop: Header=BB4_7680 Depth=3
	s_or_b64 exec, exec, s[30:31]
.LBB4_8452:                             ;   in Loop: Header=BB4_7680 Depth=3
	s_or_b64 exec, exec, s[28:29]
	v_mul_f32_e32 v2, v12, v1
	v_and_b32_e32 v8, 0x7f800000, v2
	v_mov_b32_e32 v9, v17
	v_cmp_ne_u64_e32 vcc, s[76:77], v[8:9]
	v_and_b32_e32 v0, 0x7fffff, v2
	v_mov_b32_e32 v1, v17
                                        ; implicit-def: $vgpr33
	s_and_saveexec_b64 s[28:29], vcc
	s_xor_b64 s[30:31], exec, s[28:29]
	s_cbranch_execz .LBB4_8466
; %bb.8453:                             ;   in Loop: Header=BB4_7680 Depth=3
	v_and_b32_e32 v8, 0x7fffffff, v2
	v_mov_b32_e32 v9, v17
	v_cmp_gt_u64_e32 vcc, s[78:79], v[8:9]
	v_and_b32_sdwa v3, v2, s96 dst_sel:DWORD dst_unused:UNUSED_PAD src0_sel:BYTE_3 src1_sel:DWORD
                                        ; implicit-def: $vgpr33
	s_and_saveexec_b64 s[28:29], vcc
	s_xor_b64 s[34:35], exec, s[28:29]
	s_cbranch_execz .LBB4_8463
; %bb.8454:                             ;   in Loop: Header=BB4_7680 Depth=3
	v_mov_b32_e32 v33, 0
	v_cmp_ne_u32_e32 vcc, 0, v2
	s_and_saveexec_b64 s[36:37], vcc
	s_cbranch_execz .LBB4_8462
; %bb.8455:                             ;   in Loop: Header=BB4_7680 Depth=3
	v_bfe_u32 v8, v2, 23, 8
	v_cmp_gt_u32_e64 s[28:29], s46, v8
	v_sub_u32_e32 v2, 0x71, v8
	v_cmp_eq_u32_e32 vcc, 0, v8
	v_cndmask_b32_e64 v2, 0, v2, s[28:29]
	v_mov_b32_e32 v9, 0x70
	v_cndmask_b32_e32 v9, v2, v9, vcc
	v_add_u32_e32 v2, 21, v9
	v_or_b32_e32 v6, 0x800000, v0
	v_lshlrev_b64 v[13:14], v2, -1
	v_cndmask_b32_e32 v0, v6, v0, vcc
	v_add_u32_e32 v2, 20, v9
	v_bfi_b32 v13, v13, 0, v0
	v_lshlrev_b64 v[15:16], v2, 1
	v_lshrrev_b64 v[0:1], v9, v[0:1]
	v_bfi_b32 v14, v14, 0, 0
	v_cmp_eq_u64_e64 s[28:29], v[13:14], v[15:16]
	v_mov_b32_e32 v2, v1
	v_mov_b32_e32 v1, v0
	s_and_saveexec_b64 s[38:39], s[28:29]
; %bb.8456:                             ;   in Loop: Header=BB4_7680 Depth=3
	v_bfe_u32 v1, v0, 21, 1
	v_add_co_u32_e64 v1, s[28:29], v0, v1
	v_add_co_u32_e64 v1, s[28:29], -1, v1
; %bb.8457:                             ;   in Loop: Header=BB4_7680 Depth=3
	s_or_b64 exec, exec, s[38:39]
	v_add_u32_e32 v2, 0xffffff81, v8
	v_mov_b32_e32 v6, 0xffffff82
	v_cndmask_b32_e32 v2, v2, v6, vcc
	v_lshrrev_b32_e32 v6, 23, v0
	v_add3_u32 v9, v9, v2, v6
	v_add_u32_e32 v8, 14, v9
	v_and_b32_e32 v1, 0x1fffff, v1
	v_add_u32_e32 v0, v1, v0
	v_mov_b32_e32 v1, v17
	v_cmp_ne_u32_e32 vcc, 0, v8
                                        ; implicit-def: $vgpr2
	s_and_saveexec_b64 s[28:29], vcc
	s_xor_b64 s[28:29], exec, s[28:29]
; %bb.8458:                             ;   in Loop: Header=BB4_7680 Depth=3
	v_cmp_lt_u64_e32 vcc, s[88:89], v[0:1]
	v_add_u32_e32 v2, 15, v9
	v_cndmask_b32_e64 v6, 0, 1, vcc
	v_lshrrev_b64 v[0:1], v6, v[0:1]
	v_cndmask_b32_e32 v2, v8, v2, vcc
; %bb.8459:                             ;   in Loop: Header=BB4_7680 Depth=3
	s_andn2_saveexec_b64 s[28:29], s[28:29]
; %bb.8460:                             ;   in Loop: Header=BB4_7680 Depth=3
	v_bfe_u32 v2, v0, 23, 1
; %bb.8461:                             ;   in Loop: Header=BB4_7680 Depth=3
	s_or_b64 exec, exec, s[28:29]
	v_lshrrev_b64 v[0:1], 21, v[0:1]
	v_cmp_gt_i32_e32 vcc, 32, v2
	v_cndmask_b32_e32 v1, 0, v1, vcc
	v_cndmask_b32_e32 v0, 3, v0, vcc
	v_cmp_eq_u64_e64 s[28:29], 0, v[0:1]
	v_min_i32_e32 v1, 31, v2
	v_lshlrev_b32_e32 v1, 2, v1
	v_cmp_eq_u32_e32 vcc, 0, v2
	v_and_b32_e32 v1, 0xfc, v1
	v_and_or_b32 v0, v0, 3, v1
	s_and_b64 s[28:29], vcc, s[28:29]
	v_cndmask_b32_e64 v0, v0, 0, s[28:29]
	v_or_b32_e32 v33, v0, v3
.LBB4_8462:                             ;   in Loop: Header=BB4_7680 Depth=3
	s_or_b64 exec, exec, s[36:37]
                                        ; implicit-def: $vgpr3
.LBB4_8463:                             ;   in Loop: Header=BB4_7680 Depth=3
	s_andn2_saveexec_b64 s[28:29], s[34:35]
; %bb.8464:                             ;   in Loop: Header=BB4_7680 Depth=3
	v_or_b32_e32 v33, 0x7b, v3
; %bb.8465:                             ;   in Loop: Header=BB4_7680 Depth=3
	s_or_b64 exec, exec, s[28:29]
                                        ; implicit-def: $vgpr2
                                        ; implicit-def: $vgpr0_vgpr1
.LBB4_8466:                             ;   in Loop: Header=BB4_7680 Depth=3
	s_andn2_saveexec_b64 s[28:29], s[30:31]
	s_cbranch_execz .LBB4_8472
; %bb.8467:                             ;   in Loop: Header=BB4_7680 Depth=3
	v_cmp_ne_u64_e32 vcc, 0, v[0:1]
                                        ; implicit-def: $vgpr33
	s_and_saveexec_b64 s[30:31], vcc
	s_xor_b64 vcc, exec, s[30:31]
; %bb.8468:                             ;   in Loop: Header=BB4_7680 Depth=3
	v_or_b32_sdwa v33, v2, s47 dst_sel:DWORD dst_unused:UNUSED_PAD src0_sel:BYTE_3 src1_sel:DWORD
                                        ; implicit-def: $vgpr2
; %bb.8469:                             ;   in Loop: Header=BB4_7680 Depth=3
	s_andn2_saveexec_b64 s[30:31], vcc
; %bb.8470:                             ;   in Loop: Header=BB4_7680 Depth=3
	v_cmp_lt_i32_e32 vcc, -1, v2
	v_bfrev_b32_e32 v0, 0.5
	v_cndmask_b32_e32 v33, v0, v52, vcc
; %bb.8471:                             ;   in Loop: Header=BB4_7680 Depth=3
	s_or_b64 exec, exec, s[30:31]
.LBB4_8472:                             ;   in Loop: Header=BB4_7680 Depth=3
	s_or_b64 exec, exec, s[28:29]
	v_mov_b32_e32 v0, v11
	v_mov_b32_e32 v1, v17
	v_cmp_ne_u16_sdwa vcc, v11, v17 src0_sel:BYTE_0 src1_sel:DWORD
	v_mov_b32_e32 v2, 0
	s_and_saveexec_b64 s[28:29], vcc
	s_cbranch_execz .LBB4_8480
; %bb.8473:                             ;   in Loop: Header=BB4_7680 Depth=3
	v_cmp_ne_u16_sdwa vcc, v11, s96 src0_sel:BYTE_0 src1_sel:DWORD
	v_bfrev_b32_e32 v2, 1
	s_and_saveexec_b64 s[30:31], vcc
	s_cbranch_execz .LBB4_8479
; %bb.8474:                             ;   in Loop: Header=BB4_7680 Depth=3
	v_and_b32_e32 v2, 0x7c, v11
	v_and_b32_e32 v3, 3, v11
	v_cmp_ne_u32_e32 vcc, s85, v2
                                        ; implicit-def: $vgpr2
	s_and_saveexec_b64 s[34:35], vcc
	s_xor_b64 s[34:35], exec, s[34:35]
	s_cbranch_execz .LBB4_8476
; %bb.8475:                             ;   in Loop: Header=BB4_7680 Depth=3
	v_ffbh_u32_e32 v2, v3
	v_min_u32_e32 v8, 32, v2
	v_subrev_u32_e32 v2, 29, v8
	v_lshlrev_b64 v[1:2], v2, v[0:1]
	v_bfe_u32 v6, v11, 2, 5
	v_and_b32_e32 v1, 3, v1
	v_cmp_eq_u32_e32 vcc, 0, v6
	v_sub_u32_e32 v2, 30, v8
	v_cndmask_b32_e32 v1, v3, v1, vcc
	v_lshlrev_b32_e32 v3, 24, v11
	v_cndmask_b32_e32 v2, v6, v2, vcc
	v_and_b32_e32 v3, 0x80000000, v3
	v_lshl_add_u32 v2, v2, 23, v3
	v_lshl_or_b32 v1, v1, 21, v2
	v_add_u32_e32 v2, 0x38000000, v1
                                        ; implicit-def: $vgpr3
.LBB4_8476:                             ;   in Loop: Header=BB4_7680 Depth=3
	s_andn2_saveexec_b64 s[34:35], s[34:35]
; %bb.8477:                             ;   in Loop: Header=BB4_7680 Depth=3
	v_mov_b32_e32 v1, -1
	v_cmp_gt_i16_sdwa vcc, sext(v11), v1 src0_sel:BYTE_0 src1_sel:DWORD
	v_mov_b32_e32 v1, 0xff800000
	v_mov_b32_e32 v2, 0x7f800000
	v_cndmask_b32_e32 v1, v1, v2, vcc
	v_cmp_eq_u32_e32 vcc, 0, v3
	v_mov_b32_e32 v2, 0x7f800001
	v_cndmask_b32_e32 v2, v2, v1, vcc
; %bb.8478:                             ;   in Loop: Header=BB4_7680 Depth=3
	s_or_b64 exec, exec, s[34:35]
.LBB4_8479:                             ;   in Loop: Header=BB4_7680 Depth=3
	s_or_b64 exec, exec, s[30:31]
.LBB4_8480:                             ;   in Loop: Header=BB4_7680 Depth=3
	s_or_b64 exec, exec, s[28:29]
	v_mul_f32_e32 v3, v12, v2
	v_and_b32_e32 v8, 0x7f800000, v3
	v_mov_b32_e32 v9, v17
	v_cmp_ne_u64_e32 vcc, s[76:77], v[8:9]
	v_and_b32_e32 v1, 0x7fffff, v3
	v_mov_b32_e32 v2, v17
                                        ; implicit-def: $vgpr16
	s_and_saveexec_b64 s[28:29], vcc
	s_xor_b64 s[30:31], exec, s[28:29]
	s_cbranch_execz .LBB4_8494
; %bb.8481:                             ;   in Loop: Header=BB4_7680 Depth=3
	v_and_b32_e32 v8, 0x7fffffff, v3
	v_mov_b32_e32 v9, v17
	v_cmp_gt_u64_e32 vcc, s[78:79], v[8:9]
	v_and_b32_sdwa v8, v3, s96 dst_sel:DWORD dst_unused:UNUSED_PAD src0_sel:BYTE_3 src1_sel:DWORD
                                        ; implicit-def: $vgpr16
	s_and_saveexec_b64 s[28:29], vcc
	s_xor_b64 s[34:35], exec, s[28:29]
	s_cbranch_execz .LBB4_8491
; %bb.8482:                             ;   in Loop: Header=BB4_7680 Depth=3
	v_mov_b32_e32 v16, 0
	v_cmp_ne_u32_e32 vcc, 0, v3
	s_and_saveexec_b64 s[36:37], vcc
	s_cbranch_execz .LBB4_8490
; %bb.8483:                             ;   in Loop: Header=BB4_7680 Depth=3
	v_bfe_u32 v9, v3, 23, 8
	v_cmp_gt_u32_e64 s[28:29], s46, v9
	v_sub_u32_e32 v3, 0x71, v9
	v_cmp_eq_u32_e32 vcc, 0, v9
	v_cndmask_b32_e64 v3, 0, v3, s[28:29]
	v_mov_b32_e32 v13, 0x70
	v_cndmask_b32_e32 v13, v3, v13, vcc
	v_add_u32_e32 v3, 21, v13
	v_or_b32_e32 v6, 0x800000, v1
	v_lshlrev_b64 v[14:15], v3, -1
	v_cndmask_b32_e32 v1, v6, v1, vcc
	v_add_u32_e32 v3, 20, v13
	v_bfi_b32 v14, v14, 0, v1
	v_lshlrev_b64 v[48:49], v3, 1
	v_lshrrev_b64 v[1:2], v13, v[1:2]
	v_bfi_b32 v15, v15, 0, 0
	v_cmp_eq_u64_e64 s[28:29], v[14:15], v[48:49]
	v_mov_b32_e32 v3, v2
	v_mov_b32_e32 v2, v1
	s_and_saveexec_b64 s[38:39], s[28:29]
; %bb.8484:                             ;   in Loop: Header=BB4_7680 Depth=3
	v_bfe_u32 v2, v1, 21, 1
	v_add_co_u32_e64 v2, s[28:29], v1, v2
	v_add_co_u32_e64 v2, s[28:29], -1, v2
; %bb.8485:                             ;   in Loop: Header=BB4_7680 Depth=3
	s_or_b64 exec, exec, s[38:39]
	v_add_u32_e32 v3, 0xffffff81, v9
	v_mov_b32_e32 v6, 0xffffff82
	v_cndmask_b32_e32 v3, v3, v6, vcc
	v_lshrrev_b32_e32 v6, 23, v1
	v_add3_u32 v13, v13, v3, v6
	v_add_u32_e32 v9, 14, v13
	v_and_b32_e32 v2, 0x1fffff, v2
	v_add_u32_e32 v1, v2, v1
	v_mov_b32_e32 v2, v17
	v_cmp_ne_u32_e32 vcc, 0, v9
                                        ; implicit-def: $vgpr3
	s_and_saveexec_b64 s[28:29], vcc
	s_xor_b64 s[28:29], exec, s[28:29]
; %bb.8486:                             ;   in Loop: Header=BB4_7680 Depth=3
	v_cmp_lt_u64_e32 vcc, s[88:89], v[1:2]
	v_add_u32_e32 v3, 15, v13
	v_cndmask_b32_e64 v6, 0, 1, vcc
	v_lshrrev_b64 v[1:2], v6, v[1:2]
	v_cndmask_b32_e32 v3, v9, v3, vcc
; %bb.8487:                             ;   in Loop: Header=BB4_7680 Depth=3
	s_andn2_saveexec_b64 s[28:29], s[28:29]
; %bb.8488:                             ;   in Loop: Header=BB4_7680 Depth=3
	v_bfe_u32 v3, v1, 23, 1
; %bb.8489:                             ;   in Loop: Header=BB4_7680 Depth=3
	s_or_b64 exec, exec, s[28:29]
	v_lshrrev_b64 v[1:2], 21, v[1:2]
	v_cmp_gt_i32_e32 vcc, 32, v3
	v_cndmask_b32_e32 v2, 0, v2, vcc
	v_cndmask_b32_e32 v1, 3, v1, vcc
	v_cmp_eq_u64_e64 s[28:29], 0, v[1:2]
	v_min_i32_e32 v2, 31, v3
	v_lshlrev_b32_e32 v2, 2, v2
	v_cmp_eq_u32_e32 vcc, 0, v3
	v_and_b32_e32 v2, 0xfc, v2
	v_and_or_b32 v1, v1, 3, v2
	s_and_b64 s[28:29], vcc, s[28:29]
	v_cndmask_b32_e64 v1, v1, 0, s[28:29]
	v_or_b32_e32 v16, v1, v8
.LBB4_8490:                             ;   in Loop: Header=BB4_7680 Depth=3
	s_or_b64 exec, exec, s[36:37]
                                        ; implicit-def: $vgpr8
.LBB4_8491:                             ;   in Loop: Header=BB4_7680 Depth=3
	s_andn2_saveexec_b64 s[28:29], s[34:35]
; %bb.8492:                             ;   in Loop: Header=BB4_7680 Depth=3
	v_or_b32_e32 v16, 0x7b, v8
; %bb.8493:                             ;   in Loop: Header=BB4_7680 Depth=3
	s_or_b64 exec, exec, s[28:29]
                                        ; implicit-def: $vgpr3
                                        ; implicit-def: $vgpr1_vgpr2
.LBB4_8494:                             ;   in Loop: Header=BB4_7680 Depth=3
	s_andn2_saveexec_b64 s[28:29], s[30:31]
	s_cbranch_execz .LBB4_8500
; %bb.8495:                             ;   in Loop: Header=BB4_7680 Depth=3
	v_cmp_ne_u64_e32 vcc, 0, v[1:2]
                                        ; implicit-def: $vgpr16
	s_and_saveexec_b64 s[30:31], vcc
	s_xor_b64 vcc, exec, s[30:31]
; %bb.8496:                             ;   in Loop: Header=BB4_7680 Depth=3
	v_or_b32_sdwa v16, v3, s47 dst_sel:DWORD dst_unused:UNUSED_PAD src0_sel:BYTE_3 src1_sel:DWORD
                                        ; implicit-def: $vgpr3
; %bb.8497:                             ;   in Loop: Header=BB4_7680 Depth=3
	s_andn2_saveexec_b64 s[30:31], vcc
; %bb.8498:                             ;   in Loop: Header=BB4_7680 Depth=3
	v_cmp_lt_i32_e32 vcc, -1, v3
	v_bfrev_b32_e32 v1, 0.5
	v_cndmask_b32_e32 v16, v1, v52, vcc
; %bb.8499:                             ;   in Loop: Header=BB4_7680 Depth=3
	s_or_b64 exec, exec, s[30:31]
.LBB4_8500:                             ;   in Loop: Header=BB4_7680 Depth=3
	s_or_b64 exec, exec, s[28:29]
	v_lshrrev_b16_e32 v1, 8, v0
	v_cmp_ne_u16_e32 vcc, 0, v1
	v_mov_b32_e32 v2, 0
	s_and_saveexec_b64 s[28:29], vcc
	s_cbranch_execz .LBB4_8508
; %bb.8501:                             ;   in Loop: Header=BB4_7680 Depth=3
	v_cmp_ne_u16_e32 vcc, s96, v1
	v_bfrev_b32_e32 v2, 1
	s_and_saveexec_b64 s[30:31], vcc
	s_cbranch_execz .LBB4_8507
; %bb.8502:                             ;   in Loop: Header=BB4_7680 Depth=3
	v_and_b32_e32 v2, 0x7c, v1
	v_and_b32_e32 v3, 3, v1
	v_cmp_ne_u32_e32 vcc, s85, v2
                                        ; implicit-def: $vgpr2
	s_and_saveexec_b64 s[34:35], vcc
	s_xor_b64 s[34:35], exec, s[34:35]
	s_cbranch_execz .LBB4_8504
; %bb.8503:                             ;   in Loop: Header=BB4_7680 Depth=3
	v_ffbh_u32_e32 v8, v3
	v_min_u32_e32 v8, 32, v8
	v_mov_b32_e32 v2, v17
	v_subrev_u32_e32 v9, 29, v8
	v_bfe_u32 v6, v1, 2, 5
	v_lshlrev_b64 v[1:2], v9, v[1:2]
	v_sub_u32_e32 v2, 30, v8
	v_cmp_eq_u32_e32 vcc, 0, v6
	v_lshlrev_b32_e32 v0, 16, v0
	v_and_b32_e32 v1, 3, v1
	v_cndmask_b32_e32 v2, v6, v2, vcc
	v_and_b32_e32 v0, 0x80000000, v0
	v_cndmask_b32_e32 v1, v3, v1, vcc
	v_lshl_add_u32 v0, v2, 23, v0
	v_lshl_or_b32 v0, v1, 21, v0
	v_add_u32_e32 v2, 0x38000000, v0
                                        ; implicit-def: $vgpr3
                                        ; implicit-def: $vgpr0_vgpr1
.LBB4_8504:                             ;   in Loop: Header=BB4_7680 Depth=3
	s_andn2_saveexec_b64 s[34:35], s[34:35]
; %bb.8505:                             ;   in Loop: Header=BB4_7680 Depth=3
	v_cmp_lt_i16_e32 vcc, -1, v0
	v_mov_b32_e32 v0, 0xff800000
	v_mov_b32_e32 v1, 0x7f800000
	v_cndmask_b32_e32 v0, v0, v1, vcc
	v_cmp_eq_u32_e32 vcc, 0, v3
	v_mov_b32_e32 v1, 0x7f800001
	v_cndmask_b32_e32 v2, v1, v0, vcc
; %bb.8506:                             ;   in Loop: Header=BB4_7680 Depth=3
	s_or_b64 exec, exec, s[34:35]
.LBB4_8507:                             ;   in Loop: Header=BB4_7680 Depth=3
	s_or_b64 exec, exec, s[30:31]
.LBB4_8508:                             ;   in Loop: Header=BB4_7680 Depth=3
	s_or_b64 exec, exec, s[28:29]
	v_mul_f32_e32 v2, v12, v2
	v_and_b32_e32 v8, 0x7f800000, v2
	v_mov_b32_e32 v9, v17
	v_cmp_ne_u64_e32 vcc, s[76:77], v[8:9]
	v_and_b32_e32 v0, 0x7fffff, v2
	v_mov_b32_e32 v1, v17
                                        ; implicit-def: $vgpr20
	s_and_saveexec_b64 s[28:29], vcc
	s_xor_b64 s[30:31], exec, s[28:29]
	s_cbranch_execz .LBB4_8522
; %bb.8509:                             ;   in Loop: Header=BB4_7680 Depth=3
	v_and_b32_e32 v8, 0x7fffffff, v2
	v_mov_b32_e32 v9, v17
	v_cmp_gt_u64_e32 vcc, s[78:79], v[8:9]
	v_and_b32_sdwa v3, v2, s96 dst_sel:DWORD dst_unused:UNUSED_PAD src0_sel:BYTE_3 src1_sel:DWORD
                                        ; implicit-def: $vgpr20
	s_and_saveexec_b64 s[28:29], vcc
	s_xor_b64 s[34:35], exec, s[28:29]
	s_cbranch_execz .LBB4_8519
; %bb.8510:                             ;   in Loop: Header=BB4_7680 Depth=3
	v_mov_b32_e32 v20, 0
	v_cmp_ne_u32_e32 vcc, 0, v2
	s_and_saveexec_b64 s[36:37], vcc
	s_cbranch_execz .LBB4_8518
; %bb.8511:                             ;   in Loop: Header=BB4_7680 Depth=3
	v_bfe_u32 v8, v2, 23, 8
	v_cmp_gt_u32_e64 s[28:29], s46, v8
	v_sub_u32_e32 v2, 0x71, v8
	v_cmp_eq_u32_e32 vcc, 0, v8
	v_cndmask_b32_e64 v2, 0, v2, s[28:29]
	v_mov_b32_e32 v9, 0x70
	v_cndmask_b32_e32 v9, v2, v9, vcc
	v_add_u32_e32 v2, 21, v9
	v_or_b32_e32 v6, 0x800000, v0
	v_lshlrev_b64 v[13:14], v2, -1
	v_cndmask_b32_e32 v0, v6, v0, vcc
	v_add_u32_e32 v2, 20, v9
	v_bfi_b32 v13, v13, 0, v0
	v_lshlrev_b64 v[48:49], v2, 1
	v_lshrrev_b64 v[0:1], v9, v[0:1]
	v_bfi_b32 v14, v14, 0, 0
	v_cmp_eq_u64_e64 s[28:29], v[13:14], v[48:49]
	v_mov_b32_e32 v2, v1
	v_mov_b32_e32 v1, v0
	s_and_saveexec_b64 s[38:39], s[28:29]
; %bb.8512:                             ;   in Loop: Header=BB4_7680 Depth=3
	v_bfe_u32 v1, v0, 21, 1
	v_add_co_u32_e64 v1, s[28:29], v0, v1
	v_add_co_u32_e64 v1, s[28:29], -1, v1
; %bb.8513:                             ;   in Loop: Header=BB4_7680 Depth=3
	s_or_b64 exec, exec, s[38:39]
	v_add_u32_e32 v2, 0xffffff81, v8
	v_mov_b32_e32 v6, 0xffffff82
	v_cndmask_b32_e32 v2, v2, v6, vcc
	v_lshrrev_b32_e32 v6, 23, v0
	v_add3_u32 v9, v9, v2, v6
	v_add_u32_e32 v8, 14, v9
	v_and_b32_e32 v1, 0x1fffff, v1
	v_add_u32_e32 v0, v1, v0
	v_mov_b32_e32 v1, v17
	v_cmp_ne_u32_e32 vcc, 0, v8
                                        ; implicit-def: $vgpr2
	s_and_saveexec_b64 s[28:29], vcc
	s_xor_b64 s[28:29], exec, s[28:29]
; %bb.8514:                             ;   in Loop: Header=BB4_7680 Depth=3
	v_cmp_lt_u64_e32 vcc, s[88:89], v[0:1]
	v_add_u32_e32 v2, 15, v9
	v_cndmask_b32_e64 v6, 0, 1, vcc
	v_lshrrev_b64 v[0:1], v6, v[0:1]
	v_cndmask_b32_e32 v2, v8, v2, vcc
; %bb.8515:                             ;   in Loop: Header=BB4_7680 Depth=3
	s_andn2_saveexec_b64 s[28:29], s[28:29]
; %bb.8516:                             ;   in Loop: Header=BB4_7680 Depth=3
	v_bfe_u32 v2, v0, 23, 1
; %bb.8517:                             ;   in Loop: Header=BB4_7680 Depth=3
	s_or_b64 exec, exec, s[28:29]
	v_lshrrev_b64 v[0:1], 21, v[0:1]
	v_cmp_gt_i32_e32 vcc, 32, v2
	v_cndmask_b32_e32 v1, 0, v1, vcc
	v_cndmask_b32_e32 v0, 3, v0, vcc
	v_cmp_eq_u64_e64 s[28:29], 0, v[0:1]
	v_min_i32_e32 v1, 31, v2
	v_lshlrev_b32_e32 v1, 2, v1
	v_cmp_eq_u32_e32 vcc, 0, v2
	v_and_b32_e32 v1, 0xfc, v1
	v_and_or_b32 v0, v0, 3, v1
	s_and_b64 s[28:29], vcc, s[28:29]
	v_cndmask_b32_e64 v0, v0, 0, s[28:29]
	v_or_b32_e32 v20, v0, v3
.LBB4_8518:                             ;   in Loop: Header=BB4_7680 Depth=3
	s_or_b64 exec, exec, s[36:37]
                                        ; implicit-def: $vgpr3
.LBB4_8519:                             ;   in Loop: Header=BB4_7680 Depth=3
	s_andn2_saveexec_b64 s[28:29], s[34:35]
; %bb.8520:                             ;   in Loop: Header=BB4_7680 Depth=3
	v_or_b32_e32 v20, 0x7b, v3
; %bb.8521:                             ;   in Loop: Header=BB4_7680 Depth=3
	s_or_b64 exec, exec, s[28:29]
                                        ; implicit-def: $vgpr2
                                        ; implicit-def: $vgpr0_vgpr1
.LBB4_8522:                             ;   in Loop: Header=BB4_7680 Depth=3
	s_andn2_saveexec_b64 s[28:29], s[30:31]
	s_cbranch_execz .LBB4_8528
; %bb.8523:                             ;   in Loop: Header=BB4_7680 Depth=3
	v_cmp_ne_u64_e32 vcc, 0, v[0:1]
                                        ; implicit-def: $vgpr20
	s_and_saveexec_b64 s[30:31], vcc
	s_xor_b64 vcc, exec, s[30:31]
; %bb.8524:                             ;   in Loop: Header=BB4_7680 Depth=3
	v_or_b32_sdwa v20, v2, s47 dst_sel:DWORD dst_unused:UNUSED_PAD src0_sel:BYTE_3 src1_sel:DWORD
                                        ; implicit-def: $vgpr2
; %bb.8525:                             ;   in Loop: Header=BB4_7680 Depth=3
	s_andn2_saveexec_b64 s[30:31], vcc
; %bb.8526:                             ;   in Loop: Header=BB4_7680 Depth=3
	v_cmp_lt_i32_e32 vcc, -1, v2
	v_bfrev_b32_e32 v0, 0.5
	v_cndmask_b32_e32 v20, v0, v52, vcc
; %bb.8527:                             ;   in Loop: Header=BB4_7680 Depth=3
	s_or_b64 exec, exec, s[30:31]
.LBB4_8528:                             ;   in Loop: Header=BB4_7680 Depth=3
	s_or_b64 exec, exec, s[28:29]
	v_lshrrev_b32_e32 v0, 16, v11
	v_cmp_ne_u16_sdwa vcc, v0, v17 src0_sel:BYTE_0 src1_sel:DWORD
	v_mov_b32_e32 v1, 0
	s_and_saveexec_b64 s[28:29], vcc
	s_cbranch_execz .LBB4_8536
; %bb.8529:                             ;   in Loop: Header=BB4_7680 Depth=3
	v_cmp_ne_u16_sdwa vcc, v0, s96 src0_sel:BYTE_0 src1_sel:DWORD
	v_bfrev_b32_e32 v1, 1
	s_and_saveexec_b64 s[30:31], vcc
	s_cbranch_execz .LBB4_8535
; %bb.8530:                             ;   in Loop: Header=BB4_7680 Depth=3
	v_and_b32_e32 v1, 0x7c0000, v11
	v_bfe_u32 v2, v11, 16, 2
	v_cmp_ne_u32_e32 vcc, s44, v1
                                        ; implicit-def: $vgpr1
	s_and_saveexec_b64 s[34:35], vcc
	s_xor_b64 s[34:35], exec, s[34:35]
	s_cbranch_execz .LBB4_8532
; %bb.8531:                             ;   in Loop: Header=BB4_7680 Depth=3
	v_ffbh_u32_e32 v1, v2
	v_min_u32_e32 v6, 32, v1
	v_subrev_u32_e32 v1, 29, v6
	v_lshlrev_b64 v[0:1], v1, v[0:1]
	v_bfe_u32 v3, v11, 18, 5
	v_and_b32_e32 v0, 3, v0
	v_cmp_eq_u32_e32 vcc, 0, v3
	v_sub_u32_e32 v1, 30, v6
	v_cndmask_b32_e32 v0, v2, v0, vcc
	v_lshlrev_b32_e32 v2, 8, v11
	v_cndmask_b32_e32 v1, v3, v1, vcc
	v_and_b32_e32 v2, 0x80000000, v2
	v_lshl_add_u32 v1, v1, 23, v2
	v_lshl_or_b32 v0, v0, 21, v1
	v_add_u32_e32 v1, 0x38000000, v0
                                        ; implicit-def: $vgpr2
                                        ; implicit-def: $vgpr0
.LBB4_8532:                             ;   in Loop: Header=BB4_7680 Depth=3
	s_andn2_saveexec_b64 s[34:35], s[34:35]
; %bb.8533:                             ;   in Loop: Header=BB4_7680 Depth=3
	v_mov_b32_e32 v1, -1
	v_cmp_gt_i16_sdwa vcc, sext(v0), v1 src0_sel:BYTE_0 src1_sel:DWORD
	v_mov_b32_e32 v0, 0xff800000
	v_mov_b32_e32 v1, 0x7f800000
	v_cndmask_b32_e32 v0, v0, v1, vcc
	v_cmp_eq_u32_e32 vcc, 0, v2
	v_mov_b32_e32 v1, 0x7f800001
	v_cndmask_b32_e32 v1, v1, v0, vcc
; %bb.8534:                             ;   in Loop: Header=BB4_7680 Depth=3
	s_or_b64 exec, exec, s[34:35]
.LBB4_8535:                             ;   in Loop: Header=BB4_7680 Depth=3
	s_or_b64 exec, exec, s[30:31]
.LBB4_8536:                             ;   in Loop: Header=BB4_7680 Depth=3
	s_or_b64 exec, exec, s[28:29]
	v_mul_f32_e32 v2, v12, v1
	v_and_b32_e32 v8, 0x7f800000, v2
	v_mov_b32_e32 v9, v17
	v_cmp_ne_u64_e32 vcc, s[76:77], v[8:9]
	v_and_b32_e32 v0, 0x7fffff, v2
	v_mov_b32_e32 v1, v17
                                        ; implicit-def: $vgpr23
	s_and_saveexec_b64 s[28:29], vcc
	s_xor_b64 s[30:31], exec, s[28:29]
	s_cbranch_execz .LBB4_8550
; %bb.8537:                             ;   in Loop: Header=BB4_7680 Depth=3
	v_and_b32_e32 v8, 0x7fffffff, v2
	v_mov_b32_e32 v9, v17
	v_cmp_gt_u64_e32 vcc, s[78:79], v[8:9]
	v_and_b32_sdwa v3, v2, s96 dst_sel:DWORD dst_unused:UNUSED_PAD src0_sel:BYTE_3 src1_sel:DWORD
                                        ; implicit-def: $vgpr23
	s_and_saveexec_b64 s[28:29], vcc
	s_xor_b64 s[34:35], exec, s[28:29]
	s_cbranch_execz .LBB4_8547
; %bb.8538:                             ;   in Loop: Header=BB4_7680 Depth=3
	v_mov_b32_e32 v23, 0
	v_cmp_ne_u32_e32 vcc, 0, v2
	s_and_saveexec_b64 s[36:37], vcc
	s_cbranch_execz .LBB4_8546
; %bb.8539:                             ;   in Loop: Header=BB4_7680 Depth=3
	v_bfe_u32 v8, v2, 23, 8
	v_cmp_gt_u32_e64 s[28:29], s46, v8
	v_sub_u32_e32 v2, 0x71, v8
	v_cmp_eq_u32_e32 vcc, 0, v8
	v_cndmask_b32_e64 v2, 0, v2, s[28:29]
	v_mov_b32_e32 v9, 0x70
	v_cndmask_b32_e32 v9, v2, v9, vcc
	v_add_u32_e32 v2, 21, v9
	v_or_b32_e32 v6, 0x800000, v0
	v_lshlrev_b64 v[13:14], v2, -1
	v_cndmask_b32_e32 v0, v6, v0, vcc
	v_add_u32_e32 v2, 20, v9
	v_bfi_b32 v13, v13, 0, v0
	v_lshlrev_b64 v[48:49], v2, 1
	v_lshrrev_b64 v[0:1], v9, v[0:1]
	v_bfi_b32 v14, v14, 0, 0
	v_cmp_eq_u64_e64 s[28:29], v[13:14], v[48:49]
	v_mov_b32_e32 v2, v1
	v_mov_b32_e32 v1, v0
	s_and_saveexec_b64 s[38:39], s[28:29]
; %bb.8540:                             ;   in Loop: Header=BB4_7680 Depth=3
	v_bfe_u32 v1, v0, 21, 1
	v_add_co_u32_e64 v1, s[28:29], v0, v1
	v_add_co_u32_e64 v1, s[28:29], -1, v1
; %bb.8541:                             ;   in Loop: Header=BB4_7680 Depth=3
	s_or_b64 exec, exec, s[38:39]
	v_add_u32_e32 v2, 0xffffff81, v8
	v_mov_b32_e32 v6, 0xffffff82
	v_cndmask_b32_e32 v2, v2, v6, vcc
	v_lshrrev_b32_e32 v6, 23, v0
	v_add3_u32 v9, v9, v2, v6
	v_add_u32_e32 v8, 14, v9
	v_and_b32_e32 v1, 0x1fffff, v1
	v_add_u32_e32 v0, v1, v0
	v_mov_b32_e32 v1, v17
	v_cmp_ne_u32_e32 vcc, 0, v8
                                        ; implicit-def: $vgpr2
	s_and_saveexec_b64 s[28:29], vcc
	s_xor_b64 s[28:29], exec, s[28:29]
; %bb.8542:                             ;   in Loop: Header=BB4_7680 Depth=3
	v_cmp_lt_u64_e32 vcc, s[88:89], v[0:1]
	v_add_u32_e32 v2, 15, v9
	v_cndmask_b32_e64 v6, 0, 1, vcc
	v_lshrrev_b64 v[0:1], v6, v[0:1]
	v_cndmask_b32_e32 v2, v8, v2, vcc
; %bb.8543:                             ;   in Loop: Header=BB4_7680 Depth=3
	s_andn2_saveexec_b64 s[28:29], s[28:29]
; %bb.8544:                             ;   in Loop: Header=BB4_7680 Depth=3
	v_bfe_u32 v2, v0, 23, 1
; %bb.8545:                             ;   in Loop: Header=BB4_7680 Depth=3
	s_or_b64 exec, exec, s[28:29]
	v_lshrrev_b64 v[0:1], 21, v[0:1]
	v_cmp_gt_i32_e32 vcc, 32, v2
	v_cndmask_b32_e32 v1, 0, v1, vcc
	v_cndmask_b32_e32 v0, 3, v0, vcc
	v_cmp_eq_u64_e64 s[28:29], 0, v[0:1]
	v_min_i32_e32 v1, 31, v2
	v_lshlrev_b32_e32 v1, 2, v1
	v_cmp_eq_u32_e32 vcc, 0, v2
	v_and_b32_e32 v1, 0xfc, v1
	v_and_or_b32 v0, v0, 3, v1
	s_and_b64 s[28:29], vcc, s[28:29]
	v_cndmask_b32_e64 v0, v0, 0, s[28:29]
	v_or_b32_e32 v23, v0, v3
.LBB4_8546:                             ;   in Loop: Header=BB4_7680 Depth=3
	s_or_b64 exec, exec, s[36:37]
                                        ; implicit-def: $vgpr3
.LBB4_8547:                             ;   in Loop: Header=BB4_7680 Depth=3
	s_andn2_saveexec_b64 s[28:29], s[34:35]
; %bb.8548:                             ;   in Loop: Header=BB4_7680 Depth=3
	v_or_b32_e32 v23, 0x7b, v3
; %bb.8549:                             ;   in Loop: Header=BB4_7680 Depth=3
	s_or_b64 exec, exec, s[28:29]
                                        ; implicit-def: $vgpr2
                                        ; implicit-def: $vgpr0_vgpr1
.LBB4_8550:                             ;   in Loop: Header=BB4_7680 Depth=3
	s_andn2_saveexec_b64 s[28:29], s[30:31]
	s_cbranch_execz .LBB4_8556
; %bb.8551:                             ;   in Loop: Header=BB4_7680 Depth=3
	v_cmp_ne_u64_e32 vcc, 0, v[0:1]
                                        ; implicit-def: $vgpr23
	s_and_saveexec_b64 s[30:31], vcc
	s_xor_b64 vcc, exec, s[30:31]
; %bb.8552:                             ;   in Loop: Header=BB4_7680 Depth=3
	v_or_b32_sdwa v23, v2, s47 dst_sel:DWORD dst_unused:UNUSED_PAD src0_sel:BYTE_3 src1_sel:DWORD
                                        ; implicit-def: $vgpr2
; %bb.8553:                             ;   in Loop: Header=BB4_7680 Depth=3
	s_andn2_saveexec_b64 s[30:31], vcc
; %bb.8554:                             ;   in Loop: Header=BB4_7680 Depth=3
	v_cmp_lt_i32_e32 vcc, -1, v2
	v_bfrev_b32_e32 v0, 0.5
	v_cndmask_b32_e32 v23, v0, v52, vcc
; %bb.8555:                             ;   in Loop: Header=BB4_7680 Depth=3
	s_or_b64 exec, exec, s[30:31]
.LBB4_8556:                             ;   in Loop: Header=BB4_7680 Depth=3
	s_or_b64 exec, exec, s[28:29]
	v_cmp_lt_u64_e32 vcc, s[56:57], v[10:11]
	v_mov_b32_e32 v1, 0
	s_and_saveexec_b64 s[28:29], vcc
	s_cbranch_execz .LBB4_8564
; %bb.8557:                             ;   in Loop: Header=BB4_7680 Depth=3
	v_lshrrev_b32_e32 v0, 24, v11
	v_cmp_ne_u32_e32 vcc, s96, v0
	v_bfrev_b32_e32 v1, 1
	s_and_saveexec_b64 s[30:31], vcc
	s_cbranch_execz .LBB4_8563
; %bb.8558:                             ;   in Loop: Header=BB4_7680 Depth=3
	v_and_b32_e32 v1, 0x7c000000, v11
	v_bfe_u32 v2, v11, 24, 2
	v_cmp_ne_u32_e32 vcc, s45, v1
                                        ; implicit-def: $vgpr1
	s_and_saveexec_b64 s[34:35], vcc
	s_xor_b64 s[34:35], exec, s[34:35]
	s_cbranch_execz .LBB4_8560
; %bb.8559:                             ;   in Loop: Header=BB4_7680 Depth=3
	v_ffbh_u32_e32 v1, v2
	v_min_u32_e32 v6, 32, v1
	v_subrev_u32_e32 v1, 29, v6
	v_lshlrev_b64 v[0:1], v1, v[0:1]
	v_bfe_u32 v3, v11, 26, 5
	v_sub_u32_e32 v1, 30, v6
	v_and_b32_e32 v0, 3, v0
	v_cmp_eq_u32_e32 vcc, 0, v3
	v_cndmask_b32_e32 v1, v3, v1, vcc
	v_cndmask_b32_e32 v0, v2, v0, vcc
	v_and_b32_e32 v2, 0x80000000, v11
	v_lshl_add_u32 v1, v1, 23, v2
	v_lshl_or_b32 v0, v0, 21, v1
	v_add_u32_e32 v1, 0x38000000, v0
                                        ; implicit-def: $vgpr2
                                        ; implicit-def: $vgpr10_vgpr11
.LBB4_8560:                             ;   in Loop: Header=BB4_7680 Depth=3
	s_andn2_saveexec_b64 s[34:35], s[34:35]
; %bb.8561:                             ;   in Loop: Header=BB4_7680 Depth=3
	v_cmp_lt_i64_e32 vcc, -1, v[10:11]
	v_mov_b32_e32 v0, 0xff800000
	v_mov_b32_e32 v1, 0x7f800000
	v_cndmask_b32_e32 v0, v0, v1, vcc
	v_cmp_eq_u32_e32 vcc, 0, v2
	v_mov_b32_e32 v1, 0x7f800001
	v_cndmask_b32_e32 v1, v1, v0, vcc
; %bb.8562:                             ;   in Loop: Header=BB4_7680 Depth=3
	s_or_b64 exec, exec, s[34:35]
.LBB4_8563:                             ;   in Loop: Header=BB4_7680 Depth=3
	s_or_b64 exec, exec, s[30:31]
.LBB4_8564:                             ;   in Loop: Header=BB4_7680 Depth=3
	s_or_b64 exec, exec, s[28:29]
	v_mul_f32_e32 v2, v12, v1
	v_and_b32_e32 v8, 0x7f800000, v2
	v_mov_b32_e32 v9, v17
	v_cmp_ne_u64_e32 vcc, s[76:77], v[8:9]
	v_and_b32_e32 v0, 0x7fffff, v2
	v_mov_b32_e32 v1, v17
                                        ; implicit-def: $vgpr27
	s_and_saveexec_b64 s[28:29], vcc
	s_xor_b64 s[30:31], exec, s[28:29]
	s_cbranch_execz .LBB4_8578
; %bb.8565:                             ;   in Loop: Header=BB4_7680 Depth=3
	v_and_b32_e32 v8, 0x7fffffff, v2
	v_mov_b32_e32 v9, v17
	v_cmp_gt_u64_e32 vcc, s[78:79], v[8:9]
	v_and_b32_sdwa v3, v2, s96 dst_sel:DWORD dst_unused:UNUSED_PAD src0_sel:BYTE_3 src1_sel:DWORD
                                        ; implicit-def: $vgpr27
	s_and_saveexec_b64 s[28:29], vcc
	s_xor_b64 s[34:35], exec, s[28:29]
	s_cbranch_execz .LBB4_8575
; %bb.8566:                             ;   in Loop: Header=BB4_7680 Depth=3
	v_mov_b32_e32 v27, 0
	v_cmp_ne_u32_e32 vcc, 0, v2
	s_and_saveexec_b64 s[36:37], vcc
	s_cbranch_execz .LBB4_8574
; %bb.8567:                             ;   in Loop: Header=BB4_7680 Depth=3
	v_bfe_u32 v8, v2, 23, 8
	v_cmp_gt_u32_e64 s[28:29], s46, v8
	v_sub_u32_e32 v2, 0x71, v8
	v_cmp_eq_u32_e32 vcc, 0, v8
	v_cndmask_b32_e64 v2, 0, v2, s[28:29]
	v_mov_b32_e32 v9, 0x70
	v_cndmask_b32_e32 v9, v2, v9, vcc
	v_add_u32_e32 v2, 21, v9
	v_or_b32_e32 v6, 0x800000, v0
	v_lshlrev_b64 v[10:11], v2, -1
	v_cndmask_b32_e32 v0, v6, v0, vcc
	v_add_u32_e32 v2, 20, v9
	v_bfi_b32 v10, v10, 0, v0
	v_lshlrev_b64 v[12:13], v2, 1
	v_lshrrev_b64 v[0:1], v9, v[0:1]
	v_bfi_b32 v11, v11, 0, 0
	v_cmp_eq_u64_e64 s[28:29], v[10:11], v[12:13]
	v_mov_b32_e32 v2, v1
	v_mov_b32_e32 v1, v0
	s_and_saveexec_b64 s[38:39], s[28:29]
; %bb.8568:                             ;   in Loop: Header=BB4_7680 Depth=3
	v_bfe_u32 v1, v0, 21, 1
	v_add_co_u32_e64 v1, s[28:29], v0, v1
	v_add_co_u32_e64 v1, s[28:29], -1, v1
; %bb.8569:                             ;   in Loop: Header=BB4_7680 Depth=3
	s_or_b64 exec, exec, s[38:39]
	v_add_u32_e32 v2, 0xffffff81, v8
	v_mov_b32_e32 v6, 0xffffff82
	v_cndmask_b32_e32 v2, v2, v6, vcc
	v_lshrrev_b32_e32 v6, 23, v0
	v_add3_u32 v9, v9, v2, v6
	v_add_u32_e32 v8, 14, v9
	v_and_b32_e32 v1, 0x1fffff, v1
	v_add_u32_e32 v0, v1, v0
	v_mov_b32_e32 v1, v17
	v_cmp_ne_u32_e32 vcc, 0, v8
                                        ; implicit-def: $vgpr2
	s_and_saveexec_b64 s[28:29], vcc
	s_xor_b64 s[28:29], exec, s[28:29]
; %bb.8570:                             ;   in Loop: Header=BB4_7680 Depth=3
	v_cmp_lt_u64_e32 vcc, s[88:89], v[0:1]
	v_add_u32_e32 v2, 15, v9
	v_cndmask_b32_e64 v6, 0, 1, vcc
	v_lshrrev_b64 v[0:1], v6, v[0:1]
	v_cndmask_b32_e32 v2, v8, v2, vcc
; %bb.8571:                             ;   in Loop: Header=BB4_7680 Depth=3
	s_andn2_saveexec_b64 s[28:29], s[28:29]
; %bb.8572:                             ;   in Loop: Header=BB4_7680 Depth=3
	v_bfe_u32 v2, v0, 23, 1
; %bb.8573:                             ;   in Loop: Header=BB4_7680 Depth=3
	s_or_b64 exec, exec, s[28:29]
	v_lshrrev_b64 v[0:1], 21, v[0:1]
	v_cmp_gt_i32_e32 vcc, 32, v2
	v_cndmask_b32_e32 v1, 0, v1, vcc
	v_cndmask_b32_e32 v0, 3, v0, vcc
	v_cmp_eq_u64_e64 s[28:29], 0, v[0:1]
	v_min_i32_e32 v1, 31, v2
	v_lshlrev_b32_e32 v1, 2, v1
	v_cmp_eq_u32_e32 vcc, 0, v2
	v_and_b32_e32 v1, 0xfc, v1
	v_and_or_b32 v0, v0, 3, v1
	s_and_b64 s[28:29], vcc, s[28:29]
	v_cndmask_b32_e64 v0, v0, 0, s[28:29]
	v_or_b32_e32 v27, v0, v3
.LBB4_8574:                             ;   in Loop: Header=BB4_7680 Depth=3
	s_or_b64 exec, exec, s[36:37]
                                        ; implicit-def: $vgpr3
.LBB4_8575:                             ;   in Loop: Header=BB4_7680 Depth=3
	s_andn2_saveexec_b64 s[28:29], s[34:35]
; %bb.8576:                             ;   in Loop: Header=BB4_7680 Depth=3
	v_or_b32_e32 v27, 0x7b, v3
; %bb.8577:                             ;   in Loop: Header=BB4_7680 Depth=3
	s_or_b64 exec, exec, s[28:29]
                                        ; implicit-def: $vgpr2
                                        ; implicit-def: $vgpr0_vgpr1
.LBB4_8578:                             ;   in Loop: Header=BB4_7680 Depth=3
	s_andn2_saveexec_b64 s[28:29], s[30:31]
	s_cbranch_execz .LBB4_8584
; %bb.8579:                             ;   in Loop: Header=BB4_7680 Depth=3
	v_cmp_ne_u64_e32 vcc, 0, v[0:1]
                                        ; implicit-def: $vgpr27
	s_and_saveexec_b64 s[30:31], vcc
	s_xor_b64 vcc, exec, s[30:31]
; %bb.8580:                             ;   in Loop: Header=BB4_7680 Depth=3
	v_or_b32_sdwa v27, v2, s47 dst_sel:DWORD dst_unused:UNUSED_PAD src0_sel:BYTE_3 src1_sel:DWORD
                                        ; implicit-def: $vgpr2
; %bb.8581:                             ;   in Loop: Header=BB4_7680 Depth=3
	s_andn2_saveexec_b64 s[30:31], vcc
; %bb.8582:                             ;   in Loop: Header=BB4_7680 Depth=3
	v_cmp_lt_i32_e32 vcc, -1, v2
	v_bfrev_b32_e32 v0, 0.5
	v_cndmask_b32_e32 v27, v0, v52, vcc
; %bb.8583:                             ;   in Loop: Header=BB4_7680 Depth=3
	s_or_b64 exec, exec, s[30:31]
.LBB4_8584:                             ;   in Loop: Header=BB4_7680 Depth=3
	s_or_b64 exec, exec, s[28:29]
	global_load_dwordx4 v[12:15], v[57:58], off glc slc
	global_load_dwordx4 v[8:11], v[57:58], off offset:1024 glc slc
	v_lshl_or_b32 v18, v18, 8, v7
	v_lshlrev_b32_e32 v0, 16, v22
	v_lshlrev_b32_e32 v1, 24, v31
	v_or3_b32 v0, v0, v1, v18
	v_mov_b32_e32 v1, v17
	v_cmp_ne_u32_e32 vcc, 0, v7
	v_mov_b32_e32 v2, 0
	v_mov_b32_e32 v3, 0
	s_and_saveexec_b64 s[30:31], vcc
	s_cbranch_execz .LBB4_8592
; %bb.8585:                             ;   in Loop: Header=BB4_7680 Depth=3
	v_cmp_ne_u32_e32 vcc, s96, v7
	v_bfrev_b32_e32 v3, 1
	s_and_saveexec_b64 s[34:35], vcc
	s_cbranch_execz .LBB4_8591
; %bb.8586:                             ;   in Loop: Header=BB4_7680 Depth=3
	v_and_b32_e32 v3, 0x7c, v7
	v_and_b32_e32 v22, 3, v7
	v_cmp_ne_u32_e32 vcc, s85, v3
                                        ; implicit-def: $vgpr3
	s_and_saveexec_b64 s[28:29], vcc
	s_xor_b64 s[28:29], exec, s[28:29]
	s_cbranch_execz .LBB4_8588
; %bb.8587:                             ;   in Loop: Header=BB4_7680 Depth=3
	v_ffbh_u32_e32 v6, v22
	v_min_u32_e32 v6, 32, v6
	v_subrev_u32_e32 v28, 29, v6
	v_lshlrev_b64 v[48:49], v28, v[0:1]
	v_bfe_u32 v3, v7, 2, 5
	v_sub_u32_e32 v1, 30, v6
	v_and_b32_e32 v6, 3, v48
	v_cmp_eq_u32_e32 vcc, 0, v3
	v_cndmask_b32_e32 v1, v3, v1, vcc
	v_cndmask_b32_e32 v3, v22, v6, vcc
	v_lshlrev_b32_e32 v6, 24, v7
	v_and_b32_e32 v6, 0x80000000, v6
	v_lshl_add_u32 v1, v1, 23, v6
	v_lshl_or_b32 v1, v3, 21, v1
	v_add_u32_e32 v3, 0x38000000, v1
                                        ; implicit-def: $vgpr22
                                        ; implicit-def: $vgpr7
.LBB4_8588:                             ;   in Loop: Header=BB4_7680 Depth=3
	s_andn2_saveexec_b64 s[36:37], s[28:29]
; %bb.8589:                             ;   in Loop: Header=BB4_7680 Depth=3
	v_and_b32_e32 v1, 0x80, v7
	v_cmp_eq_u32_e64 s[28:29], 0, v1
	v_mov_b32_e32 v1, 0xff800000
	v_mov_b32_e32 v3, 0x7f800000
	v_cmp_eq_u32_e32 vcc, 0, v22
	v_cndmask_b32_e64 v1, v1, v3, s[28:29]
	v_mov_b32_e32 v3, 0x7f800001
	v_cndmask_b32_e32 v3, v3, v1, vcc
; %bb.8590:                             ;   in Loop: Header=BB4_7680 Depth=3
	s_or_b64 exec, exec, s[36:37]
.LBB4_8591:                             ;   in Loop: Header=BB4_7680 Depth=3
	s_or_b64 exec, exec, s[34:35]
.LBB4_8592:                             ;   in Loop: Header=BB4_7680 Depth=3
	s_or_b64 exec, exec, s[30:31]
	s_waitcnt vmcnt(1)
	v_cmp_ne_u16_sdwa vcc, v12, v17 src0_sel:BYTE_0 src1_sel:DWORD
	s_and_saveexec_b64 s[28:29], vcc
	s_cbranch_execz .LBB4_8600
; %bb.8593:                             ;   in Loop: Header=BB4_7680 Depth=3
	v_cmp_ne_u16_sdwa vcc, sext(v12), s97 src0_sel:BYTE_0 src1_sel:DWORD
	v_bfrev_b32_e32 v2, 1
	s_and_saveexec_b64 s[30:31], vcc
	s_cbranch_execz .LBB4_8599
; %bb.8594:                             ;   in Loop: Header=BB4_7680 Depth=3
	v_and_b32_e32 v2, 0x7c, v12
	v_and_b32_e32 v1, 3, v12
	v_cmp_ne_u32_e32 vcc, s85, v2
                                        ; implicit-def: $vgpr2
	s_and_saveexec_b64 s[34:35], vcc
	s_xor_b64 s[34:35], exec, s[34:35]
	s_cbranch_execz .LBB4_8596
; %bb.8595:                             ;   in Loop: Header=BB4_7680 Depth=3
	v_ffbh_u32_e32 v6, v1
	v_min_u32_e32 v6, 32, v6
	v_bfe_u32 v2, v12, 2, 5
	v_subrev_u32_e32 v7, 29, v6
	v_lshlrev_b64 v[48:49], v7, v[12:13]
	v_sub_u32_e32 v6, 30, v6
	v_cmp_eq_u32_e32 vcc, 0, v2
	v_cndmask_b32_e32 v2, v2, v6, vcc
	v_lshlrev_b32_e32 v6, 24, v12
	v_and_b32_e32 v7, 3, v48
	v_and_b32_e32 v6, 0x80000000, v6
	v_cndmask_b32_e32 v1, v1, v7, vcc
	v_lshl_add_u32 v2, v2, 23, v6
	v_lshl_or_b32 v1, v1, 21, v2
	v_add_u32_e32 v2, 0x38000000, v1
                                        ; implicit-def: $vgpr1
.LBB4_8596:                             ;   in Loop: Header=BB4_7680 Depth=3
	s_andn2_saveexec_b64 s[34:35], s[34:35]
; %bb.8597:                             ;   in Loop: Header=BB4_7680 Depth=3
	v_mov_b32_e32 v2, -1
	v_cmp_gt_i16_sdwa vcc, sext(v12), v2 src0_sel:BYTE_0 src1_sel:DWORD
	v_mov_b32_e32 v2, 0xff800000
	v_mov_b32_e32 v6, 0x7f800000
	v_cndmask_b32_e32 v2, v2, v6, vcc
	v_cmp_eq_u32_e32 vcc, 0, v1
	v_mov_b32_e32 v1, 0x7f800001
	v_cndmask_b32_e32 v2, v1, v2, vcc
; %bb.8598:                             ;   in Loop: Header=BB4_7680 Depth=3
	s_or_b64 exec, exec, s[34:35]
.LBB4_8599:                             ;   in Loop: Header=BB4_7680 Depth=3
	s_or_b64 exec, exec, s[30:31]
.LBB4_8600:                             ;   in Loop: Header=BB4_7680 Depth=3
	s_or_b64 exec, exec, s[28:29]
	v_add_f32_e32 v3, v3, v2
	v_and_b32_e32 v48, 0x7f800000, v3
	v_mov_b32_e32 v49, v17
	v_cmp_ne_u64_e32 vcc, s[76:77], v[48:49]
	v_and_b32_e32 v1, 0x7fffff, v3
	v_mov_b32_e32 v2, v17
                                        ; implicit-def: $vgpr43
	s_and_saveexec_b64 s[28:29], vcc
	s_xor_b64 s[30:31], exec, s[28:29]
	s_cbranch_execz .LBB4_8614
; %bb.8601:                             ;   in Loop: Header=BB4_7680 Depth=3
	v_and_b32_e32 v48, 0x7fffffff, v3
	v_mov_b32_e32 v49, v17
	v_cmp_gt_u64_e32 vcc, s[78:79], v[48:49]
	v_and_b32_sdwa v22, v3, s96 dst_sel:DWORD dst_unused:UNUSED_PAD src0_sel:BYTE_3 src1_sel:DWORD
                                        ; implicit-def: $vgpr43
	s_and_saveexec_b64 s[28:29], vcc
	s_xor_b64 s[34:35], exec, s[28:29]
	s_cbranch_execz .LBB4_8611
; %bb.8602:                             ;   in Loop: Header=BB4_7680 Depth=3
	v_mov_b32_e32 v43, 0
	v_cmp_ne_u32_e32 vcc, 0, v3
	s_and_saveexec_b64 s[36:37], vcc
	s_cbranch_execz .LBB4_8610
; %bb.8603:                             ;   in Loop: Header=BB4_7680 Depth=3
	v_bfe_u32 v7, v3, 23, 8
	v_cmp_gt_u32_e64 s[28:29], s46, v7
	v_sub_u32_e32 v3, 0x71, v7
	v_cmp_eq_u32_e32 vcc, 0, v7
	v_cndmask_b32_e64 v3, 0, v3, s[28:29]
	v_mov_b32_e32 v28, 0x70
	v_cndmask_b32_e32 v31, v3, v28, vcc
	v_add_u32_e32 v3, 21, v31
	v_or_b32_e32 v6, 0x800000, v1
	v_lshlrev_b64 v[48:49], v3, -1
	v_cndmask_b32_e32 v1, v6, v1, vcc
	v_add_u32_e32 v3, 20, v31
	v_bfi_b32 v48, v48, 0, v1
	v_lshlrev_b64 v[42:43], v3, 1
	v_lshrrev_b64 v[1:2], v31, v[1:2]
	v_bfi_b32 v49, v49, 0, 0
	v_cmp_eq_u64_e64 s[28:29], v[48:49], v[42:43]
	v_mov_b32_e32 v3, v2
	v_mov_b32_e32 v2, v1
	s_and_saveexec_b64 s[38:39], s[28:29]
; %bb.8604:                             ;   in Loop: Header=BB4_7680 Depth=3
	v_bfe_u32 v2, v1, 21, 1
	v_add_co_u32_e64 v2, s[28:29], v1, v2
	v_add_co_u32_e64 v2, s[28:29], -1, v2
; %bb.8605:                             ;   in Loop: Header=BB4_7680 Depth=3
	s_or_b64 exec, exec, s[38:39]
	v_add_u32_e32 v3, 0xffffff81, v7
	v_mov_b32_e32 v6, 0xffffff82
	v_cndmask_b32_e32 v3, v3, v6, vcc
	v_lshrrev_b32_e32 v6, 23, v1
	v_add3_u32 v31, v31, v3, v6
	v_add_u32_e32 v7, 14, v31
	v_and_b32_e32 v2, 0x1fffff, v2
	v_add_u32_e32 v1, v2, v1
	v_mov_b32_e32 v2, v17
	v_cmp_ne_u32_e32 vcc, 0, v7
                                        ; implicit-def: $vgpr3
	s_and_saveexec_b64 s[28:29], vcc
	s_xor_b64 s[28:29], exec, s[28:29]
; %bb.8606:                             ;   in Loop: Header=BB4_7680 Depth=3
	v_cmp_lt_u64_e32 vcc, s[88:89], v[1:2]
	v_add_u32_e32 v3, 15, v31
	v_cndmask_b32_e64 v6, 0, 1, vcc
	v_cndmask_b32_e32 v3, v7, v3, vcc
	v_lshrrev_b64 v[1:2], v6, v[1:2]
; %bb.8607:                             ;   in Loop: Header=BB4_7680 Depth=3
	s_andn2_saveexec_b64 s[28:29], s[28:29]
; %bb.8608:                             ;   in Loop: Header=BB4_7680 Depth=3
	v_bfe_u32 v3, v1, 23, 1
; %bb.8609:                             ;   in Loop: Header=BB4_7680 Depth=3
	s_or_b64 exec, exec, s[28:29]
	v_lshrrev_b64 v[1:2], 21, v[1:2]
	v_cmp_gt_i32_e32 vcc, 32, v3
	v_cndmask_b32_e32 v2, 0, v2, vcc
	v_cndmask_b32_e32 v1, 3, v1, vcc
	v_cmp_eq_u64_e64 s[28:29], 0, v[1:2]
	v_min_i32_e32 v2, 31, v3
	v_lshlrev_b32_e32 v2, 2, v2
	v_cmp_eq_u32_e32 vcc, 0, v3
	v_and_b32_e32 v2, 0xfc, v2
	v_and_or_b32 v1, v1, 3, v2
	s_and_b64 s[28:29], vcc, s[28:29]
	v_cndmask_b32_e64 v1, v1, 0, s[28:29]
	v_or_b32_e32 v43, v1, v22
.LBB4_8610:                             ;   in Loop: Header=BB4_7680 Depth=3
	s_or_b64 exec, exec, s[36:37]
                                        ; implicit-def: $vgpr22
.LBB4_8611:                             ;   in Loop: Header=BB4_7680 Depth=3
	s_andn2_saveexec_b64 s[28:29], s[34:35]
; %bb.8612:                             ;   in Loop: Header=BB4_7680 Depth=3
	v_or_b32_e32 v43, 0x7b, v22
; %bb.8613:                             ;   in Loop: Header=BB4_7680 Depth=3
	s_or_b64 exec, exec, s[28:29]
                                        ; implicit-def: $vgpr3
                                        ; implicit-def: $vgpr1_vgpr2
.LBB4_8614:                             ;   in Loop: Header=BB4_7680 Depth=3
	s_andn2_saveexec_b64 s[28:29], s[30:31]
	s_cbranch_execz .LBB4_8620
; %bb.8615:                             ;   in Loop: Header=BB4_7680 Depth=3
	v_cmp_ne_u64_e32 vcc, 0, v[1:2]
                                        ; implicit-def: $vgpr43
	s_and_saveexec_b64 s[30:31], vcc
	s_xor_b64 vcc, exec, s[30:31]
; %bb.8616:                             ;   in Loop: Header=BB4_7680 Depth=3
	v_or_b32_sdwa v43, v3, s47 dst_sel:DWORD dst_unused:UNUSED_PAD src0_sel:BYTE_3 src1_sel:DWORD
                                        ; implicit-def: $vgpr3
; %bb.8617:                             ;   in Loop: Header=BB4_7680 Depth=3
	s_andn2_saveexec_b64 s[30:31], vcc
; %bb.8618:                             ;   in Loop: Header=BB4_7680 Depth=3
	v_cmp_lt_i32_e32 vcc, -1, v3
	v_bfrev_b32_e32 v1, 0.5
	v_cndmask_b32_e32 v43, v1, v52, vcc
; %bb.8619:                             ;   in Loop: Header=BB4_7680 Depth=3
	s_or_b64 exec, exec, s[30:31]
.LBB4_8620:                             ;   in Loop: Header=BB4_7680 Depth=3
	s_or_b64 exec, exec, s[28:29]
	v_lshrrev_b16_e32 v1, 8, v18
	v_cmp_ne_u16_e32 vcc, 0, v1
	v_mov_b32_e32 v3, 0
	v_mov_b32_e32 v22, 0
	s_and_saveexec_b64 s[28:29], vcc
	s_cbranch_execz .LBB4_8628
; %bb.8621:                             ;   in Loop: Header=BB4_7680 Depth=3
	v_cmp_ne_u16_e32 vcc, s96, v1
	v_bfrev_b32_e32 v22, 1
	s_and_saveexec_b64 s[30:31], vcc
	s_cbranch_execz .LBB4_8627
; %bb.8622:                             ;   in Loop: Header=BB4_7680 Depth=3
	v_and_b32_e32 v2, 0x7c, v1
	v_and_b32_e32 v31, 3, v1
	v_cmp_ne_u32_e32 vcc, s85, v2
                                        ; implicit-def: $vgpr22
	s_and_saveexec_b64 s[34:35], vcc
	s_xor_b64 s[34:35], exec, s[34:35]
	s_cbranch_execz .LBB4_8624
; %bb.8623:                             ;   in Loop: Header=BB4_7680 Depth=3
	v_ffbh_u32_e32 v7, v31
	v_min_u32_e32 v7, 32, v7
	v_mov_b32_e32 v2, v17
	v_subrev_u32_e32 v22, 29, v7
	v_bfe_u32 v6, v1, 2, 5
	v_lshlrev_b64 v[1:2], v22, v[1:2]
	v_sub_u32_e32 v2, 30, v7
	v_cmp_eq_u32_e32 vcc, 0, v6
	v_cndmask_b32_e32 v2, v6, v2, vcc
	v_lshlrev_b32_e32 v6, 16, v18
	v_and_b32_e32 v1, 3, v1
	v_and_b32_e32 v6, 0x80000000, v6
	v_cndmask_b32_e32 v1, v31, v1, vcc
	v_lshl_add_u32 v2, v2, 23, v6
	v_lshl_or_b32 v1, v1, 21, v2
	v_add_u32_e32 v22, 0x38000000, v1
                                        ; implicit-def: $vgpr31
                                        ; implicit-def: $vgpr18
.LBB4_8624:                             ;   in Loop: Header=BB4_7680 Depth=3
	s_andn2_saveexec_b64 s[34:35], s[34:35]
; %bb.8625:                             ;   in Loop: Header=BB4_7680 Depth=3
	v_cmp_lt_i16_e32 vcc, -1, v18
	v_mov_b32_e32 v1, 0xff800000
	v_mov_b32_e32 v2, 0x7f800000
	v_cndmask_b32_e32 v1, v1, v2, vcc
	v_cmp_eq_u32_e32 vcc, 0, v31
	v_mov_b32_e32 v2, 0x7f800001
	v_cndmask_b32_e32 v22, v2, v1, vcc
; %bb.8626:                             ;   in Loop: Header=BB4_7680 Depth=3
	s_or_b64 exec, exec, s[34:35]
.LBB4_8627:                             ;   in Loop: Header=BB4_7680 Depth=3
	s_or_b64 exec, exec, s[30:31]
.LBB4_8628:                             ;   in Loop: Header=BB4_7680 Depth=3
	s_or_b64 exec, exec, s[28:29]
	v_lshrrev_b16_e32 v1, 8, v12
	v_cmp_ne_u16_e32 vcc, 0, v1
	s_and_saveexec_b64 s[28:29], vcc
	s_cbranch_execz .LBB4_8636
; %bb.8629:                             ;   in Loop: Header=BB4_7680 Depth=3
	v_cmp_ne_u16_e32 vcc, s96, v1
	v_bfrev_b32_e32 v3, 1
	s_and_saveexec_b64 s[30:31], vcc
	s_cbranch_execz .LBB4_8635
; %bb.8630:                             ;   in Loop: Header=BB4_7680 Depth=3
	v_and_b32_e32 v2, 0x7c, v1
	v_and_b32_e32 v18, 3, v1
	v_cmp_ne_u32_e32 vcc, s85, v2
                                        ; implicit-def: $vgpr3
	s_and_saveexec_b64 s[34:35], vcc
	s_xor_b64 s[34:35], exec, s[34:35]
	s_cbranch_execz .LBB4_8632
; %bb.8631:                             ;   in Loop: Header=BB4_7680 Depth=3
	v_ffbh_u32_e32 v6, v18
	v_min_u32_e32 v6, 32, v6
	v_mov_b32_e32 v2, v17
	v_subrev_u32_e32 v7, 29, v6
	v_bfe_u32 v3, v1, 2, 5
	v_lshlrev_b64 v[1:2], v7, v[1:2]
	v_sub_u32_e32 v2, 30, v6
	v_cmp_eq_u32_e32 vcc, 0, v3
	v_cndmask_b32_e32 v2, v3, v2, vcc
	v_lshlrev_b32_e32 v3, 16, v12
	v_and_b32_e32 v1, 3, v1
	v_and_b32_e32 v3, 0x80000000, v3
	v_cndmask_b32_e32 v1, v18, v1, vcc
	v_lshl_add_u32 v2, v2, 23, v3
	v_lshl_or_b32 v1, v1, 21, v2
	v_add_u32_e32 v3, 0x38000000, v1
                                        ; implicit-def: $vgpr18
.LBB4_8632:                             ;   in Loop: Header=BB4_7680 Depth=3
	s_andn2_saveexec_b64 s[34:35], s[34:35]
; %bb.8633:                             ;   in Loop: Header=BB4_7680 Depth=3
	v_cmp_lt_i16_e32 vcc, -1, v12
	v_mov_b32_e32 v1, 0xff800000
	v_mov_b32_e32 v2, 0x7f800000
	v_cndmask_b32_e32 v1, v1, v2, vcc
	v_cmp_eq_u32_e32 vcc, 0, v18
	v_mov_b32_e32 v2, 0x7f800001
	v_cndmask_b32_e32 v3, v2, v1, vcc
; %bb.8634:                             ;   in Loop: Header=BB4_7680 Depth=3
	s_or_b64 exec, exec, s[34:35]
.LBB4_8635:                             ;   in Loop: Header=BB4_7680 Depth=3
	s_or_b64 exec, exec, s[30:31]
.LBB4_8636:                             ;   in Loop: Header=BB4_7680 Depth=3
	s_or_b64 exec, exec, s[28:29]
	v_add_f32_e32 v3, v22, v3
	v_and_b32_e32 v48, 0x7f800000, v3
	v_mov_b32_e32 v49, v17
	v_cmp_ne_u64_e32 vcc, s[76:77], v[48:49]
	v_and_b32_e32 v1, 0x7fffff, v3
	v_mov_b32_e32 v2, v17
                                        ; implicit-def: $vgpr18
	s_and_saveexec_b64 s[28:29], vcc
	s_xor_b64 s[30:31], exec, s[28:29]
	s_cbranch_execz .LBB4_8650
; %bb.8637:                             ;   in Loop: Header=BB4_7680 Depth=3
	v_and_b32_e32 v48, 0x7fffffff, v3
	v_mov_b32_e32 v49, v17
	v_cmp_gt_u64_e32 vcc, s[78:79], v[48:49]
	v_and_b32_sdwa v22, v3, s96 dst_sel:DWORD dst_unused:UNUSED_PAD src0_sel:BYTE_3 src1_sel:DWORD
                                        ; implicit-def: $vgpr18
	s_and_saveexec_b64 s[28:29], vcc
	s_xor_b64 s[34:35], exec, s[28:29]
	s_cbranch_execz .LBB4_8647
; %bb.8638:                             ;   in Loop: Header=BB4_7680 Depth=3
	v_mov_b32_e32 v18, 0
	v_cmp_ne_u32_e32 vcc, 0, v3
	s_and_saveexec_b64 s[36:37], vcc
	s_cbranch_execz .LBB4_8646
; %bb.8639:                             ;   in Loop: Header=BB4_7680 Depth=3
	v_bfe_u32 v18, v3, 23, 8
	v_cmp_gt_u32_e64 s[28:29], s46, v18
	v_sub_u32_e32 v3, 0x71, v18
	v_cmp_eq_u32_e32 vcc, 0, v18
	v_cndmask_b32_e64 v3, 0, v3, s[28:29]
	v_mov_b32_e32 v7, 0x70
	v_cndmask_b32_e32 v31, v3, v7, vcc
	v_add_u32_e32 v3, 21, v31
	v_or_b32_e32 v6, 0x800000, v1
	v_lshlrev_b64 v[48:49], v3, -1
	v_cndmask_b32_e32 v1, v6, v1, vcc
	v_add_u32_e32 v3, 20, v31
	v_mov_b32_e32 v28, v43
	v_bfi_b32 v48, v48, 0, v1
	v_lshlrev_b64 v[42:43], v3, 1
	v_lshrrev_b64 v[1:2], v31, v[1:2]
	v_bfi_b32 v49, v49, 0, 0
	v_cmp_eq_u64_e64 s[28:29], v[48:49], v[42:43]
	v_mov_b32_e32 v3, v2
	v_mov_b32_e32 v2, v1
	s_and_saveexec_b64 s[38:39], s[28:29]
; %bb.8640:                             ;   in Loop: Header=BB4_7680 Depth=3
	v_bfe_u32 v2, v1, 21, 1
	v_add_co_u32_e64 v2, s[28:29], v1, v2
	v_add_co_u32_e64 v2, s[28:29], -1, v2
; %bb.8641:                             ;   in Loop: Header=BB4_7680 Depth=3
	s_or_b64 exec, exec, s[38:39]
	v_add_u32_e32 v3, 0xffffff81, v18
	v_mov_b32_e32 v6, 0xffffff82
	v_cndmask_b32_e32 v3, v3, v6, vcc
	v_lshrrev_b32_e32 v6, 23, v1
	v_add3_u32 v31, v31, v3, v6
	v_add_u32_e32 v18, 14, v31
	v_and_b32_e32 v2, 0x1fffff, v2
	v_add_u32_e32 v1, v2, v1
	v_mov_b32_e32 v2, v17
	v_cmp_ne_u32_e32 vcc, 0, v18
                                        ; implicit-def: $vgpr3
	s_and_saveexec_b64 s[28:29], vcc
	s_xor_b64 s[28:29], exec, s[28:29]
; %bb.8642:                             ;   in Loop: Header=BB4_7680 Depth=3
	v_cmp_lt_u64_e32 vcc, s[88:89], v[1:2]
	v_add_u32_e32 v3, 15, v31
	v_cndmask_b32_e64 v6, 0, 1, vcc
	v_cndmask_b32_e32 v3, v18, v3, vcc
	v_lshrrev_b64 v[1:2], v6, v[1:2]
; %bb.8643:                             ;   in Loop: Header=BB4_7680 Depth=3
	s_or_saveexec_b64 s[28:29], s[28:29]
	v_mov_b32_e32 v43, v28
	s_xor_b64 exec, exec, s[28:29]
; %bb.8644:                             ;   in Loop: Header=BB4_7680 Depth=3
	v_bfe_u32 v3, v1, 23, 1
; %bb.8645:                             ;   in Loop: Header=BB4_7680 Depth=3
	s_or_b64 exec, exec, s[28:29]
	v_lshrrev_b64 v[1:2], 21, v[1:2]
	v_cmp_gt_i32_e32 vcc, 32, v3
	v_cndmask_b32_e32 v2, 0, v2, vcc
	v_cndmask_b32_e32 v1, 3, v1, vcc
	v_cmp_eq_u64_e64 s[28:29], 0, v[1:2]
	v_min_i32_e32 v2, 31, v3
	v_lshlrev_b32_e32 v2, 2, v2
	v_cmp_eq_u32_e32 vcc, 0, v3
	v_and_b32_e32 v2, 0xfc, v2
	v_and_or_b32 v1, v1, 3, v2
	s_and_b64 s[28:29], vcc, s[28:29]
	v_cndmask_b32_e64 v1, v1, 0, s[28:29]
	v_or_b32_e32 v18, v1, v22
.LBB4_8646:                             ;   in Loop: Header=BB4_7680 Depth=3
	s_or_b64 exec, exec, s[36:37]
                                        ; implicit-def: $vgpr22
.LBB4_8647:                             ;   in Loop: Header=BB4_7680 Depth=3
	s_andn2_saveexec_b64 s[28:29], s[34:35]
; %bb.8648:                             ;   in Loop: Header=BB4_7680 Depth=3
	v_or_b32_e32 v18, 0x7b, v22
; %bb.8649:                             ;   in Loop: Header=BB4_7680 Depth=3
	s_or_b64 exec, exec, s[28:29]
                                        ; implicit-def: $vgpr3
                                        ; implicit-def: $vgpr1_vgpr2
.LBB4_8650:                             ;   in Loop: Header=BB4_7680 Depth=3
	s_andn2_saveexec_b64 s[28:29], s[30:31]
	s_cbranch_execz .LBB4_8656
; %bb.8651:                             ;   in Loop: Header=BB4_7680 Depth=3
	v_cmp_ne_u64_e32 vcc, 0, v[1:2]
                                        ; implicit-def: $vgpr18
	s_and_saveexec_b64 s[30:31], vcc
	s_xor_b64 vcc, exec, s[30:31]
; %bb.8652:                             ;   in Loop: Header=BB4_7680 Depth=3
	v_or_b32_sdwa v18, v3, s47 dst_sel:DWORD dst_unused:UNUSED_PAD src0_sel:BYTE_3 src1_sel:DWORD
                                        ; implicit-def: $vgpr3
; %bb.8653:                             ;   in Loop: Header=BB4_7680 Depth=3
	s_andn2_saveexec_b64 s[30:31], vcc
; %bb.8654:                             ;   in Loop: Header=BB4_7680 Depth=3
	v_cmp_lt_i32_e32 vcc, -1, v3
	v_bfrev_b32_e32 v1, 0.5
	v_cndmask_b32_e32 v18, v1, v52, vcc
; %bb.8655:                             ;   in Loop: Header=BB4_7680 Depth=3
	s_or_b64 exec, exec, s[30:31]
.LBB4_8656:                             ;   in Loop: Header=BB4_7680 Depth=3
	s_or_b64 exec, exec, s[28:29]
	v_and_b32_sdwa v22, v0, s87 dst_sel:DWORD dst_unused:UNUSED_PAD src0_sel:WORD_1 src1_sel:DWORD
	v_lshrrev_b32_e32 v1, 16, v0
	v_cmp_ne_u16_e32 vcc, 0, v22
	v_mov_b32_e32 v2, 0
	v_mov_b32_e32 v3, 0
	s_and_saveexec_b64 s[28:29], vcc
	s_cbranch_execz .LBB4_8664
; %bb.8657:                             ;   in Loop: Header=BB4_7680 Depth=3
	v_cmp_ne_u16_e32 vcc, s96, v22
	v_bfrev_b32_e32 v3, 1
	s_and_saveexec_b64 s[30:31], vcc
	s_cbranch_execz .LBB4_8663
; %bb.8658:                             ;   in Loop: Header=BB4_7680 Depth=3
	v_and_b32_e32 v3, 0x7c0000, v0
	v_bfe_u32 v22, v0, 16, 2
	v_cmp_ne_u32_e32 vcc, s44, v3
                                        ; implicit-def: $vgpr3
	s_and_saveexec_b64 s[34:35], vcc
	s_xor_b64 s[34:35], exec, s[34:35]
	s_cbranch_execz .LBB4_8660
; %bb.8659:                             ;   in Loop: Header=BB4_7680 Depth=3
	v_ffbh_u32_e32 v6, v22
	v_min_u32_e32 v6, 32, v6
	v_subrev_u32_e32 v7, 29, v6
	v_lshlrev_b64 v[48:49], v7, v[1:2]
	v_bfe_u32 v3, v0, 18, 5
	v_sub_u32_e32 v1, 30, v6
	v_and_b32_e32 v6, 3, v48
	v_cmp_eq_u32_e32 vcc, 0, v3
	v_cndmask_b32_e32 v1, v3, v1, vcc
	v_cndmask_b32_e32 v3, v22, v6, vcc
	v_lshlrev_b32_e32 v6, 8, v0
	v_and_b32_e32 v6, 0x80000000, v6
	v_lshl_add_u32 v1, v1, 23, v6
	v_lshl_or_b32 v1, v3, 21, v1
	v_add_u32_e32 v3, 0x38000000, v1
                                        ; implicit-def: $vgpr22
                                        ; implicit-def: $vgpr1
.LBB4_8660:                             ;   in Loop: Header=BB4_7680 Depth=3
	s_andn2_saveexec_b64 s[34:35], s[34:35]
; %bb.8661:                             ;   in Loop: Header=BB4_7680 Depth=3
	v_mov_b32_e32 v3, -1
	v_cmp_gt_i16_sdwa vcc, sext(v1), v3 src0_sel:BYTE_0 src1_sel:DWORD
	v_mov_b32_e32 v1, 0xff800000
	v_mov_b32_e32 v3, 0x7f800000
	v_cndmask_b32_e32 v1, v1, v3, vcc
	v_cmp_eq_u32_e32 vcc, 0, v22
	v_mov_b32_e32 v3, 0x7f800001
	v_cndmask_b32_e32 v3, v3, v1, vcc
; %bb.8662:                             ;   in Loop: Header=BB4_7680 Depth=3
	s_or_b64 exec, exec, s[34:35]
.LBB4_8663:                             ;   in Loop: Header=BB4_7680 Depth=3
	s_or_b64 exec, exec, s[30:31]
.LBB4_8664:                             ;   in Loop: Header=BB4_7680 Depth=3
	s_or_b64 exec, exec, s[28:29]
	v_lshrrev_b32_e32 v1, 16, v12
	v_cmp_ne_u16_sdwa vcc, v1, v17 src0_sel:BYTE_0 src1_sel:DWORD
	s_and_saveexec_b64 s[28:29], vcc
	s_cbranch_execz .LBB4_8672
; %bb.8665:                             ;   in Loop: Header=BB4_7680 Depth=3
	v_cmp_ne_u16_sdwa vcc, v1, s96 src0_sel:BYTE_0 src1_sel:DWORD
	v_bfrev_b32_e32 v2, 1
	s_and_saveexec_b64 s[30:31], vcc
	s_cbranch_execz .LBB4_8671
; %bb.8666:                             ;   in Loop: Header=BB4_7680 Depth=3
	v_and_b32_e32 v2, 0x7c0000, v12
	v_bfe_u32 v22, v12, 16, 2
	v_cmp_ne_u32_e32 vcc, s44, v2
                                        ; implicit-def: $vgpr2
	s_and_saveexec_b64 s[34:35], vcc
	s_xor_b64 s[34:35], exec, s[34:35]
	s_cbranch_execz .LBB4_8668
; %bb.8667:                             ;   in Loop: Header=BB4_7680 Depth=3
	v_ffbh_u32_e32 v2, v22
	v_min_u32_e32 v7, 32, v2
	v_subrev_u32_e32 v2, 29, v7
	v_bfe_u32 v6, v12, 18, 5
	v_lshlrev_b64 v[1:2], v2, v[1:2]
	v_sub_u32_e32 v2, 30, v7
	v_cmp_eq_u32_e32 vcc, 0, v6
	v_cndmask_b32_e32 v2, v6, v2, vcc
	v_lshlrev_b32_e32 v6, 8, v12
	v_and_b32_e32 v1, 3, v1
	v_and_b32_e32 v6, 0x80000000, v6
	v_cndmask_b32_e32 v1, v22, v1, vcc
	v_lshl_add_u32 v2, v2, 23, v6
	v_lshl_or_b32 v1, v1, 21, v2
	v_add_u32_e32 v2, 0x38000000, v1
                                        ; implicit-def: $vgpr22
                                        ; implicit-def: $vgpr1
.LBB4_8668:                             ;   in Loop: Header=BB4_7680 Depth=3
	s_andn2_saveexec_b64 s[34:35], s[34:35]
; %bb.8669:                             ;   in Loop: Header=BB4_7680 Depth=3
	v_mov_b32_e32 v2, -1
	v_cmp_gt_i16_sdwa vcc, sext(v1), v2 src0_sel:BYTE_0 src1_sel:DWORD
	v_mov_b32_e32 v1, 0xff800000
	v_mov_b32_e32 v2, 0x7f800000
	v_cndmask_b32_e32 v1, v1, v2, vcc
	v_cmp_eq_u32_e32 vcc, 0, v22
	v_mov_b32_e32 v2, 0x7f800001
	v_cndmask_b32_e32 v2, v2, v1, vcc
; %bb.8670:                             ;   in Loop: Header=BB4_7680 Depth=3
	s_or_b64 exec, exec, s[34:35]
.LBB4_8671:                             ;   in Loop: Header=BB4_7680 Depth=3
	s_or_b64 exec, exec, s[30:31]
.LBB4_8672:                             ;   in Loop: Header=BB4_7680 Depth=3
	s_or_b64 exec, exec, s[28:29]
	v_add_f32_e32 v3, v3, v2
	v_and_b32_e32 v48, 0x7f800000, v3
	v_mov_b32_e32 v49, v17
	v_cmp_ne_u64_e32 vcc, s[76:77], v[48:49]
	v_and_b32_e32 v1, 0x7fffff, v3
	v_mov_b32_e32 v2, v17
                                        ; implicit-def: $vgpr22
	s_and_saveexec_b64 s[28:29], vcc
	s_xor_b64 s[30:31], exec, s[28:29]
	s_cbranch_execz .LBB4_8686
; %bb.8673:                             ;   in Loop: Header=BB4_7680 Depth=3
	v_and_b32_e32 v48, 0x7fffffff, v3
	v_mov_b32_e32 v49, v17
	v_cmp_gt_u64_e32 vcc, s[78:79], v[48:49]
	v_and_b32_sdwa v31, v3, s96 dst_sel:DWORD dst_unused:UNUSED_PAD src0_sel:BYTE_3 src1_sel:DWORD
                                        ; implicit-def: $vgpr22
	s_and_saveexec_b64 s[28:29], vcc
	s_xor_b64 s[34:35], exec, s[28:29]
	s_cbranch_execz .LBB4_8683
; %bb.8674:                             ;   in Loop: Header=BB4_7680 Depth=3
	v_mov_b32_e32 v22, 0
	v_cmp_ne_u32_e32 vcc, 0, v3
	s_and_saveexec_b64 s[36:37], vcc
	s_cbranch_execz .LBB4_8682
; %bb.8675:                             ;   in Loop: Header=BB4_7680 Depth=3
	v_bfe_u32 v22, v3, 23, 8
	v_cmp_gt_u32_e64 s[28:29], s46, v22
	v_sub_u32_e32 v3, 0x71, v22
	v_cmp_eq_u32_e32 vcc, 0, v22
	v_cndmask_b32_e64 v3, 0, v3, s[28:29]
	v_mov_b32_e32 v7, 0x70
	v_cndmask_b32_e32 v42, v3, v7, vcc
	v_add_u32_e32 v3, 21, v42
	v_or_b32_e32 v6, 0x800000, v1
	v_lshlrev_b64 v[48:49], v3, -1
	v_cndmask_b32_e32 v1, v6, v1, vcc
	v_add_u32_e32 v3, 20, v42
	v_bfi_b32 v48, v48, 0, v1
	v_lshlrev_b64 v[6:7], v3, 1
	v_lshrrev_b64 v[1:2], v42, v[1:2]
	v_bfi_b32 v49, v49, 0, 0
	v_cmp_eq_u64_e64 s[28:29], v[48:49], v[6:7]
	v_mov_b32_e32 v3, v2
	v_mov_b32_e32 v2, v1
	s_and_saveexec_b64 s[38:39], s[28:29]
; %bb.8676:                             ;   in Loop: Header=BB4_7680 Depth=3
	v_bfe_u32 v2, v1, 21, 1
	v_add_co_u32_e64 v2, s[28:29], v1, v2
	v_add_co_u32_e64 v2, s[28:29], -1, v2
; %bb.8677:                             ;   in Loop: Header=BB4_7680 Depth=3
	s_or_b64 exec, exec, s[38:39]
	v_add_u32_e32 v3, 0xffffff81, v22
	v_mov_b32_e32 v6, 0xffffff82
	v_cndmask_b32_e32 v3, v3, v6, vcc
	v_lshrrev_b32_e32 v6, 23, v1
	v_add3_u32 v42, v42, v3, v6
	v_add_u32_e32 v22, 14, v42
	v_and_b32_e32 v2, 0x1fffff, v2
	v_add_u32_e32 v1, v2, v1
	v_mov_b32_e32 v2, v17
	v_cmp_ne_u32_e32 vcc, 0, v22
                                        ; implicit-def: $vgpr3
	s_and_saveexec_b64 s[28:29], vcc
	s_xor_b64 s[28:29], exec, s[28:29]
; %bb.8678:                             ;   in Loop: Header=BB4_7680 Depth=3
	v_cmp_lt_u64_e32 vcc, s[88:89], v[1:2]
	v_add_u32_e32 v3, 15, v42
	v_cndmask_b32_e64 v6, 0, 1, vcc
	v_cndmask_b32_e32 v3, v22, v3, vcc
	v_lshrrev_b64 v[1:2], v6, v[1:2]
; %bb.8679:                             ;   in Loop: Header=BB4_7680 Depth=3
	s_andn2_saveexec_b64 s[28:29], s[28:29]
; %bb.8680:                             ;   in Loop: Header=BB4_7680 Depth=3
	v_bfe_u32 v3, v1, 23, 1
; %bb.8681:                             ;   in Loop: Header=BB4_7680 Depth=3
	s_or_b64 exec, exec, s[28:29]
	v_lshrrev_b64 v[1:2], 21, v[1:2]
	v_cmp_gt_i32_e32 vcc, 32, v3
	v_cndmask_b32_e32 v2, 0, v2, vcc
	v_cndmask_b32_e32 v1, 3, v1, vcc
	v_cmp_eq_u64_e64 s[28:29], 0, v[1:2]
	v_min_i32_e32 v2, 31, v3
	v_lshlrev_b32_e32 v2, 2, v2
	v_cmp_eq_u32_e32 vcc, 0, v3
	v_and_b32_e32 v2, 0xfc, v2
	v_and_or_b32 v1, v1, 3, v2
	s_and_b64 s[28:29], vcc, s[28:29]
	v_cndmask_b32_e64 v1, v1, 0, s[28:29]
	v_or_b32_e32 v22, v1, v31
.LBB4_8682:                             ;   in Loop: Header=BB4_7680 Depth=3
	s_or_b64 exec, exec, s[36:37]
                                        ; implicit-def: $vgpr31
.LBB4_8683:                             ;   in Loop: Header=BB4_7680 Depth=3
	s_andn2_saveexec_b64 s[28:29], s[34:35]
; %bb.8684:                             ;   in Loop: Header=BB4_7680 Depth=3
	v_or_b32_e32 v22, 0x7b, v31
; %bb.8685:                             ;   in Loop: Header=BB4_7680 Depth=3
	s_or_b64 exec, exec, s[28:29]
                                        ; implicit-def: $vgpr3
                                        ; implicit-def: $vgpr1_vgpr2
.LBB4_8686:                             ;   in Loop: Header=BB4_7680 Depth=3
	s_andn2_saveexec_b64 s[28:29], s[30:31]
	s_cbranch_execz .LBB4_8692
; %bb.8687:                             ;   in Loop: Header=BB4_7680 Depth=3
	v_cmp_ne_u64_e32 vcc, 0, v[1:2]
                                        ; implicit-def: $vgpr22
	s_and_saveexec_b64 s[30:31], vcc
	s_xor_b64 vcc, exec, s[30:31]
; %bb.8688:                             ;   in Loop: Header=BB4_7680 Depth=3
	v_or_b32_sdwa v22, v3, s47 dst_sel:DWORD dst_unused:UNUSED_PAD src0_sel:BYTE_3 src1_sel:DWORD
                                        ; implicit-def: $vgpr3
; %bb.8689:                             ;   in Loop: Header=BB4_7680 Depth=3
	s_andn2_saveexec_b64 s[30:31], vcc
; %bb.8690:                             ;   in Loop: Header=BB4_7680 Depth=3
	v_cmp_lt_i32_e32 vcc, -1, v3
	v_bfrev_b32_e32 v1, 0.5
	v_cndmask_b32_e32 v22, v1, v52, vcc
; %bb.8691:                             ;   in Loop: Header=BB4_7680 Depth=3
	s_or_b64 exec, exec, s[30:31]
.LBB4_8692:                             ;   in Loop: Header=BB4_7680 Depth=3
	s_or_b64 exec, exec, s[28:29]
	v_cmp_lt_u32_e32 vcc, s57, v0
	v_mov_b32_e32 v2, 0
	v_mov_b32_e32 v3, 0
	s_and_saveexec_b64 s[28:29], vcc
	s_cbranch_execz .LBB4_8700
; %bb.8693:                             ;   in Loop: Header=BB4_7680 Depth=3
	v_lshrrev_b32_e32 v1, 24, v0
	v_cmp_ne_u32_e32 vcc, s96, v1
	v_bfrev_b32_e32 v3, 1
	s_and_saveexec_b64 s[30:31], vcc
	s_cbranch_execz .LBB4_8699
; %bb.8694:                             ;   in Loop: Header=BB4_7680 Depth=3
	v_and_b32_e32 v3, 0x7c000000, v0
	v_bfe_u32 v31, v0, 24, 2
	v_cmp_ne_u32_e32 vcc, s45, v3
                                        ; implicit-def: $vgpr3
	s_and_saveexec_b64 s[34:35], vcc
	s_xor_b64 s[34:35], exec, s[34:35]
	s_cbranch_execz .LBB4_8696
; %bb.8695:                             ;   in Loop: Header=BB4_7680 Depth=3
	v_ffbh_u32_e32 v6, v31
	v_min_u32_e32 v28, 32, v6
	v_subrev_u32_e32 v6, 29, v28
	v_bfe_u32 v3, v0, 26, 5
	v_lshlrev_b64 v[6:7], v6, v[1:2]
	v_sub_u32_e32 v1, 30, v28
	v_cmp_eq_u32_e32 vcc, 0, v3
	v_and_b32_e32 v6, 3, v6
	v_cndmask_b32_e32 v1, v3, v1, vcc
	v_and_b32_e32 v0, 0x80000000, v0
	v_cndmask_b32_e32 v3, v31, v6, vcc
	v_lshl_add_u32 v0, v1, 23, v0
	v_lshl_or_b32 v0, v3, 21, v0
	v_add_u32_e32 v3, 0x38000000, v0
                                        ; implicit-def: $vgpr31
                                        ; implicit-def: $vgpr0_vgpr1
.LBB4_8696:                             ;   in Loop: Header=BB4_7680 Depth=3
	s_andn2_saveexec_b64 s[34:35], s[34:35]
; %bb.8697:                             ;   in Loop: Header=BB4_7680 Depth=3
	v_cmp_lt_i32_e32 vcc, -1, v0
	v_mov_b32_e32 v0, 0xff800000
	v_mov_b32_e32 v1, 0x7f800000
	v_cndmask_b32_e32 v0, v0, v1, vcc
	v_cmp_eq_u32_e32 vcc, 0, v31
	v_mov_b32_e32 v1, 0x7f800001
	v_cndmask_b32_e32 v3, v1, v0, vcc
; %bb.8698:                             ;   in Loop: Header=BB4_7680 Depth=3
	s_or_b64 exec, exec, s[34:35]
.LBB4_8699:                             ;   in Loop: Header=BB4_7680 Depth=3
	s_or_b64 exec, exec, s[30:31]
.LBB4_8700:                             ;   in Loop: Header=BB4_7680 Depth=3
	s_or_b64 exec, exec, s[28:29]
	v_cmp_lt_u32_e32 vcc, s57, v12
	s_and_saveexec_b64 s[28:29], vcc
	s_cbranch_execz .LBB4_8708
; %bb.8701:                             ;   in Loop: Header=BB4_7680 Depth=3
	v_lshrrev_b32_e32 v0, 24, v12
	v_cmp_ne_u32_e32 vcc, s96, v0
	v_bfrev_b32_e32 v2, 1
	s_and_saveexec_b64 s[30:31], vcc
	s_cbranch_execz .LBB4_8707
; %bb.8702:                             ;   in Loop: Header=BB4_7680 Depth=3
	v_and_b32_e32 v2, 0x7c000000, v12
	v_bfe_u32 v1, v12, 24, 2
	v_cmp_ne_u32_e32 vcc, s45, v2
                                        ; implicit-def: $vgpr2
	s_and_saveexec_b64 s[34:35], vcc
	s_xor_b64 s[34:35], exec, s[34:35]
	s_cbranch_execz .LBB4_8704
; %bb.8703:                             ;   in Loop: Header=BB4_7680 Depth=3
	v_ffbh_u32_e32 v6, v1
	v_min_u32_e32 v28, 32, v6
	v_subrev_u32_e32 v6, 29, v28
	v_bfe_u32 v2, v12, 26, 5
	v_lshlrev_b64 v[6:7], v6, v[0:1]
	v_sub_u32_e32 v0, 30, v28
	v_cmp_eq_u32_e32 vcc, 0, v2
	v_and_b32_e32 v6, 3, v6
	v_cndmask_b32_e32 v0, v2, v0, vcc
	v_and_b32_e32 v2, 0x80000000, v12
	v_cndmask_b32_e32 v1, v1, v6, vcc
	v_lshl_add_u32 v0, v0, 23, v2
	v_lshl_or_b32 v0, v1, 21, v0
	v_add_u32_e32 v2, 0x38000000, v0
                                        ; implicit-def: $vgpr1
.LBB4_8704:                             ;   in Loop: Header=BB4_7680 Depth=3
	s_andn2_saveexec_b64 s[34:35], s[34:35]
; %bb.8705:                             ;   in Loop: Header=BB4_7680 Depth=3
	v_cmp_lt_i32_e32 vcc, -1, v12
	v_mov_b32_e32 v0, 0xff800000
	v_mov_b32_e32 v2, 0x7f800000
	v_cndmask_b32_e32 v0, v0, v2, vcc
	v_cmp_eq_u32_e32 vcc, 0, v1
	v_mov_b32_e32 v1, 0x7f800001
	v_cndmask_b32_e32 v2, v1, v0, vcc
; %bb.8706:                             ;   in Loop: Header=BB4_7680 Depth=3
	s_or_b64 exec, exec, s[34:35]
.LBB4_8707:                             ;   in Loop: Header=BB4_7680 Depth=3
	s_or_b64 exec, exec, s[30:31]
.LBB4_8708:                             ;   in Loop: Header=BB4_7680 Depth=3
	s_or_b64 exec, exec, s[28:29]
	v_add_f32_e32 v2, v3, v2
	v_and_b32_e32 v6, 0x7f800000, v2
	v_mov_b32_e32 v7, v17
	v_cmp_ne_u64_e32 vcc, s[76:77], v[6:7]
	v_and_b32_e32 v0, 0x7fffff, v2
	v_mov_b32_e32 v1, v17
                                        ; implicit-def: $vgpr31
	s_and_saveexec_b64 s[28:29], vcc
	s_xor_b64 s[30:31], exec, s[28:29]
	s_cbranch_execz .LBB4_8722
; %bb.8709:                             ;   in Loop: Header=BB4_7680 Depth=3
	v_and_b32_e32 v6, 0x7fffffff, v2
	v_mov_b32_e32 v7, v17
	v_cmp_gt_u64_e32 vcc, s[78:79], v[6:7]
	v_and_b32_sdwa v3, v2, s96 dst_sel:DWORD dst_unused:UNUSED_PAD src0_sel:BYTE_3 src1_sel:DWORD
                                        ; implicit-def: $vgpr31
	s_and_saveexec_b64 s[28:29], vcc
	s_xor_b64 s[34:35], exec, s[28:29]
	s_cbranch_execz .LBB4_8719
; %bb.8710:                             ;   in Loop: Header=BB4_7680 Depth=3
	v_mov_b32_e32 v31, 0
	v_cmp_ne_u32_e32 vcc, 0, v2
	s_and_saveexec_b64 s[36:37], vcc
	s_cbranch_execz .LBB4_8718
; %bb.8711:                             ;   in Loop: Header=BB4_7680 Depth=3
	v_bfe_u32 v31, v2, 23, 8
	v_cmp_gt_u32_e64 s[28:29], s46, v31
	v_sub_u32_e32 v2, 0x71, v31
	v_cmp_eq_u32_e32 vcc, 0, v31
	v_cndmask_b32_e64 v2, 0, v2, s[28:29]
	v_mov_b32_e32 v7, 0x70
	v_cndmask_b32_e32 v42, v2, v7, vcc
	v_or_b32_e32 v6, 0x800000, v0
	v_add_u32_e32 v2, 21, v42
	v_cndmask_b32_e32 v0, v6, v0, vcc
	v_lshlrev_b64 v[6:7], v2, -1
	v_add_u32_e32 v2, 20, v42
	v_bfi_b32 v6, v6, 0, v0
	v_lshlrev_b64 v[48:49], v2, 1
	v_lshrrev_b64 v[0:1], v42, v[0:1]
	v_bfi_b32 v7, v7, 0, 0
	v_cmp_eq_u64_e64 s[28:29], v[6:7], v[48:49]
	v_mov_b32_e32 v2, v1
	v_mov_b32_e32 v1, v0
	s_and_saveexec_b64 s[38:39], s[28:29]
; %bb.8712:                             ;   in Loop: Header=BB4_7680 Depth=3
	v_bfe_u32 v1, v0, 21, 1
	v_add_co_u32_e64 v1, s[28:29], v0, v1
	v_add_co_u32_e64 v1, s[28:29], -1, v1
; %bb.8713:                             ;   in Loop: Header=BB4_7680 Depth=3
	s_or_b64 exec, exec, s[38:39]
	v_add_u32_e32 v2, 0xffffff81, v31
	v_mov_b32_e32 v6, 0xffffff82
	v_cndmask_b32_e32 v2, v2, v6, vcc
	v_lshrrev_b32_e32 v6, 23, v0
	v_add3_u32 v42, v42, v2, v6
	v_add_u32_e32 v31, 14, v42
	v_and_b32_e32 v1, 0x1fffff, v1
	v_add_u32_e32 v0, v1, v0
	v_mov_b32_e32 v1, v17
	v_cmp_ne_u32_e32 vcc, 0, v31
                                        ; implicit-def: $vgpr2
	s_and_saveexec_b64 s[28:29], vcc
	s_xor_b64 s[28:29], exec, s[28:29]
; %bb.8714:                             ;   in Loop: Header=BB4_7680 Depth=3
	v_cmp_lt_u64_e32 vcc, s[88:89], v[0:1]
	v_add_u32_e32 v2, 15, v42
	v_cndmask_b32_e64 v6, 0, 1, vcc
	v_cndmask_b32_e32 v2, v31, v2, vcc
	v_lshrrev_b64 v[0:1], v6, v[0:1]
; %bb.8715:                             ;   in Loop: Header=BB4_7680 Depth=3
	s_andn2_saveexec_b64 s[28:29], s[28:29]
; %bb.8716:                             ;   in Loop: Header=BB4_7680 Depth=3
	v_bfe_u32 v2, v0, 23, 1
; %bb.8717:                             ;   in Loop: Header=BB4_7680 Depth=3
	s_or_b64 exec, exec, s[28:29]
	v_lshrrev_b64 v[0:1], 21, v[0:1]
	v_cmp_gt_i32_e32 vcc, 32, v2
	v_cndmask_b32_e32 v1, 0, v1, vcc
	v_cndmask_b32_e32 v0, 3, v0, vcc
	v_cmp_eq_u64_e64 s[28:29], 0, v[0:1]
	v_min_i32_e32 v1, 31, v2
	v_lshlrev_b32_e32 v1, 2, v1
	v_cmp_eq_u32_e32 vcc, 0, v2
	v_and_b32_e32 v1, 0xfc, v1
	v_and_or_b32 v0, v0, 3, v1
	s_and_b64 s[28:29], vcc, s[28:29]
	v_cndmask_b32_e64 v0, v0, 0, s[28:29]
	v_or_b32_e32 v31, v0, v3
.LBB4_8718:                             ;   in Loop: Header=BB4_7680 Depth=3
	s_or_b64 exec, exec, s[36:37]
                                        ; implicit-def: $vgpr3
.LBB4_8719:                             ;   in Loop: Header=BB4_7680 Depth=3
	s_andn2_saveexec_b64 s[28:29], s[34:35]
; %bb.8720:                             ;   in Loop: Header=BB4_7680 Depth=3
	v_or_b32_e32 v31, 0x7b, v3
; %bb.8721:                             ;   in Loop: Header=BB4_7680 Depth=3
	s_or_b64 exec, exec, s[28:29]
                                        ; implicit-def: $vgpr2
                                        ; implicit-def: $vgpr0_vgpr1
.LBB4_8722:                             ;   in Loop: Header=BB4_7680 Depth=3
	s_andn2_saveexec_b64 s[28:29], s[30:31]
	s_cbranch_execz .LBB4_8728
; %bb.8723:                             ;   in Loop: Header=BB4_7680 Depth=3
	v_cmp_ne_u64_e32 vcc, 0, v[0:1]
                                        ; implicit-def: $vgpr31
	s_and_saveexec_b64 s[30:31], vcc
	s_xor_b64 vcc, exec, s[30:31]
; %bb.8724:                             ;   in Loop: Header=BB4_7680 Depth=3
	v_or_b32_sdwa v31, v2, s47 dst_sel:DWORD dst_unused:UNUSED_PAD src0_sel:BYTE_3 src1_sel:DWORD
                                        ; implicit-def: $vgpr2
; %bb.8725:                             ;   in Loop: Header=BB4_7680 Depth=3
	s_andn2_saveexec_b64 s[30:31], vcc
; %bb.8726:                             ;   in Loop: Header=BB4_7680 Depth=3
	v_cmp_lt_i32_e32 vcc, -1, v2
	v_bfrev_b32_e32 v0, 0.5
	v_cndmask_b32_e32 v31, v0, v52, vcc
; %bb.8727:                             ;   in Loop: Header=BB4_7680 Depth=3
	s_or_b64 exec, exec, s[30:31]
.LBB4_8728:                             ;   in Loop: Header=BB4_7680 Depth=3
	s_or_b64 exec, exec, s[28:29]
	v_lshl_or_b32 v51, v51, 8, v36
	v_lshlrev_b32_e32 v0, 16, v41
	v_lshlrev_b32_e32 v1, 24, v5
	v_or3_b32 v0, v0, v1, v51
	v_mov_b32_e32 v1, v17
	v_cmp_ne_u32_e32 vcc, 0, v36
	v_mov_b32_e32 v2, 0
	v_mov_b32_e32 v3, 0
	s_and_saveexec_b64 s[30:31], vcc
	s_cbranch_execz .LBB4_8736
; %bb.8729:                             ;   in Loop: Header=BB4_7680 Depth=3
	v_cmp_ne_u32_e32 vcc, s96, v36
	v_bfrev_b32_e32 v3, 1
	s_and_saveexec_b64 s[34:35], vcc
	s_cbranch_execz .LBB4_8735
; %bb.8730:                             ;   in Loop: Header=BB4_7680 Depth=3
	v_and_b32_e32 v3, 0x7c, v36
	v_and_b32_e32 v5, 3, v36
	v_cmp_ne_u32_e32 vcc, s85, v3
                                        ; implicit-def: $vgpr3
	s_and_saveexec_b64 s[28:29], vcc
	s_xor_b64 s[28:29], exec, s[28:29]
	s_cbranch_execz .LBB4_8732
; %bb.8731:                             ;   in Loop: Header=BB4_7680 Depth=3
	v_ffbh_u32_e32 v6, v5
	v_min_u32_e32 v28, 32, v6
	v_subrev_u32_e32 v6, 29, v28
	v_lshlrev_b64 v[6:7], v6, v[0:1]
	v_bfe_u32 v3, v36, 2, 5
	v_sub_u32_e32 v1, 30, v28
	v_and_b32_e32 v6, 3, v6
	v_cmp_eq_u32_e32 vcc, 0, v3
	v_cndmask_b32_e32 v1, v3, v1, vcc
	v_cndmask_b32_e32 v3, v5, v6, vcc
	v_lshlrev_b32_e32 v5, 24, v36
	v_and_b32_e32 v5, 0x80000000, v5
	v_lshl_add_u32 v1, v1, 23, v5
	v_lshl_or_b32 v1, v3, 21, v1
	v_add_u32_e32 v3, 0x38000000, v1
                                        ; implicit-def: $vgpr5
                                        ; implicit-def: $vgpr36
.LBB4_8732:                             ;   in Loop: Header=BB4_7680 Depth=3
	s_andn2_saveexec_b64 s[36:37], s[28:29]
; %bb.8733:                             ;   in Loop: Header=BB4_7680 Depth=3
	v_and_b32_e32 v1, 0x80, v36
	v_cmp_eq_u32_e64 s[28:29], 0, v1
	v_mov_b32_e32 v1, 0xff800000
	v_mov_b32_e32 v3, 0x7f800000
	v_cmp_eq_u32_e32 vcc, 0, v5
	v_cndmask_b32_e64 v1, v1, v3, s[28:29]
	v_mov_b32_e32 v3, 0x7f800001
	v_cndmask_b32_e32 v3, v3, v1, vcc
; %bb.8734:                             ;   in Loop: Header=BB4_7680 Depth=3
	s_or_b64 exec, exec, s[36:37]
.LBB4_8735:                             ;   in Loop: Header=BB4_7680 Depth=3
	s_or_b64 exec, exec, s[34:35]
.LBB4_8736:                             ;   in Loop: Header=BB4_7680 Depth=3
	s_or_b64 exec, exec, s[30:31]
	v_cmp_ne_u16_sdwa vcc, v13, v17 src0_sel:BYTE_0 src1_sel:DWORD
	s_and_saveexec_b64 s[28:29], vcc
	s_cbranch_execz .LBB4_8744
; %bb.8737:                             ;   in Loop: Header=BB4_7680 Depth=3
	v_cmp_ne_u16_sdwa vcc, v13, s96 src0_sel:BYTE_0 src1_sel:DWORD
	v_bfrev_b32_e32 v2, 1
	s_and_saveexec_b64 s[30:31], vcc
	s_cbranch_execz .LBB4_8743
; %bb.8738:                             ;   in Loop: Header=BB4_7680 Depth=3
	v_and_b32_e32 v2, 0x7c, v13
	v_and_b32_e32 v1, 3, v13
	v_cmp_ne_u32_e32 vcc, s85, v2
                                        ; implicit-def: $vgpr2
	s_and_saveexec_b64 s[34:35], vcc
	s_xor_b64 s[34:35], exec, s[34:35]
	s_cbranch_execz .LBB4_8740
; %bb.8739:                             ;   in Loop: Header=BB4_7680 Depth=3
	v_ffbh_u32_e32 v7, v1
	v_min_u32_e32 v7, 32, v7
	v_mov_b32_e32 v5, v13
	v_mov_b32_e32 v6, v17
	v_subrev_u32_e32 v28, 29, v7
	v_lshlrev_b64 v[5:6], v28, v[5:6]
	v_bfe_u32 v2, v13, 2, 5
	v_and_b32_e32 v5, 3, v5
	v_cmp_eq_u32_e32 vcc, 0, v2
	v_sub_u32_e32 v6, 30, v7
	v_cndmask_b32_e32 v1, v1, v5, vcc
	v_lshlrev_b32_e32 v5, 24, v13
	v_cndmask_b32_e32 v2, v2, v6, vcc
	v_and_b32_e32 v5, 0x80000000, v5
	v_lshl_add_u32 v2, v2, 23, v5
	v_lshl_or_b32 v1, v1, 21, v2
	v_add_u32_e32 v2, 0x38000000, v1
                                        ; implicit-def: $vgpr1
.LBB4_8740:                             ;   in Loop: Header=BB4_7680 Depth=3
	s_andn2_saveexec_b64 s[34:35], s[34:35]
; %bb.8741:                             ;   in Loop: Header=BB4_7680 Depth=3
	v_mov_b32_e32 v2, -1
	v_cmp_gt_i16_sdwa vcc, sext(v13), v2 src0_sel:BYTE_0 src1_sel:DWORD
	v_mov_b32_e32 v2, 0xff800000
	v_mov_b32_e32 v5, 0x7f800000
	v_cndmask_b32_e32 v2, v2, v5, vcc
	v_cmp_eq_u32_e32 vcc, 0, v1
	v_mov_b32_e32 v1, 0x7f800001
	v_cndmask_b32_e32 v2, v1, v2, vcc
; %bb.8742:                             ;   in Loop: Header=BB4_7680 Depth=3
	s_or_b64 exec, exec, s[34:35]
.LBB4_8743:                             ;   in Loop: Header=BB4_7680 Depth=3
	s_or_b64 exec, exec, s[30:31]
.LBB4_8744:                             ;   in Loop: Header=BB4_7680 Depth=3
	s_or_b64 exec, exec, s[28:29]
	v_add_f32_e32 v3, v3, v2
	v_and_b32_e32 v5, 0x7f800000, v3
	v_mov_b32_e32 v6, v17
	v_cmp_ne_u64_e32 vcc, s[76:77], v[5:6]
	v_and_b32_e32 v1, 0x7fffff, v3
	v_mov_b32_e32 v2, v17
                                        ; implicit-def: $vgpr36
	s_and_saveexec_b64 s[28:29], vcc
	s_xor_b64 s[30:31], exec, s[28:29]
	s_cbranch_execz .LBB4_8758
; %bb.8745:                             ;   in Loop: Header=BB4_7680 Depth=3
	v_and_b32_e32 v5, 0x7fffffff, v3
	v_mov_b32_e32 v6, v17
	v_cmp_gt_u64_e32 vcc, s[78:79], v[5:6]
	v_and_b32_sdwa v5, v3, s96 dst_sel:DWORD dst_unused:UNUSED_PAD src0_sel:BYTE_3 src1_sel:DWORD
                                        ; implicit-def: $vgpr36
	s_and_saveexec_b64 s[28:29], vcc
	s_xor_b64 s[34:35], exec, s[28:29]
	s_cbranch_execz .LBB4_8755
; %bb.8746:                             ;   in Loop: Header=BB4_7680 Depth=3
	v_mov_b32_e32 v36, 0
	v_cmp_ne_u32_e32 vcc, 0, v3
	s_and_saveexec_b64 s[36:37], vcc
	s_cbranch_execz .LBB4_8754
; %bb.8747:                             ;   in Loop: Header=BB4_7680 Depth=3
	v_bfe_u32 v36, v3, 23, 8
	v_cmp_gt_u32_e64 s[28:29], s46, v36
	v_sub_u32_e32 v3, 0x71, v36
	v_cmp_eq_u32_e32 vcc, 0, v36
	v_cndmask_b32_e64 v3, 0, v3, s[28:29]
	v_mov_b32_e32 v7, 0x70
	v_cndmask_b32_e32 v41, v3, v7, vcc
	v_or_b32_e32 v6, 0x800000, v1
	v_add_u32_e32 v3, 21, v41
	v_cndmask_b32_e32 v1, v6, v1, vcc
	v_lshlrev_b64 v[6:7], v3, -1
	v_add_u32_e32 v3, 20, v41
	v_bfi_b32 v6, v6, 0, v1
	v_lshlrev_b64 v[48:49], v3, 1
	v_lshrrev_b64 v[1:2], v41, v[1:2]
	v_bfi_b32 v7, v7, 0, 0
	v_cmp_eq_u64_e64 s[28:29], v[6:7], v[48:49]
	v_mov_b32_e32 v3, v2
	v_mov_b32_e32 v2, v1
	s_and_saveexec_b64 s[38:39], s[28:29]
; %bb.8748:                             ;   in Loop: Header=BB4_7680 Depth=3
	v_bfe_u32 v2, v1, 21, 1
	v_add_co_u32_e64 v2, s[28:29], v1, v2
	v_add_co_u32_e64 v2, s[28:29], -1, v2
; %bb.8749:                             ;   in Loop: Header=BB4_7680 Depth=3
	s_or_b64 exec, exec, s[38:39]
	v_add_u32_e32 v3, 0xffffff81, v36
	v_mov_b32_e32 v6, 0xffffff82
	v_cndmask_b32_e32 v3, v3, v6, vcc
	v_lshrrev_b32_e32 v6, 23, v1
	v_add3_u32 v41, v41, v3, v6
	v_add_u32_e32 v36, 14, v41
	v_and_b32_e32 v2, 0x1fffff, v2
	v_add_u32_e32 v1, v2, v1
	v_mov_b32_e32 v2, v17
	v_cmp_ne_u32_e32 vcc, 0, v36
                                        ; implicit-def: $vgpr3
	s_and_saveexec_b64 s[28:29], vcc
	s_xor_b64 s[28:29], exec, s[28:29]
; %bb.8750:                             ;   in Loop: Header=BB4_7680 Depth=3
	v_cmp_lt_u64_e32 vcc, s[88:89], v[1:2]
	v_add_u32_e32 v3, 15, v41
	v_cndmask_b32_e64 v6, 0, 1, vcc
	v_cndmask_b32_e32 v3, v36, v3, vcc
	v_lshrrev_b64 v[1:2], v6, v[1:2]
; %bb.8751:                             ;   in Loop: Header=BB4_7680 Depth=3
	s_andn2_saveexec_b64 s[28:29], s[28:29]
; %bb.8752:                             ;   in Loop: Header=BB4_7680 Depth=3
	v_bfe_u32 v3, v1, 23, 1
; %bb.8753:                             ;   in Loop: Header=BB4_7680 Depth=3
	s_or_b64 exec, exec, s[28:29]
	v_lshrrev_b64 v[1:2], 21, v[1:2]
	v_cmp_gt_i32_e32 vcc, 32, v3
	v_cndmask_b32_e32 v2, 0, v2, vcc
	v_cndmask_b32_e32 v1, 3, v1, vcc
	v_cmp_eq_u64_e64 s[28:29], 0, v[1:2]
	v_min_i32_e32 v2, 31, v3
	v_lshlrev_b32_e32 v2, 2, v2
	v_cmp_eq_u32_e32 vcc, 0, v3
	v_and_b32_e32 v2, 0xfc, v2
	v_and_or_b32 v1, v1, 3, v2
	s_and_b64 s[28:29], vcc, s[28:29]
	v_cndmask_b32_e64 v1, v1, 0, s[28:29]
	v_or_b32_e32 v36, v1, v5
.LBB4_8754:                             ;   in Loop: Header=BB4_7680 Depth=3
	s_or_b64 exec, exec, s[36:37]
                                        ; implicit-def: $vgpr5
.LBB4_8755:                             ;   in Loop: Header=BB4_7680 Depth=3
	s_andn2_saveexec_b64 s[28:29], s[34:35]
; %bb.8756:                             ;   in Loop: Header=BB4_7680 Depth=3
	v_or_b32_e32 v36, 0x7b, v5
; %bb.8757:                             ;   in Loop: Header=BB4_7680 Depth=3
	s_or_b64 exec, exec, s[28:29]
                                        ; implicit-def: $vgpr3
                                        ; implicit-def: $vgpr1_vgpr2
.LBB4_8758:                             ;   in Loop: Header=BB4_7680 Depth=3
	s_andn2_saveexec_b64 s[28:29], s[30:31]
	s_cbranch_execz .LBB4_8764
; %bb.8759:                             ;   in Loop: Header=BB4_7680 Depth=3
	v_cmp_ne_u64_e32 vcc, 0, v[1:2]
                                        ; implicit-def: $vgpr36
	s_and_saveexec_b64 s[30:31], vcc
	s_xor_b64 vcc, exec, s[30:31]
; %bb.8760:                             ;   in Loop: Header=BB4_7680 Depth=3
	v_or_b32_sdwa v36, v3, s47 dst_sel:DWORD dst_unused:UNUSED_PAD src0_sel:BYTE_3 src1_sel:DWORD
                                        ; implicit-def: $vgpr3
; %bb.8761:                             ;   in Loop: Header=BB4_7680 Depth=3
	s_andn2_saveexec_b64 s[30:31], vcc
; %bb.8762:                             ;   in Loop: Header=BB4_7680 Depth=3
	v_cmp_lt_i32_e32 vcc, -1, v3
	v_bfrev_b32_e32 v1, 0.5
	v_cndmask_b32_e32 v36, v1, v52, vcc
; %bb.8763:                             ;   in Loop: Header=BB4_7680 Depth=3
	s_or_b64 exec, exec, s[30:31]
.LBB4_8764:                             ;   in Loop: Header=BB4_7680 Depth=3
	s_or_b64 exec, exec, s[28:29]
	v_lshrrev_b16_e32 v1, 8, v51
	v_cmp_ne_u16_e32 vcc, 0, v1
	v_mov_b32_e32 v3, 0
	v_mov_b32_e32 v5, 0
	s_and_saveexec_b64 s[28:29], vcc
	s_cbranch_execz .LBB4_8772
; %bb.8765:                             ;   in Loop: Header=BB4_7680 Depth=3
	v_cmp_ne_u16_e32 vcc, s96, v1
	v_bfrev_b32_e32 v5, 1
	s_and_saveexec_b64 s[30:31], vcc
	s_cbranch_execz .LBB4_8771
; %bb.8766:                             ;   in Loop: Header=BB4_7680 Depth=3
	v_and_b32_e32 v2, 0x7c, v1
	v_and_b32_e32 v41, 3, v1
	v_cmp_ne_u32_e32 vcc, s85, v2
                                        ; implicit-def: $vgpr5
	s_and_saveexec_b64 s[34:35], vcc
	s_xor_b64 s[34:35], exec, s[34:35]
	s_cbranch_execz .LBB4_8768
; %bb.8767:                             ;   in Loop: Header=BB4_7680 Depth=3
	v_ffbh_u32_e32 v6, v41
	v_min_u32_e32 v6, 32, v6
	v_mov_b32_e32 v2, v17
	v_subrev_u32_e32 v7, 29, v6
	v_bfe_u32 v5, v1, 2, 5
	v_lshlrev_b64 v[1:2], v7, v[1:2]
	v_sub_u32_e32 v2, 30, v6
	v_cmp_eq_u32_e32 vcc, 0, v5
	v_cndmask_b32_e32 v2, v5, v2, vcc
	v_lshlrev_b32_e32 v5, 16, v51
	v_and_b32_e32 v1, 3, v1
	v_and_b32_e32 v5, 0x80000000, v5
	v_cndmask_b32_e32 v1, v41, v1, vcc
	v_lshl_add_u32 v2, v2, 23, v5
	v_lshl_or_b32 v1, v1, 21, v2
	v_add_u32_e32 v5, 0x38000000, v1
                                        ; implicit-def: $vgpr41
                                        ; implicit-def: $vgpr51
.LBB4_8768:                             ;   in Loop: Header=BB4_7680 Depth=3
	s_andn2_saveexec_b64 s[34:35], s[34:35]
; %bb.8769:                             ;   in Loop: Header=BB4_7680 Depth=3
	v_cmp_lt_i16_e32 vcc, -1, v51
	v_mov_b32_e32 v1, 0xff800000
	v_mov_b32_e32 v2, 0x7f800000
	v_cndmask_b32_e32 v1, v1, v2, vcc
	v_cmp_eq_u32_e32 vcc, 0, v41
	v_mov_b32_e32 v2, 0x7f800001
	v_cndmask_b32_e32 v5, v2, v1, vcc
; %bb.8770:                             ;   in Loop: Header=BB4_7680 Depth=3
	s_or_b64 exec, exec, s[34:35]
.LBB4_8771:                             ;   in Loop: Header=BB4_7680 Depth=3
	s_or_b64 exec, exec, s[30:31]
.LBB4_8772:                             ;   in Loop: Header=BB4_7680 Depth=3
	s_or_b64 exec, exec, s[28:29]
	v_lshrrev_b16_e32 v1, 8, v13
	v_cmp_ne_u16_e32 vcc, 0, v1
	s_and_saveexec_b64 s[28:29], vcc
	s_cbranch_execz .LBB4_8780
; %bb.8773:                             ;   in Loop: Header=BB4_7680 Depth=3
	v_cmp_ne_u16_e32 vcc, s96, v1
	v_bfrev_b32_e32 v3, 1
	s_and_saveexec_b64 s[30:31], vcc
	s_cbranch_execz .LBB4_8779
; %bb.8774:                             ;   in Loop: Header=BB4_7680 Depth=3
	v_and_b32_e32 v2, 0x7c, v1
	v_and_b32_e32 v51, 3, v1
	v_cmp_ne_u32_e32 vcc, s85, v2
                                        ; implicit-def: $vgpr3
	s_and_saveexec_b64 s[34:35], vcc
	s_xor_b64 s[34:35], exec, s[34:35]
	s_cbranch_execz .LBB4_8776
; %bb.8775:                             ;   in Loop: Header=BB4_7680 Depth=3
	v_ffbh_u32_e32 v6, v51
	v_min_u32_e32 v6, 32, v6
	v_mov_b32_e32 v2, v17
	v_subrev_u32_e32 v7, 29, v6
	v_bfe_u32 v3, v1, 2, 5
	v_lshlrev_b64 v[1:2], v7, v[1:2]
	v_sub_u32_e32 v2, 30, v6
	v_cmp_eq_u32_e32 vcc, 0, v3
	v_cndmask_b32_e32 v2, v3, v2, vcc
	v_lshlrev_b32_e32 v3, 16, v13
	v_and_b32_e32 v1, 3, v1
	v_and_b32_e32 v3, 0x80000000, v3
	v_cndmask_b32_e32 v1, v51, v1, vcc
	v_lshl_add_u32 v2, v2, 23, v3
	v_lshl_or_b32 v1, v1, 21, v2
	v_add_u32_e32 v3, 0x38000000, v1
                                        ; implicit-def: $vgpr51
.LBB4_8776:                             ;   in Loop: Header=BB4_7680 Depth=3
	s_andn2_saveexec_b64 s[34:35], s[34:35]
; %bb.8777:                             ;   in Loop: Header=BB4_7680 Depth=3
	v_cmp_lt_i16_e32 vcc, -1, v13
	v_mov_b32_e32 v1, 0xff800000
	v_mov_b32_e32 v2, 0x7f800000
	v_cndmask_b32_e32 v1, v1, v2, vcc
	v_cmp_eq_u32_e32 vcc, 0, v51
	v_mov_b32_e32 v2, 0x7f800001
	v_cndmask_b32_e32 v3, v2, v1, vcc
; %bb.8778:                             ;   in Loop: Header=BB4_7680 Depth=3
	s_or_b64 exec, exec, s[34:35]
.LBB4_8779:                             ;   in Loop: Header=BB4_7680 Depth=3
	s_or_b64 exec, exec, s[30:31]
.LBB4_8780:                             ;   in Loop: Header=BB4_7680 Depth=3
	s_or_b64 exec, exec, s[28:29]
	v_add_f32_e32 v3, v5, v3
	v_and_b32_e32 v5, 0x7f800000, v3
	v_mov_b32_e32 v6, v17
	v_cmp_ne_u64_e32 vcc, s[76:77], v[5:6]
	v_and_b32_e32 v1, 0x7fffff, v3
	v_mov_b32_e32 v2, v17
                                        ; implicit-def: $vgpr51
	s_and_saveexec_b64 s[28:29], vcc
	s_xor_b64 s[30:31], exec, s[28:29]
	s_cbranch_execz .LBB4_8794
; %bb.8781:                             ;   in Loop: Header=BB4_7680 Depth=3
	v_and_b32_e32 v5, 0x7fffffff, v3
	v_mov_b32_e32 v6, v17
	v_cmp_gt_u64_e32 vcc, s[78:79], v[5:6]
	v_and_b32_sdwa v5, v3, s96 dst_sel:DWORD dst_unused:UNUSED_PAD src0_sel:BYTE_3 src1_sel:DWORD
                                        ; implicit-def: $vgpr51
	s_and_saveexec_b64 s[28:29], vcc
	s_xor_b64 s[34:35], exec, s[28:29]
	s_cbranch_execz .LBB4_8791
; %bb.8782:                             ;   in Loop: Header=BB4_7680 Depth=3
	v_mov_b32_e32 v51, 0
	v_cmp_ne_u32_e32 vcc, 0, v3
	s_and_saveexec_b64 s[36:37], vcc
	s_cbranch_execz .LBB4_8790
; %bb.8783:                             ;   in Loop: Header=BB4_7680 Depth=3
	v_bfe_u32 v51, v3, 23, 8
	v_cmp_gt_u32_e64 s[28:29], s46, v51
	v_sub_u32_e32 v3, 0x71, v51
	v_cmp_eq_u32_e32 vcc, 0, v51
	v_cndmask_b32_e64 v3, 0, v3, s[28:29]
	v_mov_b32_e32 v7, 0x70
	v_cndmask_b32_e32 v41, v3, v7, vcc
	v_or_b32_e32 v6, 0x800000, v1
	v_add_u32_e32 v3, 21, v41
	v_cndmask_b32_e32 v1, v6, v1, vcc
	v_lshlrev_b64 v[6:7], v3, -1
	v_add_u32_e32 v3, 20, v41
	v_bfi_b32 v6, v6, 0, v1
	v_lshlrev_b64 v[48:49], v3, 1
	v_lshrrev_b64 v[1:2], v41, v[1:2]
	v_bfi_b32 v7, v7, 0, 0
	v_cmp_eq_u64_e64 s[28:29], v[6:7], v[48:49]
	v_mov_b32_e32 v3, v2
	v_mov_b32_e32 v2, v1
	s_and_saveexec_b64 s[38:39], s[28:29]
; %bb.8784:                             ;   in Loop: Header=BB4_7680 Depth=3
	v_bfe_u32 v2, v1, 21, 1
	v_add_co_u32_e64 v2, s[28:29], v1, v2
	v_add_co_u32_e64 v2, s[28:29], -1, v2
; %bb.8785:                             ;   in Loop: Header=BB4_7680 Depth=3
	s_or_b64 exec, exec, s[38:39]
	v_add_u32_e32 v3, 0xffffff81, v51
	v_mov_b32_e32 v6, 0xffffff82
	v_cndmask_b32_e32 v3, v3, v6, vcc
	v_lshrrev_b32_e32 v6, 23, v1
	v_add3_u32 v41, v41, v3, v6
	v_add_u32_e32 v51, 14, v41
	v_and_b32_e32 v2, 0x1fffff, v2
	v_add_u32_e32 v1, v2, v1
	v_mov_b32_e32 v2, v17
	v_cmp_ne_u32_e32 vcc, 0, v51
                                        ; implicit-def: $vgpr3
	s_and_saveexec_b64 s[28:29], vcc
	s_xor_b64 s[28:29], exec, s[28:29]
; %bb.8786:                             ;   in Loop: Header=BB4_7680 Depth=3
	v_cmp_lt_u64_e32 vcc, s[88:89], v[1:2]
	v_add_u32_e32 v3, 15, v41
	v_cndmask_b32_e64 v6, 0, 1, vcc
	v_cndmask_b32_e32 v3, v51, v3, vcc
	v_lshrrev_b64 v[1:2], v6, v[1:2]
; %bb.8787:                             ;   in Loop: Header=BB4_7680 Depth=3
	s_andn2_saveexec_b64 s[28:29], s[28:29]
; %bb.8788:                             ;   in Loop: Header=BB4_7680 Depth=3
	v_bfe_u32 v3, v1, 23, 1
; %bb.8789:                             ;   in Loop: Header=BB4_7680 Depth=3
	s_or_b64 exec, exec, s[28:29]
	v_lshrrev_b64 v[1:2], 21, v[1:2]
	v_cmp_gt_i32_e32 vcc, 32, v3
	v_cndmask_b32_e32 v2, 0, v2, vcc
	v_cndmask_b32_e32 v1, 3, v1, vcc
	v_cmp_eq_u64_e64 s[28:29], 0, v[1:2]
	v_min_i32_e32 v2, 31, v3
	v_lshlrev_b32_e32 v2, 2, v2
	v_cmp_eq_u32_e32 vcc, 0, v3
	v_and_b32_e32 v2, 0xfc, v2
	v_and_or_b32 v1, v1, 3, v2
	s_and_b64 s[28:29], vcc, s[28:29]
	v_cndmask_b32_e64 v1, v1, 0, s[28:29]
	v_or_b32_e32 v51, v1, v5
.LBB4_8790:                             ;   in Loop: Header=BB4_7680 Depth=3
	s_or_b64 exec, exec, s[36:37]
                                        ; implicit-def: $vgpr5
.LBB4_8791:                             ;   in Loop: Header=BB4_7680 Depth=3
	s_andn2_saveexec_b64 s[28:29], s[34:35]
; %bb.8792:                             ;   in Loop: Header=BB4_7680 Depth=3
	v_or_b32_e32 v51, 0x7b, v5
; %bb.8793:                             ;   in Loop: Header=BB4_7680 Depth=3
	s_or_b64 exec, exec, s[28:29]
                                        ; implicit-def: $vgpr3
                                        ; implicit-def: $vgpr1_vgpr2
.LBB4_8794:                             ;   in Loop: Header=BB4_7680 Depth=3
	s_andn2_saveexec_b64 s[28:29], s[30:31]
	s_cbranch_execz .LBB4_8800
; %bb.8795:                             ;   in Loop: Header=BB4_7680 Depth=3
	v_cmp_ne_u64_e32 vcc, 0, v[1:2]
                                        ; implicit-def: $vgpr51
	s_and_saveexec_b64 s[30:31], vcc
	s_xor_b64 vcc, exec, s[30:31]
; %bb.8796:                             ;   in Loop: Header=BB4_7680 Depth=3
	v_or_b32_sdwa v51, v3, s47 dst_sel:DWORD dst_unused:UNUSED_PAD src0_sel:BYTE_3 src1_sel:DWORD
                                        ; implicit-def: $vgpr3
; %bb.8797:                             ;   in Loop: Header=BB4_7680 Depth=3
	s_andn2_saveexec_b64 s[30:31], vcc
; %bb.8798:                             ;   in Loop: Header=BB4_7680 Depth=3
	v_cmp_lt_i32_e32 vcc, -1, v3
	v_bfrev_b32_e32 v1, 0.5
	v_cndmask_b32_e32 v51, v1, v52, vcc
; %bb.8799:                             ;   in Loop: Header=BB4_7680 Depth=3
	s_or_b64 exec, exec, s[30:31]
.LBB4_8800:                             ;   in Loop: Header=BB4_7680 Depth=3
	s_or_b64 exec, exec, s[28:29]
	v_and_b32_sdwa v5, v0, s87 dst_sel:DWORD dst_unused:UNUSED_PAD src0_sel:WORD_1 src1_sel:DWORD
	v_lshrrev_b32_e32 v1, 16, v0
	v_cmp_ne_u16_e32 vcc, 0, v5
	v_mov_b32_e32 v2, 0
	v_mov_b32_e32 v3, 0
	s_and_saveexec_b64 s[28:29], vcc
	s_cbranch_execz .LBB4_8808
; %bb.8801:                             ;   in Loop: Header=BB4_7680 Depth=3
	v_cmp_ne_u16_e32 vcc, s96, v5
	v_bfrev_b32_e32 v3, 1
	s_and_saveexec_b64 s[30:31], vcc
	s_cbranch_execz .LBB4_8807
; %bb.8802:                             ;   in Loop: Header=BB4_7680 Depth=3
	v_and_b32_e32 v3, 0x7c0000, v0
	v_bfe_u32 v5, v0, 16, 2
	v_cmp_ne_u32_e32 vcc, s44, v3
                                        ; implicit-def: $vgpr3
	s_and_saveexec_b64 s[34:35], vcc
	s_xor_b64 s[34:35], exec, s[34:35]
	s_cbranch_execz .LBB4_8804
; %bb.8803:                             ;   in Loop: Header=BB4_7680 Depth=3
	v_ffbh_u32_e32 v6, v5
	v_min_u32_e32 v28, 32, v6
	v_subrev_u32_e32 v6, 29, v28
	v_lshlrev_b64 v[6:7], v6, v[1:2]
	v_bfe_u32 v3, v0, 18, 5
	v_sub_u32_e32 v1, 30, v28
	v_and_b32_e32 v6, 3, v6
	v_cmp_eq_u32_e32 vcc, 0, v3
	v_cndmask_b32_e32 v1, v3, v1, vcc
	v_cndmask_b32_e32 v3, v5, v6, vcc
	v_lshlrev_b32_e32 v5, 8, v0
	v_and_b32_e32 v5, 0x80000000, v5
	v_lshl_add_u32 v1, v1, 23, v5
	v_lshl_or_b32 v1, v3, 21, v1
	v_add_u32_e32 v3, 0x38000000, v1
                                        ; implicit-def: $vgpr5
                                        ; implicit-def: $vgpr1
.LBB4_8804:                             ;   in Loop: Header=BB4_7680 Depth=3
	s_andn2_saveexec_b64 s[34:35], s[34:35]
; %bb.8805:                             ;   in Loop: Header=BB4_7680 Depth=3
	v_mov_b32_e32 v3, -1
	v_cmp_gt_i16_sdwa vcc, sext(v1), v3 src0_sel:BYTE_0 src1_sel:DWORD
	v_mov_b32_e32 v1, 0xff800000
	v_mov_b32_e32 v3, 0x7f800000
	v_cndmask_b32_e32 v1, v1, v3, vcc
	v_cmp_eq_u32_e32 vcc, 0, v5
	v_mov_b32_e32 v3, 0x7f800001
	v_cndmask_b32_e32 v3, v3, v1, vcc
; %bb.8806:                             ;   in Loop: Header=BB4_7680 Depth=3
	s_or_b64 exec, exec, s[34:35]
.LBB4_8807:                             ;   in Loop: Header=BB4_7680 Depth=3
	s_or_b64 exec, exec, s[30:31]
.LBB4_8808:                             ;   in Loop: Header=BB4_7680 Depth=3
	s_or_b64 exec, exec, s[28:29]
	v_lshrrev_b32_e32 v1, 16, v13
	v_cmp_ne_u16_sdwa vcc, v1, v17 src0_sel:BYTE_0 src1_sel:DWORD
	s_and_saveexec_b64 s[28:29], vcc
	s_cbranch_execz .LBB4_8816
; %bb.8809:                             ;   in Loop: Header=BB4_7680 Depth=3
	v_cmp_ne_u16_sdwa vcc, v1, s96 src0_sel:BYTE_0 src1_sel:DWORD
	v_bfrev_b32_e32 v2, 1
	s_and_saveexec_b64 s[30:31], vcc
	s_cbranch_execz .LBB4_8815
; %bb.8810:                             ;   in Loop: Header=BB4_7680 Depth=3
	v_and_b32_e32 v2, 0x7c0000, v13
	v_bfe_u32 v5, v13, 16, 2
	v_cmp_ne_u32_e32 vcc, s44, v2
                                        ; implicit-def: $vgpr2
	s_and_saveexec_b64 s[34:35], vcc
	s_xor_b64 s[34:35], exec, s[34:35]
	s_cbranch_execz .LBB4_8812
; %bb.8811:                             ;   in Loop: Header=BB4_7680 Depth=3
	v_ffbh_u32_e32 v2, v5
	v_min_u32_e32 v7, 32, v2
	v_subrev_u32_e32 v2, 29, v7
	v_lshlrev_b64 v[1:2], v2, v[1:2]
	v_bfe_u32 v6, v13, 18, 5
	v_and_b32_e32 v1, 3, v1
	v_cmp_eq_u32_e32 vcc, 0, v6
	v_sub_u32_e32 v2, 30, v7
	v_cndmask_b32_e32 v1, v5, v1, vcc
	v_lshlrev_b32_e32 v5, 8, v13
	v_cndmask_b32_e32 v2, v6, v2, vcc
	v_and_b32_e32 v5, 0x80000000, v5
	v_lshl_add_u32 v2, v2, 23, v5
	v_lshl_or_b32 v1, v1, 21, v2
	v_add_u32_e32 v2, 0x38000000, v1
                                        ; implicit-def: $vgpr5
                                        ; implicit-def: $vgpr1
.LBB4_8812:                             ;   in Loop: Header=BB4_7680 Depth=3
	s_andn2_saveexec_b64 s[34:35], s[34:35]
; %bb.8813:                             ;   in Loop: Header=BB4_7680 Depth=3
	v_mov_b32_e32 v2, -1
	v_cmp_gt_i16_sdwa vcc, sext(v1), v2 src0_sel:BYTE_0 src1_sel:DWORD
	v_mov_b32_e32 v1, 0xff800000
	v_mov_b32_e32 v2, 0x7f800000
	v_cndmask_b32_e32 v1, v1, v2, vcc
	v_cmp_eq_u32_e32 vcc, 0, v5
	v_mov_b32_e32 v2, 0x7f800001
	v_cndmask_b32_e32 v2, v2, v1, vcc
; %bb.8814:                             ;   in Loop: Header=BB4_7680 Depth=3
	s_or_b64 exec, exec, s[34:35]
.LBB4_8815:                             ;   in Loop: Header=BB4_7680 Depth=3
	s_or_b64 exec, exec, s[30:31]
.LBB4_8816:                             ;   in Loop: Header=BB4_7680 Depth=3
	s_or_b64 exec, exec, s[28:29]
	v_add_f32_e32 v3, v3, v2
	v_and_b32_e32 v5, 0x7f800000, v3
	v_mov_b32_e32 v6, v17
	v_cmp_ne_u64_e32 vcc, s[76:77], v[5:6]
	v_and_b32_e32 v1, 0x7fffff, v3
	v_mov_b32_e32 v2, v17
                                        ; implicit-def: $vgpr41
	s_and_saveexec_b64 s[28:29], vcc
	s_xor_b64 s[30:31], exec, s[28:29]
	s_cbranch_execz .LBB4_8830
; %bb.8817:                             ;   in Loop: Header=BB4_7680 Depth=3
	v_and_b32_e32 v5, 0x7fffffff, v3
	v_mov_b32_e32 v6, v17
	v_cmp_gt_u64_e32 vcc, s[78:79], v[5:6]
	v_and_b32_sdwa v5, v3, s96 dst_sel:DWORD dst_unused:UNUSED_PAD src0_sel:BYTE_3 src1_sel:DWORD
                                        ; implicit-def: $vgpr41
	s_and_saveexec_b64 s[28:29], vcc
	s_xor_b64 s[34:35], exec, s[28:29]
	s_cbranch_execz .LBB4_8827
; %bb.8818:                             ;   in Loop: Header=BB4_7680 Depth=3
	v_mov_b32_e32 v41, 0
	v_cmp_ne_u32_e32 vcc, 0, v3
	s_and_saveexec_b64 s[36:37], vcc
	s_cbranch_execz .LBB4_8826
; %bb.8819:                             ;   in Loop: Header=BB4_7680 Depth=3
	v_bfe_u32 v41, v3, 23, 8
	v_cmp_gt_u32_e64 s[28:29], s46, v41
	v_sub_u32_e32 v3, 0x71, v41
	v_cmp_eq_u32_e32 vcc, 0, v41
	v_cndmask_b32_e64 v3, 0, v3, s[28:29]
	v_mov_b32_e32 v7, 0x70
	v_cndmask_b32_e32 v42, v3, v7, vcc
	v_or_b32_e32 v6, 0x800000, v1
	v_add_u32_e32 v3, 21, v42
	v_cndmask_b32_e32 v1, v6, v1, vcc
	v_lshlrev_b64 v[6:7], v3, -1
	v_add_u32_e32 v3, 20, v42
	v_bfi_b32 v6, v6, 0, v1
	v_lshlrev_b64 v[48:49], v3, 1
	v_lshrrev_b64 v[1:2], v42, v[1:2]
	v_bfi_b32 v7, v7, 0, 0
	v_cmp_eq_u64_e64 s[28:29], v[6:7], v[48:49]
	v_mov_b32_e32 v3, v2
	v_mov_b32_e32 v2, v1
	s_and_saveexec_b64 s[38:39], s[28:29]
; %bb.8820:                             ;   in Loop: Header=BB4_7680 Depth=3
	v_bfe_u32 v2, v1, 21, 1
	v_add_co_u32_e64 v2, s[28:29], v1, v2
	v_add_co_u32_e64 v2, s[28:29], -1, v2
; %bb.8821:                             ;   in Loop: Header=BB4_7680 Depth=3
	s_or_b64 exec, exec, s[38:39]
	v_add_u32_e32 v3, 0xffffff81, v41
	v_mov_b32_e32 v6, 0xffffff82
	v_cndmask_b32_e32 v3, v3, v6, vcc
	v_lshrrev_b32_e32 v6, 23, v1
	v_add3_u32 v42, v42, v3, v6
	v_add_u32_e32 v41, 14, v42
	v_and_b32_e32 v2, 0x1fffff, v2
	v_add_u32_e32 v1, v2, v1
	v_mov_b32_e32 v2, v17
	v_cmp_ne_u32_e32 vcc, 0, v41
                                        ; implicit-def: $vgpr3
	s_and_saveexec_b64 s[28:29], vcc
	s_xor_b64 s[28:29], exec, s[28:29]
; %bb.8822:                             ;   in Loop: Header=BB4_7680 Depth=3
	v_cmp_lt_u64_e32 vcc, s[88:89], v[1:2]
	v_add_u32_e32 v3, 15, v42
	v_cndmask_b32_e64 v6, 0, 1, vcc
	v_cndmask_b32_e32 v3, v41, v3, vcc
	v_lshrrev_b64 v[1:2], v6, v[1:2]
; %bb.8823:                             ;   in Loop: Header=BB4_7680 Depth=3
	s_andn2_saveexec_b64 s[28:29], s[28:29]
; %bb.8824:                             ;   in Loop: Header=BB4_7680 Depth=3
	v_bfe_u32 v3, v1, 23, 1
; %bb.8825:                             ;   in Loop: Header=BB4_7680 Depth=3
	s_or_b64 exec, exec, s[28:29]
	v_lshrrev_b64 v[1:2], 21, v[1:2]
	v_cmp_gt_i32_e32 vcc, 32, v3
	v_cndmask_b32_e32 v2, 0, v2, vcc
	v_cndmask_b32_e32 v1, 3, v1, vcc
	v_cmp_eq_u64_e64 s[28:29], 0, v[1:2]
	v_min_i32_e32 v2, 31, v3
	v_lshlrev_b32_e32 v2, 2, v2
	v_cmp_eq_u32_e32 vcc, 0, v3
	v_and_b32_e32 v2, 0xfc, v2
	v_and_or_b32 v1, v1, 3, v2
	s_and_b64 s[28:29], vcc, s[28:29]
	v_cndmask_b32_e64 v1, v1, 0, s[28:29]
	v_or_b32_e32 v41, v1, v5
.LBB4_8826:                             ;   in Loop: Header=BB4_7680 Depth=3
	s_or_b64 exec, exec, s[36:37]
                                        ; implicit-def: $vgpr5
.LBB4_8827:                             ;   in Loop: Header=BB4_7680 Depth=3
	s_andn2_saveexec_b64 s[28:29], s[34:35]
; %bb.8828:                             ;   in Loop: Header=BB4_7680 Depth=3
	v_or_b32_e32 v41, 0x7b, v5
; %bb.8829:                             ;   in Loop: Header=BB4_7680 Depth=3
	s_or_b64 exec, exec, s[28:29]
                                        ; implicit-def: $vgpr3
                                        ; implicit-def: $vgpr1_vgpr2
.LBB4_8830:                             ;   in Loop: Header=BB4_7680 Depth=3
	s_andn2_saveexec_b64 s[28:29], s[30:31]
	s_cbranch_execz .LBB4_8836
; %bb.8831:                             ;   in Loop: Header=BB4_7680 Depth=3
	v_cmp_ne_u64_e32 vcc, 0, v[1:2]
                                        ; implicit-def: $vgpr41
	s_and_saveexec_b64 s[30:31], vcc
	s_xor_b64 vcc, exec, s[30:31]
; %bb.8832:                             ;   in Loop: Header=BB4_7680 Depth=3
	v_or_b32_sdwa v41, v3, s47 dst_sel:DWORD dst_unused:UNUSED_PAD src0_sel:BYTE_3 src1_sel:DWORD
                                        ; implicit-def: $vgpr3
; %bb.8833:                             ;   in Loop: Header=BB4_7680 Depth=3
	s_andn2_saveexec_b64 s[30:31], vcc
; %bb.8834:                             ;   in Loop: Header=BB4_7680 Depth=3
	v_cmp_lt_i32_e32 vcc, -1, v3
	v_bfrev_b32_e32 v1, 0.5
	v_cndmask_b32_e32 v41, v1, v52, vcc
; %bb.8835:                             ;   in Loop: Header=BB4_7680 Depth=3
	s_or_b64 exec, exec, s[30:31]
.LBB4_8836:                             ;   in Loop: Header=BB4_7680 Depth=3
	s_or_b64 exec, exec, s[28:29]
	v_cmp_lt_u32_e32 vcc, s57, v0
	v_mov_b32_e32 v2, 0
	v_mov_b32_e32 v3, 0
	s_and_saveexec_b64 s[28:29], vcc
	s_cbranch_execz .LBB4_8844
; %bb.8837:                             ;   in Loop: Header=BB4_7680 Depth=3
	v_lshrrev_b32_e32 v1, 24, v0
	v_cmp_ne_u32_e32 vcc, s96, v1
	v_bfrev_b32_e32 v3, 1
	s_and_saveexec_b64 s[30:31], vcc
	s_cbranch_execz .LBB4_8843
; %bb.8838:                             ;   in Loop: Header=BB4_7680 Depth=3
	v_and_b32_e32 v3, 0x7c000000, v0
	v_bfe_u32 v5, v0, 24, 2
	v_cmp_ne_u32_e32 vcc, s45, v3
                                        ; implicit-def: $vgpr3
	s_and_saveexec_b64 s[34:35], vcc
	s_xor_b64 s[34:35], exec, s[34:35]
	s_cbranch_execz .LBB4_8840
; %bb.8839:                             ;   in Loop: Header=BB4_7680 Depth=3
	v_ffbh_u32_e32 v6, v5
	v_min_u32_e32 v28, 32, v6
	v_subrev_u32_e32 v6, 29, v28
	v_bfe_u32 v3, v0, 26, 5
	v_lshlrev_b64 v[6:7], v6, v[1:2]
	v_sub_u32_e32 v1, 30, v28
	v_cmp_eq_u32_e32 vcc, 0, v3
	v_and_b32_e32 v6, 3, v6
	v_cndmask_b32_e32 v1, v3, v1, vcc
	v_and_b32_e32 v0, 0x80000000, v0
	v_cndmask_b32_e32 v3, v5, v6, vcc
	v_lshl_add_u32 v0, v1, 23, v0
	v_lshl_or_b32 v0, v3, 21, v0
	v_add_u32_e32 v3, 0x38000000, v0
                                        ; implicit-def: $vgpr5
                                        ; implicit-def: $vgpr0_vgpr1
.LBB4_8840:                             ;   in Loop: Header=BB4_7680 Depth=3
	s_andn2_saveexec_b64 s[34:35], s[34:35]
; %bb.8841:                             ;   in Loop: Header=BB4_7680 Depth=3
	v_cmp_lt_i32_e32 vcc, -1, v0
	v_mov_b32_e32 v0, 0xff800000
	v_mov_b32_e32 v1, 0x7f800000
	v_cndmask_b32_e32 v0, v0, v1, vcc
	v_cmp_eq_u32_e32 vcc, 0, v5
	v_mov_b32_e32 v1, 0x7f800001
	v_cndmask_b32_e32 v3, v1, v0, vcc
; %bb.8842:                             ;   in Loop: Header=BB4_7680 Depth=3
	s_or_b64 exec, exec, s[34:35]
.LBB4_8843:                             ;   in Loop: Header=BB4_7680 Depth=3
	s_or_b64 exec, exec, s[30:31]
.LBB4_8844:                             ;   in Loop: Header=BB4_7680 Depth=3
	s_or_b64 exec, exec, s[28:29]
	v_cmp_lt_u64_e32 vcc, s[56:57], v[12:13]
	s_and_saveexec_b64 s[28:29], vcc
	s_cbranch_execz .LBB4_8852
; %bb.8845:                             ;   in Loop: Header=BB4_7680 Depth=3
	v_lshrrev_b32_e32 v0, 24, v13
	v_cmp_ne_u32_e32 vcc, s96, v0
	v_bfrev_b32_e32 v2, 1
	s_and_saveexec_b64 s[30:31], vcc
	s_cbranch_execz .LBB4_8851
; %bb.8846:                             ;   in Loop: Header=BB4_7680 Depth=3
	v_and_b32_e32 v2, 0x7c000000, v13
	v_bfe_u32 v1, v13, 24, 2
	v_cmp_ne_u32_e32 vcc, s45, v2
                                        ; implicit-def: $vgpr2
	s_and_saveexec_b64 s[34:35], vcc
	s_xor_b64 s[34:35], exec, s[34:35]
	s_cbranch_execz .LBB4_8848
; %bb.8847:                             ;   in Loop: Header=BB4_7680 Depth=3
	v_ffbh_u32_e32 v5, v1
	v_min_u32_e32 v7, 32, v5
	v_subrev_u32_e32 v5, 29, v7
	v_bfe_u32 v2, v13, 26, 5
	v_lshlrev_b64 v[5:6], v5, v[0:1]
	v_sub_u32_e32 v0, 30, v7
	v_cmp_eq_u32_e32 vcc, 0, v2
	v_and_b32_e32 v5, 3, v5
	v_cndmask_b32_e32 v0, v2, v0, vcc
	v_and_b32_e32 v2, 0x80000000, v13
	v_cndmask_b32_e32 v1, v1, v5, vcc
	v_lshl_add_u32 v0, v0, 23, v2
	v_lshl_or_b32 v0, v1, 21, v0
	v_add_u32_e32 v2, 0x38000000, v0
                                        ; implicit-def: $vgpr1
.LBB4_8848:                             ;   in Loop: Header=BB4_7680 Depth=3
	s_andn2_saveexec_b64 s[34:35], s[34:35]
; %bb.8849:                             ;   in Loop: Header=BB4_7680 Depth=3
	v_cmp_lt_i64_e32 vcc, -1, v[12:13]
	v_mov_b32_e32 v0, 0xff800000
	v_mov_b32_e32 v2, 0x7f800000
	v_cndmask_b32_e32 v0, v0, v2, vcc
	v_cmp_eq_u32_e32 vcc, 0, v1
	v_mov_b32_e32 v1, 0x7f800001
	v_cndmask_b32_e32 v2, v1, v0, vcc
; %bb.8850:                             ;   in Loop: Header=BB4_7680 Depth=3
	s_or_b64 exec, exec, s[34:35]
.LBB4_8851:                             ;   in Loop: Header=BB4_7680 Depth=3
	s_or_b64 exec, exec, s[30:31]
.LBB4_8852:                             ;   in Loop: Header=BB4_7680 Depth=3
	s_or_b64 exec, exec, s[28:29]
	v_add_f32_e32 v2, v3, v2
	v_and_b32_e32 v5, 0x7f800000, v2
	v_mov_b32_e32 v6, v17
	v_cmp_ne_u64_e32 vcc, s[76:77], v[5:6]
	v_and_b32_e32 v0, 0x7fffff, v2
	v_mov_b32_e32 v1, v17
                                        ; implicit-def: $vgpr12
	s_and_saveexec_b64 s[28:29], vcc
	s_xor_b64 s[30:31], exec, s[28:29]
	s_cbranch_execz .LBB4_8866
; %bb.8853:                             ;   in Loop: Header=BB4_7680 Depth=3
	v_and_b32_e32 v5, 0x7fffffff, v2
	v_mov_b32_e32 v6, v17
	v_cmp_gt_u64_e32 vcc, s[78:79], v[5:6]
	v_and_b32_sdwa v3, v2, s96 dst_sel:DWORD dst_unused:UNUSED_PAD src0_sel:BYTE_3 src1_sel:DWORD
                                        ; implicit-def: $vgpr12
	s_and_saveexec_b64 s[28:29], vcc
	s_xor_b64 s[34:35], exec, s[28:29]
	s_cbranch_execz .LBB4_8863
; %bb.8854:                             ;   in Loop: Header=BB4_7680 Depth=3
	v_mov_b32_e32 v12, 0
	v_cmp_ne_u32_e32 vcc, 0, v2
	s_and_saveexec_b64 s[36:37], vcc
	s_cbranch_execz .LBB4_8862
; %bb.8855:                             ;   in Loop: Header=BB4_7680 Depth=3
	v_bfe_u32 v5, v2, 23, 8
	v_cmp_gt_u32_e64 s[28:29], s46, v5
	v_sub_u32_e32 v2, 0x71, v5
	v_cmp_eq_u32_e32 vcc, 0, v5
	v_cndmask_b32_e64 v2, 0, v2, s[28:29]
	v_mov_b32_e32 v7, 0x70
	v_cndmask_b32_e32 v12, v2, v7, vcc
	v_or_b32_e32 v6, 0x800000, v0
	v_add_u32_e32 v2, 21, v12
	v_cndmask_b32_e32 v0, v6, v0, vcc
	v_lshlrev_b64 v[6:7], v2, -1
	v_add_u32_e32 v2, 20, v12
	v_bfi_b32 v6, v6, 0, v0
	v_lshlrev_b64 v[48:49], v2, 1
	v_lshrrev_b64 v[0:1], v12, v[0:1]
	v_bfi_b32 v7, v7, 0, 0
	v_cmp_eq_u64_e64 s[28:29], v[6:7], v[48:49]
	v_mov_b32_e32 v2, v1
	v_mov_b32_e32 v1, v0
	s_and_saveexec_b64 s[38:39], s[28:29]
; %bb.8856:                             ;   in Loop: Header=BB4_7680 Depth=3
	v_bfe_u32 v1, v0, 21, 1
	v_add_co_u32_e64 v1, s[28:29], v0, v1
	v_add_co_u32_e64 v1, s[28:29], -1, v1
; %bb.8857:                             ;   in Loop: Header=BB4_7680 Depth=3
	s_or_b64 exec, exec, s[38:39]
	v_add_u32_e32 v2, 0xffffff81, v5
	v_mov_b32_e32 v5, 0xffffff82
	v_cndmask_b32_e32 v2, v2, v5, vcc
	v_lshrrev_b32_e32 v5, 23, v0
	v_add3_u32 v12, v12, v2, v5
	v_add_u32_e32 v5, 14, v12
	v_and_b32_e32 v1, 0x1fffff, v1
	v_add_u32_e32 v0, v1, v0
	v_mov_b32_e32 v1, v17
	v_cmp_ne_u32_e32 vcc, 0, v5
                                        ; implicit-def: $vgpr2
	s_and_saveexec_b64 s[28:29], vcc
	s_xor_b64 s[28:29], exec, s[28:29]
; %bb.8858:                             ;   in Loop: Header=BB4_7680 Depth=3
	v_cmp_lt_u64_e32 vcc, s[88:89], v[0:1]
	v_add_u32_e32 v2, 15, v12
	v_cndmask_b32_e32 v2, v5, v2, vcc
	v_cndmask_b32_e64 v5, 0, 1, vcc
	v_lshrrev_b64 v[0:1], v5, v[0:1]
; %bb.8859:                             ;   in Loop: Header=BB4_7680 Depth=3
	s_andn2_saveexec_b64 s[28:29], s[28:29]
; %bb.8860:                             ;   in Loop: Header=BB4_7680 Depth=3
	v_bfe_u32 v2, v0, 23, 1
; %bb.8861:                             ;   in Loop: Header=BB4_7680 Depth=3
	s_or_b64 exec, exec, s[28:29]
	v_lshrrev_b64 v[0:1], 21, v[0:1]
	v_cmp_gt_i32_e32 vcc, 32, v2
	v_cndmask_b32_e32 v1, 0, v1, vcc
	v_cndmask_b32_e32 v0, 3, v0, vcc
	v_cmp_eq_u64_e64 s[28:29], 0, v[0:1]
	v_min_i32_e32 v1, 31, v2
	v_lshlrev_b32_e32 v1, 2, v1
	v_cmp_eq_u32_e32 vcc, 0, v2
	v_and_b32_e32 v1, 0xfc, v1
	v_and_or_b32 v0, v0, 3, v1
	s_and_b64 s[28:29], vcc, s[28:29]
	v_cndmask_b32_e64 v0, v0, 0, s[28:29]
	v_or_b32_e32 v12, v0, v3
.LBB4_8862:                             ;   in Loop: Header=BB4_7680 Depth=3
	s_or_b64 exec, exec, s[36:37]
                                        ; implicit-def: $vgpr3
.LBB4_8863:                             ;   in Loop: Header=BB4_7680 Depth=3
	s_andn2_saveexec_b64 s[28:29], s[34:35]
; %bb.8864:                             ;   in Loop: Header=BB4_7680 Depth=3
	v_or_b32_e32 v12, 0x7b, v3
; %bb.8865:                             ;   in Loop: Header=BB4_7680 Depth=3
	s_or_b64 exec, exec, s[28:29]
                                        ; implicit-def: $vgpr2
                                        ; implicit-def: $vgpr0_vgpr1
.LBB4_8866:                             ;   in Loop: Header=BB4_7680 Depth=3
	s_andn2_saveexec_b64 s[28:29], s[30:31]
	s_cbranch_execz .LBB4_8872
; %bb.8867:                             ;   in Loop: Header=BB4_7680 Depth=3
	v_cmp_ne_u64_e32 vcc, 0, v[0:1]
                                        ; implicit-def: $vgpr12
	s_and_saveexec_b64 s[30:31], vcc
	s_xor_b64 vcc, exec, s[30:31]
; %bb.8868:                             ;   in Loop: Header=BB4_7680 Depth=3
	v_or_b32_sdwa v12, v2, s47 dst_sel:DWORD dst_unused:UNUSED_PAD src0_sel:BYTE_3 src1_sel:DWORD
                                        ; implicit-def: $vgpr2
; %bb.8869:                             ;   in Loop: Header=BB4_7680 Depth=3
	s_andn2_saveexec_b64 s[30:31], vcc
; %bb.8870:                             ;   in Loop: Header=BB4_7680 Depth=3
	v_cmp_lt_i32_e32 vcc, -1, v2
	v_bfrev_b32_e32 v0, 0.5
	v_cndmask_b32_e32 v12, v0, v52, vcc
; %bb.8871:                             ;   in Loop: Header=BB4_7680 Depth=3
	s_or_b64 exec, exec, s[30:31]
.LBB4_8872:                             ;   in Loop: Header=BB4_7680 Depth=3
	s_or_b64 exec, exec, s[28:29]
	v_lshl_or_b32 v13, v40, 8, v37
	v_lshlrev_b32_e32 v0, 16, v60
	v_lshlrev_b32_e32 v1, 24, v61
	v_or3_b32 v0, v0, v1, v13
	v_mov_b32_e32 v1, v17
	v_cmp_ne_u32_e32 vcc, 0, v37
	v_mov_b32_e32 v2, 0
	v_mov_b32_e32 v3, 0
	s_and_saveexec_b64 s[30:31], vcc
	s_cbranch_execz .LBB4_8880
; %bb.8873:                             ;   in Loop: Header=BB4_7680 Depth=3
	v_cmp_ne_u32_e32 vcc, s96, v37
	v_bfrev_b32_e32 v3, 1
	s_and_saveexec_b64 s[34:35], vcc
	s_cbranch_execz .LBB4_8879
; %bb.8874:                             ;   in Loop: Header=BB4_7680 Depth=3
	v_and_b32_e32 v3, 0x7c, v37
	v_and_b32_e32 v5, 3, v37
	v_cmp_ne_u32_e32 vcc, s85, v3
                                        ; implicit-def: $vgpr3
	s_and_saveexec_b64 s[28:29], vcc
	s_xor_b64 s[28:29], exec, s[28:29]
	s_cbranch_execz .LBB4_8876
; %bb.8875:                             ;   in Loop: Header=BB4_7680 Depth=3
	v_ffbh_u32_e32 v6, v5
	v_min_u32_e32 v28, 32, v6
	v_subrev_u32_e32 v6, 29, v28
	v_lshlrev_b64 v[6:7], v6, v[0:1]
	v_bfe_u32 v3, v37, 2, 5
	v_sub_u32_e32 v1, 30, v28
	v_and_b32_e32 v6, 3, v6
	v_cmp_eq_u32_e32 vcc, 0, v3
	v_cndmask_b32_e32 v1, v3, v1, vcc
	v_cndmask_b32_e32 v3, v5, v6, vcc
	v_lshlrev_b32_e32 v5, 24, v37
	v_and_b32_e32 v5, 0x80000000, v5
	v_lshl_add_u32 v1, v1, 23, v5
	v_lshl_or_b32 v1, v3, 21, v1
	v_add_u32_e32 v3, 0x38000000, v1
                                        ; implicit-def: $vgpr5
                                        ; implicit-def: $vgpr37
.LBB4_8876:                             ;   in Loop: Header=BB4_7680 Depth=3
	s_andn2_saveexec_b64 s[36:37], s[28:29]
; %bb.8877:                             ;   in Loop: Header=BB4_7680 Depth=3
	v_and_b32_e32 v1, 0x80, v37
	v_cmp_eq_u32_e64 s[28:29], 0, v1
	v_mov_b32_e32 v1, 0xff800000
	v_mov_b32_e32 v3, 0x7f800000
	v_cmp_eq_u32_e32 vcc, 0, v5
	v_cndmask_b32_e64 v1, v1, v3, s[28:29]
	v_mov_b32_e32 v3, 0x7f800001
	v_cndmask_b32_e32 v3, v3, v1, vcc
; %bb.8878:                             ;   in Loop: Header=BB4_7680 Depth=3
	s_or_b64 exec, exec, s[36:37]
.LBB4_8879:                             ;   in Loop: Header=BB4_7680 Depth=3
	s_or_b64 exec, exec, s[34:35]
.LBB4_8880:                             ;   in Loop: Header=BB4_7680 Depth=3
	s_or_b64 exec, exec, s[30:31]
	v_cmp_ne_u16_sdwa vcc, v14, v17 src0_sel:BYTE_0 src1_sel:DWORD
	s_and_saveexec_b64 s[28:29], vcc
	s_cbranch_execz .LBB4_8888
; %bb.8881:                             ;   in Loop: Header=BB4_7680 Depth=3
	v_cmp_ne_u16_sdwa vcc, sext(v14), s97 src0_sel:BYTE_0 src1_sel:DWORD
	v_bfrev_b32_e32 v2, 1
	s_and_saveexec_b64 s[30:31], vcc
	s_cbranch_execz .LBB4_8887
; %bb.8882:                             ;   in Loop: Header=BB4_7680 Depth=3
	v_and_b32_e32 v2, 0x7c, v14
	v_and_b32_e32 v1, 3, v14
	v_cmp_ne_u32_e32 vcc, s85, v2
                                        ; implicit-def: $vgpr2
	s_and_saveexec_b64 s[34:35], vcc
	s_xor_b64 s[34:35], exec, s[34:35]
	s_cbranch_execz .LBB4_8884
; %bb.8883:                             ;   in Loop: Header=BB4_7680 Depth=3
	v_ffbh_u32_e32 v5, v1
	v_min_u32_e32 v7, 32, v5
	v_subrev_u32_e32 v5, 29, v7
	v_lshlrev_b64 v[5:6], v5, v[14:15]
	v_bfe_u32 v2, v14, 2, 5
	v_and_b32_e32 v5, 3, v5
	v_cmp_eq_u32_e32 vcc, 0, v2
	v_sub_u32_e32 v6, 30, v7
	v_cndmask_b32_e32 v1, v1, v5, vcc
	v_lshlrev_b32_e32 v5, 24, v14
	v_cndmask_b32_e32 v2, v2, v6, vcc
	v_and_b32_e32 v5, 0x80000000, v5
	v_lshl_add_u32 v2, v2, 23, v5
	v_lshl_or_b32 v1, v1, 21, v2
	v_add_u32_e32 v2, 0x38000000, v1
                                        ; implicit-def: $vgpr1
.LBB4_8884:                             ;   in Loop: Header=BB4_7680 Depth=3
	s_andn2_saveexec_b64 s[34:35], s[34:35]
; %bb.8885:                             ;   in Loop: Header=BB4_7680 Depth=3
	v_mov_b32_e32 v2, -1
	v_cmp_gt_i16_sdwa vcc, sext(v14), v2 src0_sel:BYTE_0 src1_sel:DWORD
	v_mov_b32_e32 v2, 0xff800000
	v_mov_b32_e32 v5, 0x7f800000
	v_cndmask_b32_e32 v2, v2, v5, vcc
	v_cmp_eq_u32_e32 vcc, 0, v1
	v_mov_b32_e32 v1, 0x7f800001
	v_cndmask_b32_e32 v2, v1, v2, vcc
; %bb.8886:                             ;   in Loop: Header=BB4_7680 Depth=3
	s_or_b64 exec, exec, s[34:35]
.LBB4_8887:                             ;   in Loop: Header=BB4_7680 Depth=3
	s_or_b64 exec, exec, s[30:31]
.LBB4_8888:                             ;   in Loop: Header=BB4_7680 Depth=3
	s_or_b64 exec, exec, s[28:29]
	v_add_f32_e32 v3, v3, v2
	v_and_b32_e32 v5, 0x7f800000, v3
	v_mov_b32_e32 v6, v17
	v_cmp_ne_u64_e32 vcc, s[76:77], v[5:6]
	v_and_b32_e32 v1, 0x7fffff, v3
	v_mov_b32_e32 v2, v17
                                        ; implicit-def: $vgpr5
	s_and_saveexec_b64 s[28:29], vcc
	s_xor_b64 s[30:31], exec, s[28:29]
	s_cbranch_execz .LBB4_8902
; %bb.8889:                             ;   in Loop: Header=BB4_7680 Depth=3
	v_and_b32_e32 v5, 0x7fffffff, v3
	v_mov_b32_e32 v6, v17
	v_cmp_gt_u64_e32 vcc, s[78:79], v[5:6]
	v_and_b32_sdwa v37, v3, s96 dst_sel:DWORD dst_unused:UNUSED_PAD src0_sel:BYTE_3 src1_sel:DWORD
                                        ; implicit-def: $vgpr5
	s_and_saveexec_b64 s[28:29], vcc
	s_xor_b64 s[34:35], exec, s[28:29]
	s_cbranch_execz .LBB4_8899
; %bb.8890:                             ;   in Loop: Header=BB4_7680 Depth=3
	v_mov_b32_e32 v5, 0
	v_cmp_ne_u32_e32 vcc, 0, v3
	s_and_saveexec_b64 s[36:37], vcc
	s_cbranch_execz .LBB4_8898
; %bb.8891:                             ;   in Loop: Header=BB4_7680 Depth=3
	v_bfe_u32 v5, v3, 23, 8
	v_cmp_gt_u32_e64 s[28:29], s46, v5
	v_sub_u32_e32 v3, 0x71, v5
	v_cmp_eq_u32_e32 vcc, 0, v5
	v_cndmask_b32_e64 v3, 0, v3, s[28:29]
	v_mov_b32_e32 v7, 0x70
	v_cndmask_b32_e32 v40, v3, v7, vcc
	v_or_b32_e32 v6, 0x800000, v1
	v_add_u32_e32 v3, 21, v40
	v_cndmask_b32_e32 v1, v6, v1, vcc
	v_lshlrev_b64 v[6:7], v3, -1
	v_add_u32_e32 v3, 20, v40
	v_bfi_b32 v6, v6, 0, v1
	v_lshlrev_b64 v[48:49], v3, 1
	v_lshrrev_b64 v[1:2], v40, v[1:2]
	v_bfi_b32 v7, v7, 0, 0
	v_cmp_eq_u64_e64 s[28:29], v[6:7], v[48:49]
	v_mov_b32_e32 v3, v2
	v_mov_b32_e32 v2, v1
	s_and_saveexec_b64 s[38:39], s[28:29]
; %bb.8892:                             ;   in Loop: Header=BB4_7680 Depth=3
	v_bfe_u32 v2, v1, 21, 1
	v_add_co_u32_e64 v2, s[28:29], v1, v2
	v_add_co_u32_e64 v2, s[28:29], -1, v2
; %bb.8893:                             ;   in Loop: Header=BB4_7680 Depth=3
	s_or_b64 exec, exec, s[38:39]
	v_add_u32_e32 v3, 0xffffff81, v5
	v_mov_b32_e32 v5, 0xffffff82
	v_cndmask_b32_e32 v3, v3, v5, vcc
	v_lshrrev_b32_e32 v5, 23, v1
	v_add3_u32 v40, v40, v3, v5
	v_add_u32_e32 v5, 14, v40
	v_and_b32_e32 v2, 0x1fffff, v2
	v_add_u32_e32 v1, v2, v1
	v_mov_b32_e32 v2, v17
	v_cmp_ne_u32_e32 vcc, 0, v5
                                        ; implicit-def: $vgpr3
	s_and_saveexec_b64 s[28:29], vcc
	s_xor_b64 s[28:29], exec, s[28:29]
; %bb.8894:                             ;   in Loop: Header=BB4_7680 Depth=3
	v_cmp_lt_u64_e32 vcc, s[88:89], v[1:2]
	v_add_u32_e32 v3, 15, v40
	v_cndmask_b32_e32 v3, v5, v3, vcc
	v_cndmask_b32_e64 v5, 0, 1, vcc
	v_lshrrev_b64 v[1:2], v5, v[1:2]
; %bb.8895:                             ;   in Loop: Header=BB4_7680 Depth=3
	s_andn2_saveexec_b64 s[28:29], s[28:29]
; %bb.8896:                             ;   in Loop: Header=BB4_7680 Depth=3
	v_bfe_u32 v3, v1, 23, 1
; %bb.8897:                             ;   in Loop: Header=BB4_7680 Depth=3
	s_or_b64 exec, exec, s[28:29]
	v_lshrrev_b64 v[1:2], 21, v[1:2]
	v_cmp_gt_i32_e32 vcc, 32, v3
	v_cndmask_b32_e32 v2, 0, v2, vcc
	v_cndmask_b32_e32 v1, 3, v1, vcc
	v_cmp_eq_u64_e64 s[28:29], 0, v[1:2]
	v_min_i32_e32 v2, 31, v3
	v_lshlrev_b32_e32 v2, 2, v2
	v_cmp_eq_u32_e32 vcc, 0, v3
	v_and_b32_e32 v2, 0xfc, v2
	v_and_or_b32 v1, v1, 3, v2
	s_and_b64 s[28:29], vcc, s[28:29]
	v_cndmask_b32_e64 v1, v1, 0, s[28:29]
	v_or_b32_e32 v5, v1, v37
.LBB4_8898:                             ;   in Loop: Header=BB4_7680 Depth=3
	s_or_b64 exec, exec, s[36:37]
                                        ; implicit-def: $vgpr37
.LBB4_8899:                             ;   in Loop: Header=BB4_7680 Depth=3
	s_andn2_saveexec_b64 s[28:29], s[34:35]
; %bb.8900:                             ;   in Loop: Header=BB4_7680 Depth=3
	v_or_b32_e32 v5, 0x7b, v37
; %bb.8901:                             ;   in Loop: Header=BB4_7680 Depth=3
	s_or_b64 exec, exec, s[28:29]
                                        ; implicit-def: $vgpr3
                                        ; implicit-def: $vgpr1_vgpr2
.LBB4_8902:                             ;   in Loop: Header=BB4_7680 Depth=3
	s_andn2_saveexec_b64 s[28:29], s[30:31]
	s_cbranch_execz .LBB4_8908
; %bb.8903:                             ;   in Loop: Header=BB4_7680 Depth=3
	v_cmp_ne_u64_e32 vcc, 0, v[1:2]
                                        ; implicit-def: $vgpr5
	s_and_saveexec_b64 s[30:31], vcc
	s_xor_b64 vcc, exec, s[30:31]
; %bb.8904:                             ;   in Loop: Header=BB4_7680 Depth=3
	v_or_b32_sdwa v5, v3, s47 dst_sel:DWORD dst_unused:UNUSED_PAD src0_sel:BYTE_3 src1_sel:DWORD
                                        ; implicit-def: $vgpr3
; %bb.8905:                             ;   in Loop: Header=BB4_7680 Depth=3
	s_andn2_saveexec_b64 s[30:31], vcc
; %bb.8906:                             ;   in Loop: Header=BB4_7680 Depth=3
	v_cmp_lt_i32_e32 vcc, -1, v3
	v_bfrev_b32_e32 v1, 0.5
	v_cndmask_b32_e32 v5, v1, v52, vcc
; %bb.8907:                             ;   in Loop: Header=BB4_7680 Depth=3
	s_or_b64 exec, exec, s[30:31]
.LBB4_8908:                             ;   in Loop: Header=BB4_7680 Depth=3
	s_or_b64 exec, exec, s[28:29]
	v_lshrrev_b16_e32 v1, 8, v13
	v_cmp_ne_u16_e32 vcc, 0, v1
	v_mov_b32_e32 v3, 0
	v_mov_b32_e32 v37, 0
	s_and_saveexec_b64 s[28:29], vcc
	s_cbranch_execz .LBB4_8916
; %bb.8909:                             ;   in Loop: Header=BB4_7680 Depth=3
	v_cmp_ne_u16_e32 vcc, s96, v1
	v_bfrev_b32_e32 v37, 1
	s_and_saveexec_b64 s[30:31], vcc
	s_cbranch_execz .LBB4_8915
; %bb.8910:                             ;   in Loop: Header=BB4_7680 Depth=3
	v_and_b32_e32 v2, 0x7c, v1
	v_and_b32_e32 v40, 3, v1
	v_cmp_ne_u32_e32 vcc, s85, v2
                                        ; implicit-def: $vgpr37
	s_and_saveexec_b64 s[34:35], vcc
	s_xor_b64 s[34:35], exec, s[34:35]
	s_cbranch_execz .LBB4_8912
; %bb.8911:                             ;   in Loop: Header=BB4_7680 Depth=3
	v_ffbh_u32_e32 v7, v40
	v_min_u32_e32 v7, 32, v7
	v_mov_b32_e32 v2, v17
	v_subrev_u32_e32 v28, 29, v7
	v_bfe_u32 v6, v1, 2, 5
	v_lshlrev_b64 v[1:2], v28, v[1:2]
	v_sub_u32_e32 v2, 30, v7
	v_cmp_eq_u32_e32 vcc, 0, v6
	v_cndmask_b32_e32 v2, v6, v2, vcc
	v_lshlrev_b32_e32 v6, 16, v13
	v_and_b32_e32 v1, 3, v1
	v_and_b32_e32 v6, 0x80000000, v6
	v_cndmask_b32_e32 v1, v40, v1, vcc
	v_lshl_add_u32 v2, v2, 23, v6
	v_lshl_or_b32 v1, v1, 21, v2
	v_add_u32_e32 v37, 0x38000000, v1
                                        ; implicit-def: $vgpr40
                                        ; implicit-def: $vgpr13
.LBB4_8912:                             ;   in Loop: Header=BB4_7680 Depth=3
	s_andn2_saveexec_b64 s[34:35], s[34:35]
; %bb.8913:                             ;   in Loop: Header=BB4_7680 Depth=3
	v_cmp_lt_i16_e32 vcc, -1, v13
	v_mov_b32_e32 v1, 0xff800000
	v_mov_b32_e32 v2, 0x7f800000
	v_cndmask_b32_e32 v1, v1, v2, vcc
	v_cmp_eq_u32_e32 vcc, 0, v40
	v_mov_b32_e32 v2, 0x7f800001
	v_cndmask_b32_e32 v37, v2, v1, vcc
; %bb.8914:                             ;   in Loop: Header=BB4_7680 Depth=3
	s_or_b64 exec, exec, s[34:35]
.LBB4_8915:                             ;   in Loop: Header=BB4_7680 Depth=3
	s_or_b64 exec, exec, s[30:31]
.LBB4_8916:                             ;   in Loop: Header=BB4_7680 Depth=3
	s_or_b64 exec, exec, s[28:29]
	v_lshrrev_b16_e32 v1, 8, v14
	v_cmp_ne_u16_e32 vcc, 0, v1
	s_and_saveexec_b64 s[28:29], vcc
	s_cbranch_execz .LBB4_8924
; %bb.8917:                             ;   in Loop: Header=BB4_7680 Depth=3
	v_cmp_ne_u16_e32 vcc, s96, v1
	v_bfrev_b32_e32 v3, 1
	s_and_saveexec_b64 s[30:31], vcc
	s_cbranch_execz .LBB4_8923
; %bb.8918:                             ;   in Loop: Header=BB4_7680 Depth=3
	v_and_b32_e32 v2, 0x7c, v1
	v_and_b32_e32 v13, 3, v1
	v_cmp_ne_u32_e32 vcc, s85, v2
                                        ; implicit-def: $vgpr3
	s_and_saveexec_b64 s[34:35], vcc
	s_xor_b64 s[34:35], exec, s[34:35]
	s_cbranch_execz .LBB4_8920
; %bb.8919:                             ;   in Loop: Header=BB4_7680 Depth=3
	v_ffbh_u32_e32 v6, v13
	v_min_u32_e32 v6, 32, v6
	v_mov_b32_e32 v2, v17
	v_subrev_u32_e32 v7, 29, v6
	v_bfe_u32 v3, v1, 2, 5
	v_lshlrev_b64 v[1:2], v7, v[1:2]
	v_sub_u32_e32 v2, 30, v6
	v_cmp_eq_u32_e32 vcc, 0, v3
	v_cndmask_b32_e32 v2, v3, v2, vcc
	v_lshlrev_b32_e32 v3, 16, v14
	v_and_b32_e32 v1, 3, v1
	v_and_b32_e32 v3, 0x80000000, v3
	v_cndmask_b32_e32 v1, v13, v1, vcc
	v_lshl_add_u32 v2, v2, 23, v3
	v_lshl_or_b32 v1, v1, 21, v2
	v_add_u32_e32 v3, 0x38000000, v1
                                        ; implicit-def: $vgpr13
.LBB4_8920:                             ;   in Loop: Header=BB4_7680 Depth=3
	s_andn2_saveexec_b64 s[34:35], s[34:35]
; %bb.8921:                             ;   in Loop: Header=BB4_7680 Depth=3
	v_cmp_lt_i16_e32 vcc, -1, v14
	v_mov_b32_e32 v1, 0xff800000
	v_mov_b32_e32 v2, 0x7f800000
	v_cndmask_b32_e32 v1, v1, v2, vcc
	v_cmp_eq_u32_e32 vcc, 0, v13
	v_mov_b32_e32 v2, 0x7f800001
	v_cndmask_b32_e32 v3, v2, v1, vcc
; %bb.8922:                             ;   in Loop: Header=BB4_7680 Depth=3
	s_or_b64 exec, exec, s[34:35]
.LBB4_8923:                             ;   in Loop: Header=BB4_7680 Depth=3
	s_or_b64 exec, exec, s[30:31]
.LBB4_8924:                             ;   in Loop: Header=BB4_7680 Depth=3
	s_or_b64 exec, exec, s[28:29]
	v_add_f32_e32 v3, v37, v3
	v_and_b32_e32 v6, 0x7f800000, v3
	v_mov_b32_e32 v7, v17
	v_cmp_ne_u64_e32 vcc, s[76:77], v[6:7]
	v_and_b32_e32 v1, 0x7fffff, v3
	v_mov_b32_e32 v2, v17
                                        ; implicit-def: $vgpr13
	s_and_saveexec_b64 s[28:29], vcc
	s_xor_b64 s[30:31], exec, s[28:29]
	s_cbranch_execz .LBB4_8938
; %bb.8925:                             ;   in Loop: Header=BB4_7680 Depth=3
	v_and_b32_e32 v6, 0x7fffffff, v3
	v_mov_b32_e32 v7, v17
	v_cmp_gt_u64_e32 vcc, s[78:79], v[6:7]
	v_and_b32_sdwa v37, v3, s96 dst_sel:DWORD dst_unused:UNUSED_PAD src0_sel:BYTE_3 src1_sel:DWORD
                                        ; implicit-def: $vgpr13
	s_and_saveexec_b64 s[28:29], vcc
	s_xor_b64 s[34:35], exec, s[28:29]
	s_cbranch_execz .LBB4_8935
; %bb.8926:                             ;   in Loop: Header=BB4_7680 Depth=3
	v_mov_b32_e32 v13, 0
	v_cmp_ne_u32_e32 vcc, 0, v3
	s_and_saveexec_b64 s[36:37], vcc
	s_cbranch_execz .LBB4_8934
; %bb.8927:                             ;   in Loop: Header=BB4_7680 Depth=3
	v_bfe_u32 v13, v3, 23, 8
	v_cmp_gt_u32_e64 s[28:29], s46, v13
	v_sub_u32_e32 v3, 0x71, v13
	v_cmp_eq_u32_e32 vcc, 0, v13
	v_cndmask_b32_e64 v3, 0, v3, s[28:29]
	v_mov_b32_e32 v7, 0x70
	v_cndmask_b32_e32 v40, v3, v7, vcc
	v_or_b32_e32 v6, 0x800000, v1
	v_add_u32_e32 v3, 21, v40
	v_cndmask_b32_e32 v1, v6, v1, vcc
	v_lshlrev_b64 v[6:7], v3, -1
	v_add_u32_e32 v3, 20, v40
	v_bfi_b32 v6, v6, 0, v1
	v_lshlrev_b64 v[48:49], v3, 1
	v_lshrrev_b64 v[1:2], v40, v[1:2]
	v_bfi_b32 v7, v7, 0, 0
	v_cmp_eq_u64_e64 s[28:29], v[6:7], v[48:49]
	v_mov_b32_e32 v3, v2
	v_mov_b32_e32 v2, v1
	s_and_saveexec_b64 s[38:39], s[28:29]
; %bb.8928:                             ;   in Loop: Header=BB4_7680 Depth=3
	v_bfe_u32 v2, v1, 21, 1
	v_add_co_u32_e64 v2, s[28:29], v1, v2
	v_add_co_u32_e64 v2, s[28:29], -1, v2
; %bb.8929:                             ;   in Loop: Header=BB4_7680 Depth=3
	s_or_b64 exec, exec, s[38:39]
	v_add_u32_e32 v3, 0xffffff81, v13
	v_mov_b32_e32 v6, 0xffffff82
	v_cndmask_b32_e32 v3, v3, v6, vcc
	v_lshrrev_b32_e32 v6, 23, v1
	v_add3_u32 v40, v40, v3, v6
	v_add_u32_e32 v13, 14, v40
	v_and_b32_e32 v2, 0x1fffff, v2
	v_add_u32_e32 v1, v2, v1
	v_mov_b32_e32 v2, v17
	v_cmp_ne_u32_e32 vcc, 0, v13
                                        ; implicit-def: $vgpr3
	s_and_saveexec_b64 s[28:29], vcc
	s_xor_b64 s[28:29], exec, s[28:29]
; %bb.8930:                             ;   in Loop: Header=BB4_7680 Depth=3
	v_cmp_lt_u64_e32 vcc, s[88:89], v[1:2]
	v_add_u32_e32 v3, 15, v40
	v_cndmask_b32_e64 v6, 0, 1, vcc
	v_cndmask_b32_e32 v3, v13, v3, vcc
	v_lshrrev_b64 v[1:2], v6, v[1:2]
; %bb.8931:                             ;   in Loop: Header=BB4_7680 Depth=3
	s_andn2_saveexec_b64 s[28:29], s[28:29]
; %bb.8932:                             ;   in Loop: Header=BB4_7680 Depth=3
	v_bfe_u32 v3, v1, 23, 1
; %bb.8933:                             ;   in Loop: Header=BB4_7680 Depth=3
	s_or_b64 exec, exec, s[28:29]
	v_lshrrev_b64 v[1:2], 21, v[1:2]
	v_cmp_gt_i32_e32 vcc, 32, v3
	v_cndmask_b32_e32 v2, 0, v2, vcc
	v_cndmask_b32_e32 v1, 3, v1, vcc
	v_cmp_eq_u64_e64 s[28:29], 0, v[1:2]
	v_min_i32_e32 v2, 31, v3
	v_lshlrev_b32_e32 v2, 2, v2
	v_cmp_eq_u32_e32 vcc, 0, v3
	v_and_b32_e32 v2, 0xfc, v2
	v_and_or_b32 v1, v1, 3, v2
	s_and_b64 s[28:29], vcc, s[28:29]
	v_cndmask_b32_e64 v1, v1, 0, s[28:29]
	v_or_b32_e32 v13, v1, v37
.LBB4_8934:                             ;   in Loop: Header=BB4_7680 Depth=3
	s_or_b64 exec, exec, s[36:37]
                                        ; implicit-def: $vgpr37
.LBB4_8935:                             ;   in Loop: Header=BB4_7680 Depth=3
	s_andn2_saveexec_b64 s[28:29], s[34:35]
; %bb.8936:                             ;   in Loop: Header=BB4_7680 Depth=3
	v_or_b32_e32 v13, 0x7b, v37
; %bb.8937:                             ;   in Loop: Header=BB4_7680 Depth=3
	s_or_b64 exec, exec, s[28:29]
                                        ; implicit-def: $vgpr3
                                        ; implicit-def: $vgpr1_vgpr2
.LBB4_8938:                             ;   in Loop: Header=BB4_7680 Depth=3
	s_andn2_saveexec_b64 s[28:29], s[30:31]
	s_cbranch_execz .LBB4_8944
; %bb.8939:                             ;   in Loop: Header=BB4_7680 Depth=3
	v_cmp_ne_u64_e32 vcc, 0, v[1:2]
                                        ; implicit-def: $vgpr13
	s_and_saveexec_b64 s[30:31], vcc
	s_xor_b64 vcc, exec, s[30:31]
; %bb.8940:                             ;   in Loop: Header=BB4_7680 Depth=3
	v_or_b32_sdwa v13, v3, s47 dst_sel:DWORD dst_unused:UNUSED_PAD src0_sel:BYTE_3 src1_sel:DWORD
                                        ; implicit-def: $vgpr3
; %bb.8941:                             ;   in Loop: Header=BB4_7680 Depth=3
	s_andn2_saveexec_b64 s[30:31], vcc
; %bb.8942:                             ;   in Loop: Header=BB4_7680 Depth=3
	v_cmp_lt_i32_e32 vcc, -1, v3
	v_bfrev_b32_e32 v1, 0.5
	v_cndmask_b32_e32 v13, v1, v52, vcc
; %bb.8943:                             ;   in Loop: Header=BB4_7680 Depth=3
	s_or_b64 exec, exec, s[30:31]
.LBB4_8944:                             ;   in Loop: Header=BB4_7680 Depth=3
	s_or_b64 exec, exec, s[28:29]
	v_and_b32_sdwa v37, v0, s87 dst_sel:DWORD dst_unused:UNUSED_PAD src0_sel:WORD_1 src1_sel:DWORD
	v_lshrrev_b32_e32 v1, 16, v0
	v_cmp_ne_u16_e32 vcc, 0, v37
	v_mov_b32_e32 v2, 0
	v_mov_b32_e32 v3, 0
	s_and_saveexec_b64 s[28:29], vcc
	s_cbranch_execz .LBB4_8952
; %bb.8945:                             ;   in Loop: Header=BB4_7680 Depth=3
	v_cmp_ne_u16_e32 vcc, s96, v37
	v_bfrev_b32_e32 v3, 1
	s_and_saveexec_b64 s[30:31], vcc
	s_cbranch_execz .LBB4_8951
; %bb.8946:                             ;   in Loop: Header=BB4_7680 Depth=3
	v_and_b32_e32 v3, 0x7c0000, v0
	v_bfe_u32 v37, v0, 16, 2
	v_cmp_ne_u32_e32 vcc, s44, v3
                                        ; implicit-def: $vgpr3
	s_and_saveexec_b64 s[34:35], vcc
	s_xor_b64 s[34:35], exec, s[34:35]
	s_cbranch_execz .LBB4_8948
; %bb.8947:                             ;   in Loop: Header=BB4_7680 Depth=3
	v_ffbh_u32_e32 v6, v37
	v_min_u32_e32 v28, 32, v6
	v_subrev_u32_e32 v6, 29, v28
	v_lshlrev_b64 v[6:7], v6, v[1:2]
	v_bfe_u32 v3, v0, 18, 5
	v_sub_u32_e32 v1, 30, v28
	v_and_b32_e32 v6, 3, v6
	v_cmp_eq_u32_e32 vcc, 0, v3
	v_cndmask_b32_e32 v1, v3, v1, vcc
	v_cndmask_b32_e32 v3, v37, v6, vcc
	v_lshlrev_b32_e32 v6, 8, v0
	v_and_b32_e32 v6, 0x80000000, v6
	v_lshl_add_u32 v1, v1, 23, v6
	v_lshl_or_b32 v1, v3, 21, v1
	v_add_u32_e32 v3, 0x38000000, v1
                                        ; implicit-def: $vgpr37
                                        ; implicit-def: $vgpr1
.LBB4_8948:                             ;   in Loop: Header=BB4_7680 Depth=3
	s_andn2_saveexec_b64 s[34:35], s[34:35]
; %bb.8949:                             ;   in Loop: Header=BB4_7680 Depth=3
	v_mov_b32_e32 v3, -1
	v_cmp_gt_i16_sdwa vcc, sext(v1), v3 src0_sel:BYTE_0 src1_sel:DWORD
	v_mov_b32_e32 v1, 0xff800000
	v_mov_b32_e32 v3, 0x7f800000
	v_cndmask_b32_e32 v1, v1, v3, vcc
	v_cmp_eq_u32_e32 vcc, 0, v37
	v_mov_b32_e32 v3, 0x7f800001
	v_cndmask_b32_e32 v3, v3, v1, vcc
; %bb.8950:                             ;   in Loop: Header=BB4_7680 Depth=3
	s_or_b64 exec, exec, s[34:35]
.LBB4_8951:                             ;   in Loop: Header=BB4_7680 Depth=3
	s_or_b64 exec, exec, s[30:31]
.LBB4_8952:                             ;   in Loop: Header=BB4_7680 Depth=3
	s_or_b64 exec, exec, s[28:29]
	v_lshrrev_b32_e32 v1, 16, v14
	v_cmp_ne_u16_sdwa vcc, v1, v17 src0_sel:BYTE_0 src1_sel:DWORD
	s_and_saveexec_b64 s[28:29], vcc
	s_cbranch_execz .LBB4_8960
; %bb.8953:                             ;   in Loop: Header=BB4_7680 Depth=3
	v_cmp_ne_u16_sdwa vcc, v1, s96 src0_sel:BYTE_0 src1_sel:DWORD
	v_bfrev_b32_e32 v2, 1
	s_and_saveexec_b64 s[30:31], vcc
	s_cbranch_execz .LBB4_8959
; %bb.8954:                             ;   in Loop: Header=BB4_7680 Depth=3
	v_and_b32_e32 v2, 0x7c0000, v14
	v_bfe_u32 v37, v14, 16, 2
	v_cmp_ne_u32_e32 vcc, s44, v2
                                        ; implicit-def: $vgpr2
	s_and_saveexec_b64 s[34:35], vcc
	s_xor_b64 s[34:35], exec, s[34:35]
	s_cbranch_execz .LBB4_8956
; %bb.8955:                             ;   in Loop: Header=BB4_7680 Depth=3
	v_ffbh_u32_e32 v2, v37
	v_min_u32_e32 v7, 32, v2
	v_subrev_u32_e32 v2, 29, v7
	v_bfe_u32 v6, v14, 18, 5
	v_lshlrev_b64 v[1:2], v2, v[1:2]
	v_sub_u32_e32 v2, 30, v7
	v_cmp_eq_u32_e32 vcc, 0, v6
	v_cndmask_b32_e32 v2, v6, v2, vcc
	v_lshlrev_b32_e32 v6, 8, v14
	v_and_b32_e32 v1, 3, v1
	v_and_b32_e32 v6, 0x80000000, v6
	v_cndmask_b32_e32 v1, v37, v1, vcc
	v_lshl_add_u32 v2, v2, 23, v6
	v_lshl_or_b32 v1, v1, 21, v2
	v_add_u32_e32 v2, 0x38000000, v1
                                        ; implicit-def: $vgpr37
                                        ; implicit-def: $vgpr1
.LBB4_8956:                             ;   in Loop: Header=BB4_7680 Depth=3
	s_andn2_saveexec_b64 s[34:35], s[34:35]
; %bb.8957:                             ;   in Loop: Header=BB4_7680 Depth=3
	v_mov_b32_e32 v2, -1
	v_cmp_gt_i16_sdwa vcc, sext(v1), v2 src0_sel:BYTE_0 src1_sel:DWORD
	v_mov_b32_e32 v1, 0xff800000
	v_mov_b32_e32 v2, 0x7f800000
	v_cndmask_b32_e32 v1, v1, v2, vcc
	v_cmp_eq_u32_e32 vcc, 0, v37
	v_mov_b32_e32 v2, 0x7f800001
	v_cndmask_b32_e32 v2, v2, v1, vcc
; %bb.8958:                             ;   in Loop: Header=BB4_7680 Depth=3
	s_or_b64 exec, exec, s[34:35]
.LBB4_8959:                             ;   in Loop: Header=BB4_7680 Depth=3
	s_or_b64 exec, exec, s[30:31]
.LBB4_8960:                             ;   in Loop: Header=BB4_7680 Depth=3
	s_or_b64 exec, exec, s[28:29]
	v_add_f32_e32 v3, v3, v2
	v_and_b32_e32 v6, 0x7f800000, v3
	v_mov_b32_e32 v7, v17
	v_cmp_ne_u64_e32 vcc, s[76:77], v[6:7]
	v_and_b32_e32 v1, 0x7fffff, v3
	v_mov_b32_e32 v2, v17
                                        ; implicit-def: $vgpr37
	s_and_saveexec_b64 s[28:29], vcc
	s_xor_b64 s[30:31], exec, s[28:29]
	s_cbranch_execz .LBB4_8974
; %bb.8961:                             ;   in Loop: Header=BB4_7680 Depth=3
	v_and_b32_e32 v6, 0x7fffffff, v3
	v_mov_b32_e32 v7, v17
	v_cmp_gt_u64_e32 vcc, s[78:79], v[6:7]
	v_and_b32_sdwa v40, v3, s96 dst_sel:DWORD dst_unused:UNUSED_PAD src0_sel:BYTE_3 src1_sel:DWORD
                                        ; implicit-def: $vgpr37
	s_and_saveexec_b64 s[28:29], vcc
	s_xor_b64 s[34:35], exec, s[28:29]
	s_cbranch_execz .LBB4_8971
; %bb.8962:                             ;   in Loop: Header=BB4_7680 Depth=3
	v_mov_b32_e32 v37, 0
	v_cmp_ne_u32_e32 vcc, 0, v3
	s_and_saveexec_b64 s[36:37], vcc
	s_cbranch_execz .LBB4_8970
; %bb.8963:                             ;   in Loop: Header=BB4_7680 Depth=3
	v_bfe_u32 v37, v3, 23, 8
	v_cmp_gt_u32_e64 s[28:29], s46, v37
	v_sub_u32_e32 v3, 0x71, v37
	v_cmp_eq_u32_e32 vcc, 0, v37
	v_cndmask_b32_e64 v3, 0, v3, s[28:29]
	v_mov_b32_e32 v7, 0x70
	v_cndmask_b32_e32 v42, v3, v7, vcc
	v_or_b32_e32 v6, 0x800000, v1
	v_add_u32_e32 v3, 21, v42
	v_cndmask_b32_e32 v1, v6, v1, vcc
	v_lshlrev_b64 v[6:7], v3, -1
	v_add_u32_e32 v3, 20, v42
	v_bfi_b32 v6, v6, 0, v1
	v_lshlrev_b64 v[48:49], v3, 1
	v_lshrrev_b64 v[1:2], v42, v[1:2]
	v_bfi_b32 v7, v7, 0, 0
	v_cmp_eq_u64_e64 s[28:29], v[6:7], v[48:49]
	v_mov_b32_e32 v3, v2
	v_mov_b32_e32 v2, v1
	s_and_saveexec_b64 s[38:39], s[28:29]
; %bb.8964:                             ;   in Loop: Header=BB4_7680 Depth=3
	v_bfe_u32 v2, v1, 21, 1
	v_add_co_u32_e64 v2, s[28:29], v1, v2
	v_add_co_u32_e64 v2, s[28:29], -1, v2
; %bb.8965:                             ;   in Loop: Header=BB4_7680 Depth=3
	s_or_b64 exec, exec, s[38:39]
	v_add_u32_e32 v3, 0xffffff81, v37
	v_mov_b32_e32 v6, 0xffffff82
	v_cndmask_b32_e32 v3, v3, v6, vcc
	v_lshrrev_b32_e32 v6, 23, v1
	v_add3_u32 v42, v42, v3, v6
	v_add_u32_e32 v37, 14, v42
	v_and_b32_e32 v2, 0x1fffff, v2
	v_add_u32_e32 v1, v2, v1
	v_mov_b32_e32 v2, v17
	v_cmp_ne_u32_e32 vcc, 0, v37
                                        ; implicit-def: $vgpr3
	s_and_saveexec_b64 s[28:29], vcc
	s_xor_b64 s[28:29], exec, s[28:29]
; %bb.8966:                             ;   in Loop: Header=BB4_7680 Depth=3
	v_cmp_lt_u64_e32 vcc, s[88:89], v[1:2]
	v_add_u32_e32 v3, 15, v42
	v_cndmask_b32_e64 v6, 0, 1, vcc
	v_cndmask_b32_e32 v3, v37, v3, vcc
	v_lshrrev_b64 v[1:2], v6, v[1:2]
; %bb.8967:                             ;   in Loop: Header=BB4_7680 Depth=3
	s_andn2_saveexec_b64 s[28:29], s[28:29]
; %bb.8968:                             ;   in Loop: Header=BB4_7680 Depth=3
	v_bfe_u32 v3, v1, 23, 1
; %bb.8969:                             ;   in Loop: Header=BB4_7680 Depth=3
	s_or_b64 exec, exec, s[28:29]
	v_lshrrev_b64 v[1:2], 21, v[1:2]
	v_cmp_gt_i32_e32 vcc, 32, v3
	v_cndmask_b32_e32 v2, 0, v2, vcc
	v_cndmask_b32_e32 v1, 3, v1, vcc
	v_cmp_eq_u64_e64 s[28:29], 0, v[1:2]
	v_min_i32_e32 v2, 31, v3
	v_lshlrev_b32_e32 v2, 2, v2
	v_cmp_eq_u32_e32 vcc, 0, v3
	v_and_b32_e32 v2, 0xfc, v2
	v_and_or_b32 v1, v1, 3, v2
	s_and_b64 s[28:29], vcc, s[28:29]
	v_cndmask_b32_e64 v1, v1, 0, s[28:29]
	v_or_b32_e32 v37, v1, v40
.LBB4_8970:                             ;   in Loop: Header=BB4_7680 Depth=3
	s_or_b64 exec, exec, s[36:37]
                                        ; implicit-def: $vgpr40
.LBB4_8971:                             ;   in Loop: Header=BB4_7680 Depth=3
	s_andn2_saveexec_b64 s[28:29], s[34:35]
; %bb.8972:                             ;   in Loop: Header=BB4_7680 Depth=3
	v_or_b32_e32 v37, 0x7b, v40
; %bb.8973:                             ;   in Loop: Header=BB4_7680 Depth=3
	s_or_b64 exec, exec, s[28:29]
                                        ; implicit-def: $vgpr3
                                        ; implicit-def: $vgpr1_vgpr2
.LBB4_8974:                             ;   in Loop: Header=BB4_7680 Depth=3
	s_andn2_saveexec_b64 s[28:29], s[30:31]
	s_cbranch_execz .LBB4_8980
; %bb.8975:                             ;   in Loop: Header=BB4_7680 Depth=3
	v_cmp_ne_u64_e32 vcc, 0, v[1:2]
                                        ; implicit-def: $vgpr37
	s_and_saveexec_b64 s[30:31], vcc
	s_xor_b64 vcc, exec, s[30:31]
; %bb.8976:                             ;   in Loop: Header=BB4_7680 Depth=3
	v_or_b32_sdwa v37, v3, s47 dst_sel:DWORD dst_unused:UNUSED_PAD src0_sel:BYTE_3 src1_sel:DWORD
                                        ; implicit-def: $vgpr3
; %bb.8977:                             ;   in Loop: Header=BB4_7680 Depth=3
	s_andn2_saveexec_b64 s[30:31], vcc
; %bb.8978:                             ;   in Loop: Header=BB4_7680 Depth=3
	v_cmp_lt_i32_e32 vcc, -1, v3
	v_bfrev_b32_e32 v1, 0.5
	v_cndmask_b32_e32 v37, v1, v52, vcc
; %bb.8979:                             ;   in Loop: Header=BB4_7680 Depth=3
	s_or_b64 exec, exec, s[30:31]
.LBB4_8980:                             ;   in Loop: Header=BB4_7680 Depth=3
	s_or_b64 exec, exec, s[28:29]
	v_cmp_lt_u32_e32 vcc, s57, v0
	v_mov_b32_e32 v2, 0
	v_mov_b32_e32 v3, 0
	s_and_saveexec_b64 s[28:29], vcc
	s_cbranch_execz .LBB4_8988
; %bb.8981:                             ;   in Loop: Header=BB4_7680 Depth=3
	v_lshrrev_b32_e32 v1, 24, v0
	v_cmp_ne_u32_e32 vcc, s96, v1
	v_bfrev_b32_e32 v3, 1
	s_and_saveexec_b64 s[30:31], vcc
	s_cbranch_execz .LBB4_8987
; %bb.8982:                             ;   in Loop: Header=BB4_7680 Depth=3
	v_and_b32_e32 v3, 0x7c000000, v0
	v_bfe_u32 v40, v0, 24, 2
	v_cmp_ne_u32_e32 vcc, s45, v3
                                        ; implicit-def: $vgpr3
	s_and_saveexec_b64 s[34:35], vcc
	s_xor_b64 s[34:35], exec, s[34:35]
	s_cbranch_execz .LBB4_8984
; %bb.8983:                             ;   in Loop: Header=BB4_7680 Depth=3
	v_ffbh_u32_e32 v6, v40
	v_min_u32_e32 v28, 32, v6
	v_subrev_u32_e32 v6, 29, v28
	v_bfe_u32 v3, v0, 26, 5
	v_lshlrev_b64 v[6:7], v6, v[1:2]
	v_sub_u32_e32 v1, 30, v28
	v_cmp_eq_u32_e32 vcc, 0, v3
	v_and_b32_e32 v6, 3, v6
	v_cndmask_b32_e32 v1, v3, v1, vcc
	v_and_b32_e32 v0, 0x80000000, v0
	v_cndmask_b32_e32 v3, v40, v6, vcc
	v_lshl_add_u32 v0, v1, 23, v0
	v_lshl_or_b32 v0, v3, 21, v0
	v_add_u32_e32 v3, 0x38000000, v0
                                        ; implicit-def: $vgpr40
                                        ; implicit-def: $vgpr0_vgpr1
.LBB4_8984:                             ;   in Loop: Header=BB4_7680 Depth=3
	s_andn2_saveexec_b64 s[34:35], s[34:35]
; %bb.8985:                             ;   in Loop: Header=BB4_7680 Depth=3
	v_cmp_lt_i32_e32 vcc, -1, v0
	v_mov_b32_e32 v0, 0xff800000
	v_mov_b32_e32 v1, 0x7f800000
	v_cndmask_b32_e32 v0, v0, v1, vcc
	v_cmp_eq_u32_e32 vcc, 0, v40
	v_mov_b32_e32 v1, 0x7f800001
	v_cndmask_b32_e32 v3, v1, v0, vcc
; %bb.8986:                             ;   in Loop: Header=BB4_7680 Depth=3
	s_or_b64 exec, exec, s[34:35]
.LBB4_8987:                             ;   in Loop: Header=BB4_7680 Depth=3
	s_or_b64 exec, exec, s[30:31]
.LBB4_8988:                             ;   in Loop: Header=BB4_7680 Depth=3
	s_or_b64 exec, exec, s[28:29]
	v_cmp_lt_u32_e32 vcc, s57, v14
	s_and_saveexec_b64 s[28:29], vcc
	s_cbranch_execz .LBB4_8996
; %bb.8989:                             ;   in Loop: Header=BB4_7680 Depth=3
	v_lshrrev_b32_e32 v0, 24, v14
	v_cmp_ne_u32_e32 vcc, s96, v0
	v_bfrev_b32_e32 v2, 1
	s_and_saveexec_b64 s[30:31], vcc
	s_cbranch_execz .LBB4_8995
; %bb.8990:                             ;   in Loop: Header=BB4_7680 Depth=3
	v_and_b32_e32 v2, 0x7c000000, v14
	v_bfe_u32 v1, v14, 24, 2
	v_cmp_ne_u32_e32 vcc, s45, v2
                                        ; implicit-def: $vgpr2
	s_and_saveexec_b64 s[34:35], vcc
	s_xor_b64 s[34:35], exec, s[34:35]
	s_cbranch_execz .LBB4_8992
; %bb.8991:                             ;   in Loop: Header=BB4_7680 Depth=3
	v_ffbh_u32_e32 v6, v1
	v_min_u32_e32 v28, 32, v6
	v_subrev_u32_e32 v6, 29, v28
	v_bfe_u32 v2, v14, 26, 5
	v_lshlrev_b64 v[6:7], v6, v[0:1]
	v_sub_u32_e32 v0, 30, v28
	v_cmp_eq_u32_e32 vcc, 0, v2
	v_and_b32_e32 v6, 3, v6
	v_cndmask_b32_e32 v0, v2, v0, vcc
	v_and_b32_e32 v2, 0x80000000, v14
	v_cndmask_b32_e32 v1, v1, v6, vcc
	v_lshl_add_u32 v0, v0, 23, v2
	v_lshl_or_b32 v0, v1, 21, v0
	v_add_u32_e32 v2, 0x38000000, v0
                                        ; implicit-def: $vgpr1
.LBB4_8992:                             ;   in Loop: Header=BB4_7680 Depth=3
	s_andn2_saveexec_b64 s[34:35], s[34:35]
; %bb.8993:                             ;   in Loop: Header=BB4_7680 Depth=3
	v_cmp_lt_i32_e32 vcc, -1, v14
	v_mov_b32_e32 v0, 0xff800000
	v_mov_b32_e32 v2, 0x7f800000
	v_cndmask_b32_e32 v0, v0, v2, vcc
	v_cmp_eq_u32_e32 vcc, 0, v1
	v_mov_b32_e32 v1, 0x7f800001
	v_cndmask_b32_e32 v2, v1, v0, vcc
; %bb.8994:                             ;   in Loop: Header=BB4_7680 Depth=3
	s_or_b64 exec, exec, s[34:35]
.LBB4_8995:                             ;   in Loop: Header=BB4_7680 Depth=3
	s_or_b64 exec, exec, s[30:31]
.LBB4_8996:                             ;   in Loop: Header=BB4_7680 Depth=3
	s_or_b64 exec, exec, s[28:29]
	v_add_f32_e32 v2, v3, v2
	v_and_b32_e32 v6, 0x7f800000, v2
	v_mov_b32_e32 v7, v17
	v_cmp_ne_u64_e32 vcc, s[76:77], v[6:7]
	v_and_b32_e32 v0, 0x7fffff, v2
	v_mov_b32_e32 v1, v17
                                        ; implicit-def: $vgpr40
	s_and_saveexec_b64 s[28:29], vcc
	s_xor_b64 s[30:31], exec, s[28:29]
	s_cbranch_execz .LBB4_9010
; %bb.8997:                             ;   in Loop: Header=BB4_7680 Depth=3
	v_and_b32_e32 v6, 0x7fffffff, v2
	v_mov_b32_e32 v7, v17
	v_cmp_gt_u64_e32 vcc, s[78:79], v[6:7]
	v_and_b32_sdwa v3, v2, s96 dst_sel:DWORD dst_unused:UNUSED_PAD src0_sel:BYTE_3 src1_sel:DWORD
                                        ; implicit-def: $vgpr40
	s_and_saveexec_b64 s[28:29], vcc
	s_xor_b64 s[34:35], exec, s[28:29]
	s_cbranch_execz .LBB4_9007
; %bb.8998:                             ;   in Loop: Header=BB4_7680 Depth=3
	v_mov_b32_e32 v40, 0
	v_cmp_ne_u32_e32 vcc, 0, v2
	s_and_saveexec_b64 s[36:37], vcc
	s_cbranch_execz .LBB4_9006
; %bb.8999:                             ;   in Loop: Header=BB4_7680 Depth=3
	v_bfe_u32 v40, v2, 23, 8
	v_cmp_gt_u32_e64 s[28:29], s46, v40
	v_sub_u32_e32 v2, 0x71, v40
	v_cmp_eq_u32_e32 vcc, 0, v40
	v_cndmask_b32_e64 v2, 0, v2, s[28:29]
	v_mov_b32_e32 v7, 0x70
	v_cndmask_b32_e32 v42, v2, v7, vcc
	v_or_b32_e32 v6, 0x800000, v0
	v_add_u32_e32 v2, 21, v42
	v_cndmask_b32_e32 v0, v6, v0, vcc
	v_lshlrev_b64 v[6:7], v2, -1
	v_add_u32_e32 v2, 20, v42
	v_bfi_b32 v6, v6, 0, v0
	v_lshlrev_b64 v[48:49], v2, 1
	v_lshrrev_b64 v[0:1], v42, v[0:1]
	v_bfi_b32 v7, v7, 0, 0
	v_cmp_eq_u64_e64 s[28:29], v[6:7], v[48:49]
	v_mov_b32_e32 v2, v1
	v_mov_b32_e32 v1, v0
	s_and_saveexec_b64 s[38:39], s[28:29]
; %bb.9000:                             ;   in Loop: Header=BB4_7680 Depth=3
	v_bfe_u32 v1, v0, 21, 1
	v_add_co_u32_e64 v1, s[28:29], v0, v1
	v_add_co_u32_e64 v1, s[28:29], -1, v1
; %bb.9001:                             ;   in Loop: Header=BB4_7680 Depth=3
	s_or_b64 exec, exec, s[38:39]
	v_add_u32_e32 v2, 0xffffff81, v40
	v_mov_b32_e32 v6, 0xffffff82
	v_cndmask_b32_e32 v2, v2, v6, vcc
	v_lshrrev_b32_e32 v6, 23, v0
	v_add3_u32 v42, v42, v2, v6
	v_add_u32_e32 v40, 14, v42
	v_and_b32_e32 v1, 0x1fffff, v1
	v_add_u32_e32 v0, v1, v0
	v_mov_b32_e32 v1, v17
	v_cmp_ne_u32_e32 vcc, 0, v40
                                        ; implicit-def: $vgpr2
	s_and_saveexec_b64 s[28:29], vcc
	s_xor_b64 s[28:29], exec, s[28:29]
; %bb.9002:                             ;   in Loop: Header=BB4_7680 Depth=3
	v_cmp_lt_u64_e32 vcc, s[88:89], v[0:1]
	v_add_u32_e32 v2, 15, v42
	v_cndmask_b32_e64 v6, 0, 1, vcc
	v_cndmask_b32_e32 v2, v40, v2, vcc
	v_lshrrev_b64 v[0:1], v6, v[0:1]
; %bb.9003:                             ;   in Loop: Header=BB4_7680 Depth=3
	s_andn2_saveexec_b64 s[28:29], s[28:29]
; %bb.9004:                             ;   in Loop: Header=BB4_7680 Depth=3
	v_bfe_u32 v2, v0, 23, 1
; %bb.9005:                             ;   in Loop: Header=BB4_7680 Depth=3
	s_or_b64 exec, exec, s[28:29]
	v_lshrrev_b64 v[0:1], 21, v[0:1]
	v_cmp_gt_i32_e32 vcc, 32, v2
	v_cndmask_b32_e32 v1, 0, v1, vcc
	v_cndmask_b32_e32 v0, 3, v0, vcc
	v_cmp_eq_u64_e64 s[28:29], 0, v[0:1]
	v_min_i32_e32 v1, 31, v2
	v_lshlrev_b32_e32 v1, 2, v1
	v_cmp_eq_u32_e32 vcc, 0, v2
	v_and_b32_e32 v1, 0xfc, v1
	v_and_or_b32 v0, v0, 3, v1
	s_and_b64 s[28:29], vcc, s[28:29]
	v_cndmask_b32_e64 v0, v0, 0, s[28:29]
	v_or_b32_e32 v40, v0, v3
.LBB4_9006:                             ;   in Loop: Header=BB4_7680 Depth=3
	s_or_b64 exec, exec, s[36:37]
                                        ; implicit-def: $vgpr3
.LBB4_9007:                             ;   in Loop: Header=BB4_7680 Depth=3
	s_andn2_saveexec_b64 s[28:29], s[34:35]
; %bb.9008:                             ;   in Loop: Header=BB4_7680 Depth=3
	v_or_b32_e32 v40, 0x7b, v3
; %bb.9009:                             ;   in Loop: Header=BB4_7680 Depth=3
	s_or_b64 exec, exec, s[28:29]
                                        ; implicit-def: $vgpr2
                                        ; implicit-def: $vgpr0_vgpr1
.LBB4_9010:                             ;   in Loop: Header=BB4_7680 Depth=3
	s_andn2_saveexec_b64 s[28:29], s[30:31]
	s_cbranch_execz .LBB4_9016
; %bb.9011:                             ;   in Loop: Header=BB4_7680 Depth=3
	v_cmp_ne_u64_e32 vcc, 0, v[0:1]
                                        ; implicit-def: $vgpr40
	s_and_saveexec_b64 s[30:31], vcc
	s_xor_b64 vcc, exec, s[30:31]
; %bb.9012:                             ;   in Loop: Header=BB4_7680 Depth=3
	v_or_b32_sdwa v40, v2, s47 dst_sel:DWORD dst_unused:UNUSED_PAD src0_sel:BYTE_3 src1_sel:DWORD
                                        ; implicit-def: $vgpr2
; %bb.9013:                             ;   in Loop: Header=BB4_7680 Depth=3
	s_andn2_saveexec_b64 s[30:31], vcc
; %bb.9014:                             ;   in Loop: Header=BB4_7680 Depth=3
	v_cmp_lt_i32_e32 vcc, -1, v2
	v_bfrev_b32_e32 v0, 0.5
	v_cndmask_b32_e32 v40, v0, v52, vcc
; %bb.9015:                             ;   in Loop: Header=BB4_7680 Depth=3
	s_or_b64 exec, exec, s[30:31]
.LBB4_9016:                             ;   in Loop: Header=BB4_7680 Depth=3
	s_or_b64 exec, exec, s[28:29]
	v_lshlrev_b32_e32 v0, 24, v59
	v_lshlrev_b32_e32 v1, 16, v54
	v_lshl_or_b32 v50, v50, 8, v32
	v_or3_b32 v0, v1, v0, v50
	v_mov_b32_e32 v1, v17
	v_cmp_ne_u32_e32 vcc, 0, v32
	v_mov_b32_e32 v2, 0
	v_mov_b32_e32 v3, 0
	s_and_saveexec_b64 s[30:31], vcc
	s_cbranch_execz .LBB4_9024
; %bb.9017:                             ;   in Loop: Header=BB4_7680 Depth=3
	v_cmp_ne_u32_e32 vcc, s96, v32
	v_bfrev_b32_e32 v3, 1
	s_and_saveexec_b64 s[34:35], vcc
	s_cbranch_execz .LBB4_9023
; %bb.9018:                             ;   in Loop: Header=BB4_7680 Depth=3
	v_and_b32_e32 v3, 0x7c, v32
	v_and_b32_e32 v54, 3, v32
	v_cmp_ne_u32_e32 vcc, s85, v3
                                        ; implicit-def: $vgpr3
	s_and_saveexec_b64 s[28:29], vcc
	s_xor_b64 s[28:29], exec, s[28:29]
	s_cbranch_execz .LBB4_9020
; %bb.9019:                             ;   in Loop: Header=BB4_7680 Depth=3
	v_ffbh_u32_e32 v6, v54
	v_min_u32_e32 v28, 32, v6
	v_subrev_u32_e32 v6, 29, v28
	v_lshlrev_b64 v[6:7], v6, v[0:1]
	v_bfe_u32 v3, v32, 2, 5
	v_sub_u32_e32 v1, 30, v28
	v_and_b32_e32 v6, 3, v6
	v_cmp_eq_u32_e32 vcc, 0, v3
	v_cndmask_b32_e32 v1, v3, v1, vcc
	v_cndmask_b32_e32 v3, v54, v6, vcc
	v_lshlrev_b32_e32 v6, 24, v32
	v_and_b32_e32 v6, 0x80000000, v6
	v_lshl_add_u32 v1, v1, 23, v6
	v_lshl_or_b32 v1, v3, 21, v1
	v_add_u32_e32 v3, 0x38000000, v1
                                        ; implicit-def: $vgpr54
                                        ; implicit-def: $vgpr32
.LBB4_9020:                             ;   in Loop: Header=BB4_7680 Depth=3
	s_andn2_saveexec_b64 s[36:37], s[28:29]
; %bb.9021:                             ;   in Loop: Header=BB4_7680 Depth=3
	v_and_b32_e32 v1, 0x80, v32
	v_cmp_eq_u32_e64 s[28:29], 0, v1
	v_mov_b32_e32 v1, 0xff800000
	v_mov_b32_e32 v3, 0x7f800000
	v_cmp_eq_u32_e32 vcc, 0, v54
	v_cndmask_b32_e64 v1, v1, v3, s[28:29]
	v_mov_b32_e32 v3, 0x7f800001
	v_cndmask_b32_e32 v3, v3, v1, vcc
; %bb.9022:                             ;   in Loop: Header=BB4_7680 Depth=3
	s_or_b64 exec, exec, s[36:37]
.LBB4_9023:                             ;   in Loop: Header=BB4_7680 Depth=3
	s_or_b64 exec, exec, s[34:35]
.LBB4_9024:                             ;   in Loop: Header=BB4_7680 Depth=3
	s_or_b64 exec, exec, s[30:31]
	v_cmp_ne_u16_sdwa vcc, v15, v17 src0_sel:BYTE_0 src1_sel:DWORD
	s_and_saveexec_b64 s[28:29], vcc
	s_cbranch_execz .LBB4_9032
; %bb.9025:                             ;   in Loop: Header=BB4_7680 Depth=3
	v_cmp_ne_u16_sdwa vcc, v15, s96 src0_sel:BYTE_0 src1_sel:DWORD
	v_bfrev_b32_e32 v2, 1
	s_and_saveexec_b64 s[30:31], vcc
	s_cbranch_execz .LBB4_9031
; %bb.9026:                             ;   in Loop: Header=BB4_7680 Depth=3
	v_and_b32_e32 v2, 0x7c, v15
	v_and_b32_e32 v1, 3, v15
	v_cmp_ne_u32_e32 vcc, s85, v2
                                        ; implicit-def: $vgpr2
	s_and_saveexec_b64 s[34:35], vcc
	s_xor_b64 s[34:35], exec, s[34:35]
	s_cbranch_execz .LBB4_9028
; %bb.9027:                             ;   in Loop: Header=BB4_7680 Depth=3
	v_ffbh_u32_e32 v28, v1
	v_min_u32_e32 v28, 32, v28
	v_mov_b32_e32 v6, v15
	v_mov_b32_e32 v7, v17
	;; [unrolled: 1-line block ×3, first 2 shown]
	v_subrev_u32_e32 v29, 29, v28
	v_lshlrev_b64 v[6:7], v29, v[6:7]
	v_bfe_u32 v2, v15, 2, 5
	v_and_b32_e32 v6, 3, v6
	v_cmp_eq_u32_e32 vcc, 0, v2
	v_sub_u32_e32 v7, 30, v28
	v_cndmask_b32_e32 v1, v1, v6, vcc
	v_lshlrev_b32_e32 v6, 24, v15
	v_cndmask_b32_e32 v2, v2, v7, vcc
	v_and_b32_e32 v6, 0x80000000, v6
	v_lshl_add_u32 v2, v2, 23, v6
	v_lshl_or_b32 v1, v1, 21, v2
	v_mov_b32_e32 v29, v32
	v_add_u32_e32 v2, 0x38000000, v1
                                        ; implicit-def: $vgpr1
.LBB4_9028:                             ;   in Loop: Header=BB4_7680 Depth=3
	s_andn2_saveexec_b64 s[34:35], s[34:35]
; %bb.9029:                             ;   in Loop: Header=BB4_7680 Depth=3
	v_mov_b32_e32 v2, -1
	v_cmp_gt_i16_sdwa vcc, sext(v15), v2 src0_sel:BYTE_0 src1_sel:DWORD
	v_mov_b32_e32 v2, 0xff800000
	v_mov_b32_e32 v6, 0x7f800000
	v_cndmask_b32_e32 v2, v2, v6, vcc
	v_cmp_eq_u32_e32 vcc, 0, v1
	v_mov_b32_e32 v1, 0x7f800001
	v_cndmask_b32_e32 v2, v1, v2, vcc
; %bb.9030:                             ;   in Loop: Header=BB4_7680 Depth=3
	s_or_b64 exec, exec, s[34:35]
.LBB4_9031:                             ;   in Loop: Header=BB4_7680 Depth=3
	s_or_b64 exec, exec, s[30:31]
.LBB4_9032:                             ;   in Loop: Header=BB4_7680 Depth=3
	s_or_b64 exec, exec, s[28:29]
	v_add_f32_e32 v3, v3, v2
	v_and_b32_e32 v6, 0x7f800000, v3
	v_mov_b32_e32 v7, v17
	v_cmp_ne_u64_e32 vcc, s[76:77], v[6:7]
	v_and_b32_e32 v1, 0x7fffff, v3
	v_mov_b32_e32 v2, v17
                                        ; implicit-def: $vgpr32
	s_and_saveexec_b64 s[28:29], vcc
	s_xor_b64 s[30:31], exec, s[28:29]
	s_cbranch_execz .LBB4_9046
; %bb.9033:                             ;   in Loop: Header=BB4_7680 Depth=3
	v_and_b32_e32 v6, 0x7fffffff, v3
	v_mov_b32_e32 v7, v17
	v_cmp_gt_u64_e32 vcc, s[78:79], v[6:7]
	v_and_b32_sdwa v54, v3, s96 dst_sel:DWORD dst_unused:UNUSED_PAD src0_sel:BYTE_3 src1_sel:DWORD
                                        ; implicit-def: $vgpr32
	s_and_saveexec_b64 s[28:29], vcc
	s_xor_b64 s[34:35], exec, s[28:29]
	s_cbranch_execz .LBB4_9043
; %bb.9034:                             ;   in Loop: Header=BB4_7680 Depth=3
	v_mov_b32_e32 v32, 0
	v_cmp_ne_u32_e32 vcc, 0, v3
	s_and_saveexec_b64 s[36:37], vcc
	s_cbranch_execz .LBB4_9042
; %bb.9035:                             ;   in Loop: Header=BB4_7680 Depth=3
	v_bfe_u32 v32, v3, 23, 8
	v_cmp_gt_u32_e64 s[28:29], s46, v32
	v_sub_u32_e32 v3, 0x71, v32
	v_cmp_eq_u32_e32 vcc, 0, v32
	v_cndmask_b32_e64 v3, 0, v3, s[28:29]
	v_mov_b32_e32 v7, 0x70
	v_cndmask_b32_e32 v42, v3, v7, vcc
	v_or_b32_e32 v6, 0x800000, v1
	v_add_u32_e32 v3, 21, v42
	v_cndmask_b32_e32 v1, v6, v1, vcc
	v_lshlrev_b64 v[6:7], v3, -1
	v_add_u32_e32 v3, 20, v42
	v_bfi_b32 v6, v6, 0, v1
	v_lshlrev_b64 v[48:49], v3, 1
	v_lshrrev_b64 v[1:2], v42, v[1:2]
	v_bfi_b32 v7, v7, 0, 0
	v_cmp_eq_u64_e64 s[28:29], v[6:7], v[48:49]
	v_mov_b32_e32 v3, v2
	v_mov_b32_e32 v2, v1
	s_and_saveexec_b64 s[38:39], s[28:29]
; %bb.9036:                             ;   in Loop: Header=BB4_7680 Depth=3
	v_bfe_u32 v2, v1, 21, 1
	v_add_co_u32_e64 v2, s[28:29], v1, v2
	v_add_co_u32_e64 v2, s[28:29], -1, v2
; %bb.9037:                             ;   in Loop: Header=BB4_7680 Depth=3
	s_or_b64 exec, exec, s[38:39]
	v_add_u32_e32 v3, 0xffffff81, v32
	v_mov_b32_e32 v6, 0xffffff82
	v_cndmask_b32_e32 v3, v3, v6, vcc
	v_lshrrev_b32_e32 v6, 23, v1
	v_add3_u32 v42, v42, v3, v6
	v_add_u32_e32 v32, 14, v42
	v_and_b32_e32 v2, 0x1fffff, v2
	v_add_u32_e32 v1, v2, v1
	v_mov_b32_e32 v2, v17
	v_cmp_ne_u32_e32 vcc, 0, v32
                                        ; implicit-def: $vgpr3
	s_and_saveexec_b64 s[28:29], vcc
	s_xor_b64 s[28:29], exec, s[28:29]
; %bb.9038:                             ;   in Loop: Header=BB4_7680 Depth=3
	v_cmp_lt_u64_e32 vcc, s[88:89], v[1:2]
	v_add_u32_e32 v3, 15, v42
	v_cndmask_b32_e64 v6, 0, 1, vcc
	v_cndmask_b32_e32 v3, v32, v3, vcc
	v_lshrrev_b64 v[1:2], v6, v[1:2]
; %bb.9039:                             ;   in Loop: Header=BB4_7680 Depth=3
	s_andn2_saveexec_b64 s[28:29], s[28:29]
; %bb.9040:                             ;   in Loop: Header=BB4_7680 Depth=3
	v_bfe_u32 v3, v1, 23, 1
; %bb.9041:                             ;   in Loop: Header=BB4_7680 Depth=3
	s_or_b64 exec, exec, s[28:29]
	v_lshrrev_b64 v[1:2], 21, v[1:2]
	v_cmp_gt_i32_e32 vcc, 32, v3
	v_cndmask_b32_e32 v2, 0, v2, vcc
	v_cndmask_b32_e32 v1, 3, v1, vcc
	v_cmp_eq_u64_e64 s[28:29], 0, v[1:2]
	v_min_i32_e32 v2, 31, v3
	v_lshlrev_b32_e32 v2, 2, v2
	v_cmp_eq_u32_e32 vcc, 0, v3
	v_and_b32_e32 v2, 0xfc, v2
	v_and_or_b32 v1, v1, 3, v2
	s_and_b64 s[28:29], vcc, s[28:29]
	v_cndmask_b32_e64 v1, v1, 0, s[28:29]
	v_or_b32_e32 v32, v1, v54
.LBB4_9042:                             ;   in Loop: Header=BB4_7680 Depth=3
	s_or_b64 exec, exec, s[36:37]
                                        ; implicit-def: $vgpr54
.LBB4_9043:                             ;   in Loop: Header=BB4_7680 Depth=3
	s_andn2_saveexec_b64 s[28:29], s[34:35]
; %bb.9044:                             ;   in Loop: Header=BB4_7680 Depth=3
	v_or_b32_e32 v32, 0x7b, v54
; %bb.9045:                             ;   in Loop: Header=BB4_7680 Depth=3
	s_or_b64 exec, exec, s[28:29]
                                        ; implicit-def: $vgpr3
                                        ; implicit-def: $vgpr1_vgpr2
.LBB4_9046:                             ;   in Loop: Header=BB4_7680 Depth=3
	s_andn2_saveexec_b64 s[28:29], s[30:31]
	s_cbranch_execz .LBB4_9052
; %bb.9047:                             ;   in Loop: Header=BB4_7680 Depth=3
	v_cmp_ne_u64_e32 vcc, 0, v[1:2]
                                        ; implicit-def: $vgpr32
	s_and_saveexec_b64 s[30:31], vcc
	s_xor_b64 vcc, exec, s[30:31]
; %bb.9048:                             ;   in Loop: Header=BB4_7680 Depth=3
	v_or_b32_sdwa v32, v3, s47 dst_sel:DWORD dst_unused:UNUSED_PAD src0_sel:BYTE_3 src1_sel:DWORD
                                        ; implicit-def: $vgpr3
; %bb.9049:                             ;   in Loop: Header=BB4_7680 Depth=3
	s_andn2_saveexec_b64 s[30:31], vcc
; %bb.9050:                             ;   in Loop: Header=BB4_7680 Depth=3
	v_cmp_lt_i32_e32 vcc, -1, v3
	v_bfrev_b32_e32 v1, 0.5
	v_cndmask_b32_e32 v32, v1, v52, vcc
; %bb.9051:                             ;   in Loop: Header=BB4_7680 Depth=3
	s_or_b64 exec, exec, s[30:31]
.LBB4_9052:                             ;   in Loop: Header=BB4_7680 Depth=3
	s_or_b64 exec, exec, s[28:29]
	v_lshrrev_b16_e32 v1, 8, v50
	v_cmp_ne_u16_e32 vcc, 0, v1
	v_mov_b32_e32 v3, 0
	v_mov_b32_e32 v54, 0
	s_and_saveexec_b64 s[28:29], vcc
	s_cbranch_execz .LBB4_9060
; %bb.9053:                             ;   in Loop: Header=BB4_7680 Depth=3
	v_cmp_ne_u16_e32 vcc, s96, v1
	v_bfrev_b32_e32 v54, 1
	s_and_saveexec_b64 s[30:31], vcc
	s_cbranch_execz .LBB4_9059
; %bb.9054:                             ;   in Loop: Header=BB4_7680 Depth=3
	v_and_b32_e32 v2, 0x7c, v1
	v_and_b32_e32 v42, 3, v1
	v_cmp_ne_u32_e32 vcc, s85, v2
                                        ; implicit-def: $vgpr54
	s_and_saveexec_b64 s[34:35], vcc
	s_xor_b64 s[34:35], exec, s[34:35]
	s_cbranch_execz .LBB4_9056
; %bb.9055:                             ;   in Loop: Header=BB4_7680 Depth=3
	v_ffbh_u32_e32 v7, v42
	v_min_u32_e32 v7, 32, v7
	v_mov_b32_e32 v2, v17
	v_subrev_u32_e32 v28, 29, v7
	v_bfe_u32 v6, v1, 2, 5
	v_lshlrev_b64 v[1:2], v28, v[1:2]
	v_sub_u32_e32 v2, 30, v7
	v_cmp_eq_u32_e32 vcc, 0, v6
	v_cndmask_b32_e32 v2, v6, v2, vcc
	v_lshlrev_b32_e32 v6, 16, v50
	v_and_b32_e32 v1, 3, v1
	v_and_b32_e32 v6, 0x80000000, v6
	v_cndmask_b32_e32 v1, v42, v1, vcc
	v_lshl_add_u32 v2, v2, 23, v6
	v_lshl_or_b32 v1, v1, 21, v2
	v_add_u32_e32 v54, 0x38000000, v1
                                        ; implicit-def: $vgpr42
                                        ; implicit-def: $vgpr50
.LBB4_9056:                             ;   in Loop: Header=BB4_7680 Depth=3
	s_andn2_saveexec_b64 s[34:35], s[34:35]
; %bb.9057:                             ;   in Loop: Header=BB4_7680 Depth=3
	v_cmp_lt_i16_e32 vcc, -1, v50
	v_mov_b32_e32 v1, 0xff800000
	v_mov_b32_e32 v2, 0x7f800000
	v_cndmask_b32_e32 v1, v1, v2, vcc
	v_cmp_eq_u32_e32 vcc, 0, v42
	v_mov_b32_e32 v2, 0x7f800001
	v_cndmask_b32_e32 v54, v2, v1, vcc
; %bb.9058:                             ;   in Loop: Header=BB4_7680 Depth=3
	s_or_b64 exec, exec, s[34:35]
.LBB4_9059:                             ;   in Loop: Header=BB4_7680 Depth=3
	s_or_b64 exec, exec, s[30:31]
.LBB4_9060:                             ;   in Loop: Header=BB4_7680 Depth=3
	s_or_b64 exec, exec, s[28:29]
	v_lshrrev_b16_e32 v1, 8, v15
	v_cmp_ne_u16_e32 vcc, 0, v1
	s_and_saveexec_b64 s[28:29], vcc
	s_cbranch_execz .LBB4_9068
; %bb.9061:                             ;   in Loop: Header=BB4_7680 Depth=3
	v_cmp_ne_u16_e32 vcc, s96, v1
	v_bfrev_b32_e32 v3, 1
	s_and_saveexec_b64 s[30:31], vcc
	s_cbranch_execz .LBB4_9067
; %bb.9062:                             ;   in Loop: Header=BB4_7680 Depth=3
	v_and_b32_e32 v2, 0x7c, v1
	v_and_b32_e32 v50, 3, v1
	v_cmp_ne_u32_e32 vcc, s85, v2
                                        ; implicit-def: $vgpr3
	s_and_saveexec_b64 s[34:35], vcc
	s_xor_b64 s[34:35], exec, s[34:35]
	s_cbranch_execz .LBB4_9064
; %bb.9063:                             ;   in Loop: Header=BB4_7680 Depth=3
	v_ffbh_u32_e32 v6, v50
	v_min_u32_e32 v6, 32, v6
	v_mov_b32_e32 v2, v17
	v_subrev_u32_e32 v7, 29, v6
	v_bfe_u32 v3, v1, 2, 5
	v_lshlrev_b64 v[1:2], v7, v[1:2]
	v_sub_u32_e32 v2, 30, v6
	v_cmp_eq_u32_e32 vcc, 0, v3
	v_cndmask_b32_e32 v2, v3, v2, vcc
	v_lshlrev_b32_e32 v3, 16, v15
	v_and_b32_e32 v1, 3, v1
	v_and_b32_e32 v3, 0x80000000, v3
	v_cndmask_b32_e32 v1, v50, v1, vcc
	v_lshl_add_u32 v2, v2, 23, v3
	v_lshl_or_b32 v1, v1, 21, v2
	v_add_u32_e32 v3, 0x38000000, v1
                                        ; implicit-def: $vgpr50
.LBB4_9064:                             ;   in Loop: Header=BB4_7680 Depth=3
	s_andn2_saveexec_b64 s[34:35], s[34:35]
; %bb.9065:                             ;   in Loop: Header=BB4_7680 Depth=3
	v_cmp_lt_i16_e32 vcc, -1, v15
	v_mov_b32_e32 v1, 0xff800000
	v_mov_b32_e32 v2, 0x7f800000
	v_cndmask_b32_e32 v1, v1, v2, vcc
	v_cmp_eq_u32_e32 vcc, 0, v50
	v_mov_b32_e32 v2, 0x7f800001
	v_cndmask_b32_e32 v3, v2, v1, vcc
; %bb.9066:                             ;   in Loop: Header=BB4_7680 Depth=3
	s_or_b64 exec, exec, s[34:35]
.LBB4_9067:                             ;   in Loop: Header=BB4_7680 Depth=3
	s_or_b64 exec, exec, s[30:31]
.LBB4_9068:                             ;   in Loop: Header=BB4_7680 Depth=3
	s_or_b64 exec, exec, s[28:29]
	v_add_f32_e32 v3, v54, v3
	v_and_b32_e32 v6, 0x7f800000, v3
	v_mov_b32_e32 v7, v17
	v_cmp_ne_u64_e32 vcc, s[76:77], v[6:7]
	v_and_b32_e32 v1, 0x7fffff, v3
	v_mov_b32_e32 v2, v17
                                        ; implicit-def: $vgpr50
	s_and_saveexec_b64 s[28:29], vcc
	s_xor_b64 s[30:31], exec, s[28:29]
	s_cbranch_execz .LBB4_9082
; %bb.9069:                             ;   in Loop: Header=BB4_7680 Depth=3
	v_and_b32_e32 v6, 0x7fffffff, v3
	v_mov_b32_e32 v7, v17
	v_cmp_gt_u64_e32 vcc, s[78:79], v[6:7]
	v_and_b32_sdwa v54, v3, s96 dst_sel:DWORD dst_unused:UNUSED_PAD src0_sel:BYTE_3 src1_sel:DWORD
                                        ; implicit-def: $vgpr50
	s_and_saveexec_b64 s[28:29], vcc
	s_xor_b64 s[34:35], exec, s[28:29]
	s_cbranch_execz .LBB4_9079
; %bb.9070:                             ;   in Loop: Header=BB4_7680 Depth=3
	v_mov_b32_e32 v50, 0
	v_cmp_ne_u32_e32 vcc, 0, v3
	s_and_saveexec_b64 s[36:37], vcc
	s_cbranch_execz .LBB4_9078
; %bb.9071:                             ;   in Loop: Header=BB4_7680 Depth=3
	v_bfe_u32 v50, v3, 23, 8
	v_cmp_gt_u32_e64 s[28:29], s46, v50
	v_sub_u32_e32 v3, 0x71, v50
	v_cmp_eq_u32_e32 vcc, 0, v50
	v_cndmask_b32_e64 v3, 0, v3, s[28:29]
	v_mov_b32_e32 v7, 0x70
	v_cndmask_b32_e32 v42, v3, v7, vcc
	v_or_b32_e32 v6, 0x800000, v1
	v_add_u32_e32 v3, 21, v42
	v_cndmask_b32_e32 v1, v6, v1, vcc
	v_lshlrev_b64 v[6:7], v3, -1
	v_add_u32_e32 v3, 20, v42
	v_bfi_b32 v6, v6, 0, v1
	v_lshlrev_b64 v[48:49], v3, 1
	v_lshrrev_b64 v[1:2], v42, v[1:2]
	v_bfi_b32 v7, v7, 0, 0
	v_cmp_eq_u64_e64 s[28:29], v[6:7], v[48:49]
	v_mov_b32_e32 v3, v2
	v_mov_b32_e32 v2, v1
	s_and_saveexec_b64 s[38:39], s[28:29]
; %bb.9072:                             ;   in Loop: Header=BB4_7680 Depth=3
	v_bfe_u32 v2, v1, 21, 1
	v_add_co_u32_e64 v2, s[28:29], v1, v2
	v_add_co_u32_e64 v2, s[28:29], -1, v2
; %bb.9073:                             ;   in Loop: Header=BB4_7680 Depth=3
	s_or_b64 exec, exec, s[38:39]
	v_add_u32_e32 v3, 0xffffff81, v50
	v_mov_b32_e32 v6, 0xffffff82
	v_cndmask_b32_e32 v3, v3, v6, vcc
	v_lshrrev_b32_e32 v6, 23, v1
	v_add3_u32 v42, v42, v3, v6
	v_add_u32_e32 v50, 14, v42
	v_and_b32_e32 v2, 0x1fffff, v2
	v_add_u32_e32 v1, v2, v1
	v_mov_b32_e32 v2, v17
	v_cmp_ne_u32_e32 vcc, 0, v50
                                        ; implicit-def: $vgpr3
	s_and_saveexec_b64 s[28:29], vcc
	s_xor_b64 s[28:29], exec, s[28:29]
; %bb.9074:                             ;   in Loop: Header=BB4_7680 Depth=3
	v_cmp_lt_u64_e32 vcc, s[88:89], v[1:2]
	v_add_u32_e32 v3, 15, v42
	v_cndmask_b32_e64 v6, 0, 1, vcc
	v_cndmask_b32_e32 v3, v50, v3, vcc
	v_lshrrev_b64 v[1:2], v6, v[1:2]
; %bb.9075:                             ;   in Loop: Header=BB4_7680 Depth=3
	s_andn2_saveexec_b64 s[28:29], s[28:29]
; %bb.9076:                             ;   in Loop: Header=BB4_7680 Depth=3
	v_bfe_u32 v3, v1, 23, 1
; %bb.9077:                             ;   in Loop: Header=BB4_7680 Depth=3
	s_or_b64 exec, exec, s[28:29]
	v_lshrrev_b64 v[1:2], 21, v[1:2]
	v_cmp_gt_i32_e32 vcc, 32, v3
	v_cndmask_b32_e32 v2, 0, v2, vcc
	v_cndmask_b32_e32 v1, 3, v1, vcc
	v_cmp_eq_u64_e64 s[28:29], 0, v[1:2]
	v_min_i32_e32 v2, 31, v3
	v_lshlrev_b32_e32 v2, 2, v2
	v_cmp_eq_u32_e32 vcc, 0, v3
	v_and_b32_e32 v2, 0xfc, v2
	v_and_or_b32 v1, v1, 3, v2
	s_and_b64 s[28:29], vcc, s[28:29]
	v_cndmask_b32_e64 v1, v1, 0, s[28:29]
	v_or_b32_e32 v50, v1, v54
.LBB4_9078:                             ;   in Loop: Header=BB4_7680 Depth=3
	s_or_b64 exec, exec, s[36:37]
                                        ; implicit-def: $vgpr54
.LBB4_9079:                             ;   in Loop: Header=BB4_7680 Depth=3
	s_andn2_saveexec_b64 s[28:29], s[34:35]
; %bb.9080:                             ;   in Loop: Header=BB4_7680 Depth=3
	v_or_b32_e32 v50, 0x7b, v54
; %bb.9081:                             ;   in Loop: Header=BB4_7680 Depth=3
	s_or_b64 exec, exec, s[28:29]
                                        ; implicit-def: $vgpr3
                                        ; implicit-def: $vgpr1_vgpr2
.LBB4_9082:                             ;   in Loop: Header=BB4_7680 Depth=3
	s_andn2_saveexec_b64 s[28:29], s[30:31]
	s_cbranch_execz .LBB4_9088
; %bb.9083:                             ;   in Loop: Header=BB4_7680 Depth=3
	v_cmp_ne_u64_e32 vcc, 0, v[1:2]
                                        ; implicit-def: $vgpr50
	s_and_saveexec_b64 s[30:31], vcc
	s_xor_b64 vcc, exec, s[30:31]
; %bb.9084:                             ;   in Loop: Header=BB4_7680 Depth=3
	v_or_b32_sdwa v50, v3, s47 dst_sel:DWORD dst_unused:UNUSED_PAD src0_sel:BYTE_3 src1_sel:DWORD
                                        ; implicit-def: $vgpr3
; %bb.9085:                             ;   in Loop: Header=BB4_7680 Depth=3
	s_andn2_saveexec_b64 s[30:31], vcc
; %bb.9086:                             ;   in Loop: Header=BB4_7680 Depth=3
	v_cmp_lt_i32_e32 vcc, -1, v3
	v_bfrev_b32_e32 v1, 0.5
	v_cndmask_b32_e32 v50, v1, v52, vcc
; %bb.9087:                             ;   in Loop: Header=BB4_7680 Depth=3
	s_or_b64 exec, exec, s[30:31]
.LBB4_9088:                             ;   in Loop: Header=BB4_7680 Depth=3
	s_or_b64 exec, exec, s[28:29]
	v_and_b32_sdwa v54, v0, s87 dst_sel:DWORD dst_unused:UNUSED_PAD src0_sel:WORD_1 src1_sel:DWORD
	v_lshrrev_b32_e32 v1, 16, v0
	v_cmp_ne_u16_e32 vcc, 0, v54
	v_mov_b32_e32 v2, 0
	v_mov_b32_e32 v3, 0
	s_and_saveexec_b64 s[28:29], vcc
	s_cbranch_execz .LBB4_9096
; %bb.9089:                             ;   in Loop: Header=BB4_7680 Depth=3
	v_cmp_ne_u16_e32 vcc, s96, v54
	v_bfrev_b32_e32 v3, 1
	s_and_saveexec_b64 s[30:31], vcc
	s_cbranch_execz .LBB4_9095
; %bb.9090:                             ;   in Loop: Header=BB4_7680 Depth=3
	v_and_b32_e32 v3, 0x7c0000, v0
	v_bfe_u32 v54, v0, 16, 2
	v_cmp_ne_u32_e32 vcc, s44, v3
                                        ; implicit-def: $vgpr3
	s_and_saveexec_b64 s[34:35], vcc
	s_xor_b64 s[34:35], exec, s[34:35]
	s_cbranch_execz .LBB4_9092
; %bb.9091:                             ;   in Loop: Header=BB4_7680 Depth=3
	v_ffbh_u32_e32 v6, v54
	v_min_u32_e32 v28, 32, v6
	v_subrev_u32_e32 v6, 29, v28
	v_lshlrev_b64 v[6:7], v6, v[1:2]
	v_bfe_u32 v3, v0, 18, 5
	v_sub_u32_e32 v1, 30, v28
	v_and_b32_e32 v6, 3, v6
	v_cmp_eq_u32_e32 vcc, 0, v3
	v_cndmask_b32_e32 v1, v3, v1, vcc
	v_cndmask_b32_e32 v3, v54, v6, vcc
	v_lshlrev_b32_e32 v6, 8, v0
	v_and_b32_e32 v6, 0x80000000, v6
	v_lshl_add_u32 v1, v1, 23, v6
	v_lshl_or_b32 v1, v3, 21, v1
	v_add_u32_e32 v3, 0x38000000, v1
                                        ; implicit-def: $vgpr54
                                        ; implicit-def: $vgpr1
.LBB4_9092:                             ;   in Loop: Header=BB4_7680 Depth=3
	s_andn2_saveexec_b64 s[34:35], s[34:35]
; %bb.9093:                             ;   in Loop: Header=BB4_7680 Depth=3
	v_mov_b32_e32 v3, -1
	v_cmp_gt_i16_sdwa vcc, sext(v1), v3 src0_sel:BYTE_0 src1_sel:DWORD
	v_mov_b32_e32 v1, 0xff800000
	v_mov_b32_e32 v3, 0x7f800000
	v_cndmask_b32_e32 v1, v1, v3, vcc
	v_cmp_eq_u32_e32 vcc, 0, v54
	v_mov_b32_e32 v3, 0x7f800001
	v_cndmask_b32_e32 v3, v3, v1, vcc
; %bb.9094:                             ;   in Loop: Header=BB4_7680 Depth=3
	s_or_b64 exec, exec, s[34:35]
.LBB4_9095:                             ;   in Loop: Header=BB4_7680 Depth=3
	s_or_b64 exec, exec, s[30:31]
.LBB4_9096:                             ;   in Loop: Header=BB4_7680 Depth=3
	s_or_b64 exec, exec, s[28:29]
	v_lshrrev_b32_e32 v1, 16, v15
	v_cmp_ne_u16_sdwa vcc, v1, v17 src0_sel:BYTE_0 src1_sel:DWORD
	s_and_saveexec_b64 s[28:29], vcc
	s_cbranch_execz .LBB4_9104
; %bb.9097:                             ;   in Loop: Header=BB4_7680 Depth=3
	v_cmp_ne_u16_sdwa vcc, v1, s96 src0_sel:BYTE_0 src1_sel:DWORD
	v_bfrev_b32_e32 v2, 1
	s_and_saveexec_b64 s[30:31], vcc
	s_cbranch_execz .LBB4_9103
; %bb.9098:                             ;   in Loop: Header=BB4_7680 Depth=3
	v_and_b32_e32 v2, 0x7c0000, v15
	v_bfe_u32 v54, v15, 16, 2
	v_cmp_ne_u32_e32 vcc, s44, v2
                                        ; implicit-def: $vgpr2
	s_and_saveexec_b64 s[34:35], vcc
	s_xor_b64 s[34:35], exec, s[34:35]
	s_cbranch_execz .LBB4_9100
; %bb.9099:                             ;   in Loop: Header=BB4_7680 Depth=3
	v_ffbh_u32_e32 v2, v54
	v_min_u32_e32 v7, 32, v2
	v_subrev_u32_e32 v2, 29, v7
	v_bfe_u32 v6, v15, 18, 5
	v_lshlrev_b64 v[1:2], v2, v[1:2]
	v_sub_u32_e32 v2, 30, v7
	v_cmp_eq_u32_e32 vcc, 0, v6
	v_cndmask_b32_e32 v2, v6, v2, vcc
	v_lshlrev_b32_e32 v6, 8, v15
	v_and_b32_e32 v1, 3, v1
	v_and_b32_e32 v6, 0x80000000, v6
	v_cndmask_b32_e32 v1, v54, v1, vcc
	v_lshl_add_u32 v2, v2, 23, v6
	v_lshl_or_b32 v1, v1, 21, v2
	v_add_u32_e32 v2, 0x38000000, v1
                                        ; implicit-def: $vgpr54
                                        ; implicit-def: $vgpr1
.LBB4_9100:                             ;   in Loop: Header=BB4_7680 Depth=3
	s_andn2_saveexec_b64 s[34:35], s[34:35]
; %bb.9101:                             ;   in Loop: Header=BB4_7680 Depth=3
	v_mov_b32_e32 v2, -1
	v_cmp_gt_i16_sdwa vcc, sext(v1), v2 src0_sel:BYTE_0 src1_sel:DWORD
	v_mov_b32_e32 v1, 0xff800000
	v_mov_b32_e32 v2, 0x7f800000
	v_cndmask_b32_e32 v1, v1, v2, vcc
	v_cmp_eq_u32_e32 vcc, 0, v54
	v_mov_b32_e32 v2, 0x7f800001
	v_cndmask_b32_e32 v2, v2, v1, vcc
; %bb.9102:                             ;   in Loop: Header=BB4_7680 Depth=3
	s_or_b64 exec, exec, s[34:35]
.LBB4_9103:                             ;   in Loop: Header=BB4_7680 Depth=3
	s_or_b64 exec, exec, s[30:31]
.LBB4_9104:                             ;   in Loop: Header=BB4_7680 Depth=3
	s_or_b64 exec, exec, s[28:29]
	v_add_f32_e32 v3, v3, v2
	v_and_b32_e32 v6, 0x7f800000, v3
	v_mov_b32_e32 v7, v17
	v_cmp_ne_u64_e32 vcc, s[76:77], v[6:7]
	v_and_b32_e32 v1, 0x7fffff, v3
	v_mov_b32_e32 v2, v17
                                        ; implicit-def: $vgpr54
	s_and_saveexec_b64 s[28:29], vcc
	s_xor_b64 s[30:31], exec, s[28:29]
	s_cbranch_execz .LBB4_9118
; %bb.9105:                             ;   in Loop: Header=BB4_7680 Depth=3
	v_and_b32_e32 v6, 0x7fffffff, v3
	v_mov_b32_e32 v7, v17
	v_cmp_gt_u64_e32 vcc, s[78:79], v[6:7]
	v_and_b32_sdwa v59, v3, s96 dst_sel:DWORD dst_unused:UNUSED_PAD src0_sel:BYTE_3 src1_sel:DWORD
                                        ; implicit-def: $vgpr54
	s_and_saveexec_b64 s[28:29], vcc
	s_xor_b64 s[34:35], exec, s[28:29]
	s_cbranch_execz .LBB4_9115
; %bb.9106:                             ;   in Loop: Header=BB4_7680 Depth=3
	v_mov_b32_e32 v54, 0
	v_cmp_ne_u32_e32 vcc, 0, v3
	s_and_saveexec_b64 s[36:37], vcc
	s_cbranch_execz .LBB4_9114
; %bb.9107:                             ;   in Loop: Header=BB4_7680 Depth=3
	v_bfe_u32 v54, v3, 23, 8
	v_cmp_gt_u32_e64 s[28:29], s46, v54
	v_sub_u32_e32 v3, 0x71, v54
	v_cmp_eq_u32_e32 vcc, 0, v54
	v_cndmask_b32_e64 v3, 0, v3, s[28:29]
	v_mov_b32_e32 v7, 0x70
	v_cndmask_b32_e32 v42, v3, v7, vcc
	v_or_b32_e32 v6, 0x800000, v1
	v_add_u32_e32 v3, 21, v42
	v_cndmask_b32_e32 v1, v6, v1, vcc
	v_lshlrev_b64 v[6:7], v3, -1
	v_add_u32_e32 v3, 20, v42
	v_bfi_b32 v6, v6, 0, v1
	v_lshlrev_b64 v[48:49], v3, 1
	v_lshrrev_b64 v[1:2], v42, v[1:2]
	v_bfi_b32 v7, v7, 0, 0
	v_cmp_eq_u64_e64 s[28:29], v[6:7], v[48:49]
	v_mov_b32_e32 v3, v2
	v_mov_b32_e32 v2, v1
	s_and_saveexec_b64 s[38:39], s[28:29]
; %bb.9108:                             ;   in Loop: Header=BB4_7680 Depth=3
	v_bfe_u32 v2, v1, 21, 1
	v_add_co_u32_e64 v2, s[28:29], v1, v2
	v_add_co_u32_e64 v2, s[28:29], -1, v2
; %bb.9109:                             ;   in Loop: Header=BB4_7680 Depth=3
	s_or_b64 exec, exec, s[38:39]
	v_add_u32_e32 v3, 0xffffff81, v54
	v_mov_b32_e32 v6, 0xffffff82
	v_cndmask_b32_e32 v3, v3, v6, vcc
	v_lshrrev_b32_e32 v6, 23, v1
	v_add3_u32 v42, v42, v3, v6
	v_add_u32_e32 v54, 14, v42
	v_and_b32_e32 v2, 0x1fffff, v2
	v_add_u32_e32 v1, v2, v1
	v_mov_b32_e32 v2, v17
	v_cmp_ne_u32_e32 vcc, 0, v54
                                        ; implicit-def: $vgpr3
	s_and_saveexec_b64 s[28:29], vcc
	s_xor_b64 s[28:29], exec, s[28:29]
; %bb.9110:                             ;   in Loop: Header=BB4_7680 Depth=3
	v_cmp_lt_u64_e32 vcc, s[88:89], v[1:2]
	v_add_u32_e32 v3, 15, v42
	v_cndmask_b32_e64 v6, 0, 1, vcc
	v_cndmask_b32_e32 v3, v54, v3, vcc
	v_lshrrev_b64 v[1:2], v6, v[1:2]
; %bb.9111:                             ;   in Loop: Header=BB4_7680 Depth=3
	s_andn2_saveexec_b64 s[28:29], s[28:29]
; %bb.9112:                             ;   in Loop: Header=BB4_7680 Depth=3
	v_bfe_u32 v3, v1, 23, 1
; %bb.9113:                             ;   in Loop: Header=BB4_7680 Depth=3
	s_or_b64 exec, exec, s[28:29]
	v_lshrrev_b64 v[1:2], 21, v[1:2]
	v_cmp_gt_i32_e32 vcc, 32, v3
	v_cndmask_b32_e32 v2, 0, v2, vcc
	v_cndmask_b32_e32 v1, 3, v1, vcc
	v_cmp_eq_u64_e64 s[28:29], 0, v[1:2]
	v_min_i32_e32 v2, 31, v3
	v_lshlrev_b32_e32 v2, 2, v2
	v_cmp_eq_u32_e32 vcc, 0, v3
	v_and_b32_e32 v2, 0xfc, v2
	v_and_or_b32 v1, v1, 3, v2
	s_and_b64 s[28:29], vcc, s[28:29]
	v_cndmask_b32_e64 v1, v1, 0, s[28:29]
	v_or_b32_e32 v54, v1, v59
.LBB4_9114:                             ;   in Loop: Header=BB4_7680 Depth=3
	s_or_b64 exec, exec, s[36:37]
                                        ; implicit-def: $vgpr59
.LBB4_9115:                             ;   in Loop: Header=BB4_7680 Depth=3
	s_andn2_saveexec_b64 s[28:29], s[34:35]
; %bb.9116:                             ;   in Loop: Header=BB4_7680 Depth=3
	v_or_b32_e32 v54, 0x7b, v59
; %bb.9117:                             ;   in Loop: Header=BB4_7680 Depth=3
	s_or_b64 exec, exec, s[28:29]
                                        ; implicit-def: $vgpr3
                                        ; implicit-def: $vgpr1_vgpr2
.LBB4_9118:                             ;   in Loop: Header=BB4_7680 Depth=3
	s_andn2_saveexec_b64 s[28:29], s[30:31]
	s_cbranch_execz .LBB4_9124
; %bb.9119:                             ;   in Loop: Header=BB4_7680 Depth=3
	v_cmp_ne_u64_e32 vcc, 0, v[1:2]
                                        ; implicit-def: $vgpr54
	s_and_saveexec_b64 s[30:31], vcc
	s_xor_b64 vcc, exec, s[30:31]
; %bb.9120:                             ;   in Loop: Header=BB4_7680 Depth=3
	v_or_b32_sdwa v54, v3, s47 dst_sel:DWORD dst_unused:UNUSED_PAD src0_sel:BYTE_3 src1_sel:DWORD
                                        ; implicit-def: $vgpr3
; %bb.9121:                             ;   in Loop: Header=BB4_7680 Depth=3
	s_andn2_saveexec_b64 s[30:31], vcc
; %bb.9122:                             ;   in Loop: Header=BB4_7680 Depth=3
	v_cmp_lt_i32_e32 vcc, -1, v3
	v_bfrev_b32_e32 v1, 0.5
	v_cndmask_b32_e32 v54, v1, v52, vcc
; %bb.9123:                             ;   in Loop: Header=BB4_7680 Depth=3
	s_or_b64 exec, exec, s[30:31]
.LBB4_9124:                             ;   in Loop: Header=BB4_7680 Depth=3
	s_or_b64 exec, exec, s[28:29]
	v_cmp_lt_u32_e32 vcc, s57, v0
	v_mov_b32_e32 v2, 0
	v_mov_b32_e32 v3, 0
	s_and_saveexec_b64 s[28:29], vcc
	s_cbranch_execz .LBB4_9132
; %bb.9125:                             ;   in Loop: Header=BB4_7680 Depth=3
	v_lshrrev_b32_e32 v1, 24, v0
	v_cmp_ne_u32_e32 vcc, s96, v1
	v_bfrev_b32_e32 v3, 1
	s_and_saveexec_b64 s[30:31], vcc
	s_cbranch_execz .LBB4_9131
; %bb.9126:                             ;   in Loop: Header=BB4_7680 Depth=3
	v_and_b32_e32 v3, 0x7c000000, v0
	v_bfe_u32 v42, v0, 24, 2
	v_cmp_ne_u32_e32 vcc, s45, v3
                                        ; implicit-def: $vgpr3
	s_and_saveexec_b64 s[34:35], vcc
	s_xor_b64 s[34:35], exec, s[34:35]
	s_cbranch_execz .LBB4_9128
; %bb.9127:                             ;   in Loop: Header=BB4_7680 Depth=3
	v_ffbh_u32_e32 v6, v42
	v_min_u32_e32 v28, 32, v6
	v_subrev_u32_e32 v6, 29, v28
	v_bfe_u32 v3, v0, 26, 5
	v_lshlrev_b64 v[6:7], v6, v[1:2]
	v_sub_u32_e32 v1, 30, v28
	v_cmp_eq_u32_e32 vcc, 0, v3
	v_and_b32_e32 v6, 3, v6
	v_cndmask_b32_e32 v1, v3, v1, vcc
	v_and_b32_e32 v0, 0x80000000, v0
	v_cndmask_b32_e32 v3, v42, v6, vcc
	v_lshl_add_u32 v0, v1, 23, v0
	v_lshl_or_b32 v0, v3, 21, v0
	v_add_u32_e32 v3, 0x38000000, v0
                                        ; implicit-def: $vgpr42
                                        ; implicit-def: $vgpr0_vgpr1
.LBB4_9128:                             ;   in Loop: Header=BB4_7680 Depth=3
	s_andn2_saveexec_b64 s[34:35], s[34:35]
; %bb.9129:                             ;   in Loop: Header=BB4_7680 Depth=3
	v_cmp_lt_i32_e32 vcc, -1, v0
	v_mov_b32_e32 v0, 0xff800000
	v_mov_b32_e32 v1, 0x7f800000
	v_cndmask_b32_e32 v0, v0, v1, vcc
	v_cmp_eq_u32_e32 vcc, 0, v42
	v_mov_b32_e32 v1, 0x7f800001
	v_cndmask_b32_e32 v3, v1, v0, vcc
; %bb.9130:                             ;   in Loop: Header=BB4_7680 Depth=3
	s_or_b64 exec, exec, s[34:35]
.LBB4_9131:                             ;   in Loop: Header=BB4_7680 Depth=3
	s_or_b64 exec, exec, s[30:31]
.LBB4_9132:                             ;   in Loop: Header=BB4_7680 Depth=3
	s_or_b64 exec, exec, s[28:29]
	v_cmp_lt_u64_e32 vcc, s[56:57], v[14:15]
	s_and_saveexec_b64 s[28:29], vcc
	s_cbranch_execz .LBB4_9140
; %bb.9133:                             ;   in Loop: Header=BB4_7680 Depth=3
	v_lshrrev_b32_e32 v0, 24, v15
	v_cmp_ne_u32_e32 vcc, s96, v0
	v_bfrev_b32_e32 v2, 1
	s_and_saveexec_b64 s[30:31], vcc
	s_cbranch_execz .LBB4_9139
; %bb.9134:                             ;   in Loop: Header=BB4_7680 Depth=3
	v_and_b32_e32 v2, 0x7c000000, v15
	v_bfe_u32 v1, v15, 24, 2
	v_cmp_ne_u32_e32 vcc, s45, v2
                                        ; implicit-def: $vgpr2
	s_and_saveexec_b64 s[34:35], vcc
	s_xor_b64 s[34:35], exec, s[34:35]
	s_cbranch_execz .LBB4_9136
; %bb.9135:                             ;   in Loop: Header=BB4_7680 Depth=3
	v_ffbh_u32_e32 v6, v1
	v_min_u32_e32 v14, 32, v6
	v_subrev_u32_e32 v6, 29, v14
	v_bfe_u32 v2, v15, 26, 5
	v_lshlrev_b64 v[6:7], v6, v[0:1]
	v_sub_u32_e32 v0, 30, v14
	v_cmp_eq_u32_e32 vcc, 0, v2
	v_and_b32_e32 v6, 3, v6
	v_cndmask_b32_e32 v0, v2, v0, vcc
	v_and_b32_e32 v2, 0x80000000, v15
	v_cndmask_b32_e32 v1, v1, v6, vcc
	v_lshl_add_u32 v0, v0, 23, v2
	v_lshl_or_b32 v0, v1, 21, v0
	v_add_u32_e32 v2, 0x38000000, v0
                                        ; implicit-def: $vgpr1
                                        ; implicit-def: $vgpr14_vgpr15
.LBB4_9136:                             ;   in Loop: Header=BB4_7680 Depth=3
	s_andn2_saveexec_b64 s[34:35], s[34:35]
; %bb.9137:                             ;   in Loop: Header=BB4_7680 Depth=3
	v_cmp_lt_i64_e32 vcc, -1, v[14:15]
	v_mov_b32_e32 v0, 0xff800000
	v_mov_b32_e32 v2, 0x7f800000
	v_cndmask_b32_e32 v0, v0, v2, vcc
	v_cmp_eq_u32_e32 vcc, 0, v1
	v_mov_b32_e32 v1, 0x7f800001
	v_cndmask_b32_e32 v2, v1, v0, vcc
; %bb.9138:                             ;   in Loop: Header=BB4_7680 Depth=3
	s_or_b64 exec, exec, s[34:35]
.LBB4_9139:                             ;   in Loop: Header=BB4_7680 Depth=3
	s_or_b64 exec, exec, s[30:31]
.LBB4_9140:                             ;   in Loop: Header=BB4_7680 Depth=3
	s_or_b64 exec, exec, s[28:29]
	v_add_f32_e32 v2, v3, v2
	v_and_b32_e32 v6, 0x7f800000, v2
	v_mov_b32_e32 v7, v17
	v_cmp_ne_u64_e32 vcc, s[76:77], v[6:7]
	v_and_b32_e32 v0, 0x7fffff, v2
	v_mov_b32_e32 v1, v17
                                        ; implicit-def: $vgpr14
	s_and_saveexec_b64 s[28:29], vcc
	s_xor_b64 s[30:31], exec, s[28:29]
	s_cbranch_execz .LBB4_9154
; %bb.9141:                             ;   in Loop: Header=BB4_7680 Depth=3
	v_and_b32_e32 v6, 0x7fffffff, v2
	v_mov_b32_e32 v7, v17
	v_cmp_gt_u64_e32 vcc, s[78:79], v[6:7]
	v_and_b32_sdwa v3, v2, s96 dst_sel:DWORD dst_unused:UNUSED_PAD src0_sel:BYTE_3 src1_sel:DWORD
                                        ; implicit-def: $vgpr14
	s_and_saveexec_b64 s[28:29], vcc
	s_xor_b64 s[34:35], exec, s[28:29]
	s_cbranch_execz .LBB4_9151
; %bb.9142:                             ;   in Loop: Header=BB4_7680 Depth=3
	v_mov_b32_e32 v14, 0
	v_cmp_ne_u32_e32 vcc, 0, v2
	s_and_saveexec_b64 s[36:37], vcc
	s_cbranch_execz .LBB4_9150
; %bb.9143:                             ;   in Loop: Header=BB4_7680 Depth=3
	v_bfe_u32 v14, v2, 23, 8
	v_cmp_gt_u32_e64 s[28:29], s46, v14
	v_sub_u32_e32 v2, 0x71, v14
	v_cmp_eq_u32_e32 vcc, 0, v14
	v_cndmask_b32_e64 v2, 0, v2, s[28:29]
	v_mov_b32_e32 v7, 0x70
	v_cndmask_b32_e32 v15, v2, v7, vcc
	v_or_b32_e32 v6, 0x800000, v0
	v_add_u32_e32 v2, 21, v15
	v_cndmask_b32_e32 v0, v6, v0, vcc
	v_lshlrev_b64 v[6:7], v2, -1
	v_add_u32_e32 v2, 20, v15
	v_bfi_b32 v6, v6, 0, v0
	v_lshlrev_b64 v[48:49], v2, 1
	v_lshrrev_b64 v[0:1], v15, v[0:1]
	v_bfi_b32 v7, v7, 0, 0
	v_cmp_eq_u64_e64 s[28:29], v[6:7], v[48:49]
	v_mov_b32_e32 v2, v1
	v_mov_b32_e32 v1, v0
	s_and_saveexec_b64 s[38:39], s[28:29]
; %bb.9144:                             ;   in Loop: Header=BB4_7680 Depth=3
	v_bfe_u32 v1, v0, 21, 1
	v_add_co_u32_e64 v1, s[28:29], v0, v1
	v_add_co_u32_e64 v1, s[28:29], -1, v1
; %bb.9145:                             ;   in Loop: Header=BB4_7680 Depth=3
	s_or_b64 exec, exec, s[38:39]
	v_add_u32_e32 v2, 0xffffff81, v14
	v_mov_b32_e32 v6, 0xffffff82
	v_cndmask_b32_e32 v2, v2, v6, vcc
	v_lshrrev_b32_e32 v6, 23, v0
	v_add3_u32 v15, v15, v2, v6
	v_add_u32_e32 v14, 14, v15
	v_and_b32_e32 v1, 0x1fffff, v1
	v_add_u32_e32 v0, v1, v0
	v_mov_b32_e32 v1, v17
	v_cmp_ne_u32_e32 vcc, 0, v14
                                        ; implicit-def: $vgpr2
	s_and_saveexec_b64 s[28:29], vcc
	s_xor_b64 s[28:29], exec, s[28:29]
; %bb.9146:                             ;   in Loop: Header=BB4_7680 Depth=3
	v_cmp_lt_u64_e32 vcc, s[88:89], v[0:1]
	v_add_u32_e32 v2, 15, v15
	v_cndmask_b32_e64 v6, 0, 1, vcc
	v_cndmask_b32_e32 v2, v14, v2, vcc
	v_lshrrev_b64 v[0:1], v6, v[0:1]
; %bb.9147:                             ;   in Loop: Header=BB4_7680 Depth=3
	s_andn2_saveexec_b64 s[28:29], s[28:29]
; %bb.9148:                             ;   in Loop: Header=BB4_7680 Depth=3
	v_bfe_u32 v2, v0, 23, 1
; %bb.9149:                             ;   in Loop: Header=BB4_7680 Depth=3
	s_or_b64 exec, exec, s[28:29]
	v_lshrrev_b64 v[0:1], 21, v[0:1]
	v_cmp_gt_i32_e32 vcc, 32, v2
	v_cndmask_b32_e32 v1, 0, v1, vcc
	v_cndmask_b32_e32 v0, 3, v0, vcc
	v_cmp_eq_u64_e64 s[28:29], 0, v[0:1]
	v_min_i32_e32 v1, 31, v2
	v_lshlrev_b32_e32 v1, 2, v1
	v_cmp_eq_u32_e32 vcc, 0, v2
	v_and_b32_e32 v1, 0xfc, v1
	v_and_or_b32 v0, v0, 3, v1
	s_and_b64 s[28:29], vcc, s[28:29]
	v_cndmask_b32_e64 v0, v0, 0, s[28:29]
	v_or_b32_e32 v14, v0, v3
.LBB4_9150:                             ;   in Loop: Header=BB4_7680 Depth=3
	s_or_b64 exec, exec, s[36:37]
                                        ; implicit-def: $vgpr3
.LBB4_9151:                             ;   in Loop: Header=BB4_7680 Depth=3
	s_andn2_saveexec_b64 s[28:29], s[34:35]
; %bb.9152:                             ;   in Loop: Header=BB4_7680 Depth=3
	v_or_b32_e32 v14, 0x7b, v3
; %bb.9153:                             ;   in Loop: Header=BB4_7680 Depth=3
	s_or_b64 exec, exec, s[28:29]
                                        ; implicit-def: $vgpr2
                                        ; implicit-def: $vgpr0_vgpr1
.LBB4_9154:                             ;   in Loop: Header=BB4_7680 Depth=3
	s_andn2_saveexec_b64 s[28:29], s[30:31]
	s_cbranch_execz .LBB4_9160
; %bb.9155:                             ;   in Loop: Header=BB4_7680 Depth=3
	v_cmp_ne_u64_e32 vcc, 0, v[0:1]
                                        ; implicit-def: $vgpr14
	s_and_saveexec_b64 s[30:31], vcc
	s_xor_b64 vcc, exec, s[30:31]
; %bb.9156:                             ;   in Loop: Header=BB4_7680 Depth=3
	v_or_b32_sdwa v14, v2, s47 dst_sel:DWORD dst_unused:UNUSED_PAD src0_sel:BYTE_3 src1_sel:DWORD
                                        ; implicit-def: $vgpr2
; %bb.9157:                             ;   in Loop: Header=BB4_7680 Depth=3
	s_andn2_saveexec_b64 s[30:31], vcc
; %bb.9158:                             ;   in Loop: Header=BB4_7680 Depth=3
	v_cmp_lt_i32_e32 vcc, -1, v2
	v_bfrev_b32_e32 v0, 0.5
	v_cndmask_b32_e32 v14, v0, v52, vcc
; %bb.9159:                             ;   in Loop: Header=BB4_7680 Depth=3
	s_or_b64 exec, exec, s[30:31]
.LBB4_9160:                             ;   in Loop: Header=BB4_7680 Depth=3
	s_or_b64 exec, exec, s[28:29]
	v_lshl_or_b32 v35, v35, 8, v25
	v_lshlrev_b32_e32 v0, 16, v39
	v_lshlrev_b32_e32 v1, 24, v53
	v_or3_b32 v0, v0, v1, v35
	v_mov_b32_e32 v1, v17
	v_cmp_ne_u32_e32 vcc, 0, v25
	v_mov_b32_e32 v2, 0
	v_mov_b32_e32 v3, 0
	s_and_saveexec_b64 s[30:31], vcc
	s_cbranch_execz .LBB4_9168
; %bb.9161:                             ;   in Loop: Header=BB4_7680 Depth=3
	v_cmp_ne_u32_e32 vcc, s96, v25
	v_bfrev_b32_e32 v3, 1
	s_and_saveexec_b64 s[34:35], vcc
	s_cbranch_execz .LBB4_9167
; %bb.9162:                             ;   in Loop: Header=BB4_7680 Depth=3
	v_and_b32_e32 v3, 0x7c, v25
	v_and_b32_e32 v15, 3, v25
	v_cmp_ne_u32_e32 vcc, s85, v3
                                        ; implicit-def: $vgpr3
	s_and_saveexec_b64 s[28:29], vcc
	s_xor_b64 s[28:29], exec, s[28:29]
	s_cbranch_execz .LBB4_9164
; %bb.9163:                             ;   in Loop: Header=BB4_7680 Depth=3
	v_ffbh_u32_e32 v6, v15
	v_min_u32_e32 v28, 32, v6
	v_subrev_u32_e32 v6, 29, v28
	v_lshlrev_b64 v[6:7], v6, v[0:1]
	v_bfe_u32 v3, v25, 2, 5
	v_sub_u32_e32 v1, 30, v28
	v_and_b32_e32 v6, 3, v6
	v_cmp_eq_u32_e32 vcc, 0, v3
	v_cndmask_b32_e32 v1, v3, v1, vcc
	v_cndmask_b32_e32 v3, v15, v6, vcc
	v_lshlrev_b32_e32 v6, 24, v25
	v_and_b32_e32 v6, 0x80000000, v6
	v_lshl_add_u32 v1, v1, 23, v6
	v_lshl_or_b32 v1, v3, 21, v1
	v_add_u32_e32 v3, 0x38000000, v1
                                        ; implicit-def: $vgpr15
                                        ; implicit-def: $vgpr25
.LBB4_9164:                             ;   in Loop: Header=BB4_7680 Depth=3
	s_andn2_saveexec_b64 s[36:37], s[28:29]
; %bb.9165:                             ;   in Loop: Header=BB4_7680 Depth=3
	v_and_b32_e32 v1, 0x80, v25
	v_cmp_eq_u32_e64 s[28:29], 0, v1
	v_mov_b32_e32 v1, 0xff800000
	v_mov_b32_e32 v3, 0x7f800000
	v_cmp_eq_u32_e32 vcc, 0, v15
	v_cndmask_b32_e64 v1, v1, v3, s[28:29]
	v_mov_b32_e32 v3, 0x7f800001
	v_cndmask_b32_e32 v3, v3, v1, vcc
; %bb.9166:                             ;   in Loop: Header=BB4_7680 Depth=3
	s_or_b64 exec, exec, s[36:37]
.LBB4_9167:                             ;   in Loop: Header=BB4_7680 Depth=3
	s_or_b64 exec, exec, s[34:35]
.LBB4_9168:                             ;   in Loop: Header=BB4_7680 Depth=3
	s_or_b64 exec, exec, s[30:31]
	s_waitcnt vmcnt(0)
	v_cmp_ne_u16_sdwa vcc, v8, v17 src0_sel:BYTE_0 src1_sel:DWORD
	s_and_saveexec_b64 s[28:29], vcc
	s_cbranch_execz .LBB4_9176
; %bb.9169:                             ;   in Loop: Header=BB4_7680 Depth=3
	v_cmp_ne_u16_sdwa vcc, sext(v8), s97 src0_sel:BYTE_0 src1_sel:DWORD
	v_bfrev_b32_e32 v2, 1
	s_and_saveexec_b64 s[30:31], vcc
	s_cbranch_execz .LBB4_9175
; %bb.9170:                             ;   in Loop: Header=BB4_7680 Depth=3
	v_and_b32_e32 v2, 0x7c, v8
	v_and_b32_e32 v1, 3, v8
	v_cmp_ne_u32_e32 vcc, s85, v2
                                        ; implicit-def: $vgpr2
	s_and_saveexec_b64 s[34:35], vcc
	s_xor_b64 s[34:35], exec, s[34:35]
	s_cbranch_execz .LBB4_9172
; %bb.9171:                             ;   in Loop: Header=BB4_7680 Depth=3
	v_ffbh_u32_e32 v6, v1
	v_min_u32_e32 v15, 32, v6
	v_subrev_u32_e32 v6, 29, v15
	v_lshlrev_b64 v[6:7], v6, v[8:9]
	v_bfe_u32 v2, v8, 2, 5
	v_and_b32_e32 v6, 3, v6
	v_cmp_eq_u32_e32 vcc, 0, v2
	v_sub_u32_e32 v7, 30, v15
	v_cndmask_b32_e32 v1, v1, v6, vcc
	v_lshlrev_b32_e32 v6, 24, v8
	v_cndmask_b32_e32 v2, v2, v7, vcc
	v_and_b32_e32 v6, 0x80000000, v6
	v_lshl_add_u32 v2, v2, 23, v6
	v_lshl_or_b32 v1, v1, 21, v2
	v_add_u32_e32 v2, 0x38000000, v1
                                        ; implicit-def: $vgpr1
.LBB4_9172:                             ;   in Loop: Header=BB4_7680 Depth=3
	s_andn2_saveexec_b64 s[34:35], s[34:35]
; %bb.9173:                             ;   in Loop: Header=BB4_7680 Depth=3
	v_mov_b32_e32 v2, -1
	v_cmp_gt_i16_sdwa vcc, sext(v8), v2 src0_sel:BYTE_0 src1_sel:DWORD
	v_mov_b32_e32 v2, 0xff800000
	v_mov_b32_e32 v6, 0x7f800000
	v_cndmask_b32_e32 v2, v2, v6, vcc
	v_cmp_eq_u32_e32 vcc, 0, v1
	v_mov_b32_e32 v1, 0x7f800001
	v_cndmask_b32_e32 v2, v1, v2, vcc
; %bb.9174:                             ;   in Loop: Header=BB4_7680 Depth=3
	s_or_b64 exec, exec, s[34:35]
.LBB4_9175:                             ;   in Loop: Header=BB4_7680 Depth=3
	s_or_b64 exec, exec, s[30:31]
.LBB4_9176:                             ;   in Loop: Header=BB4_7680 Depth=3
	s_or_b64 exec, exec, s[28:29]
	v_add_f32_e32 v3, v3, v2
	v_and_b32_e32 v6, 0x7f800000, v3
	v_mov_b32_e32 v7, v17
	v_cmp_ne_u64_e32 vcc, s[76:77], v[6:7]
	v_and_b32_e32 v1, 0x7fffff, v3
	v_mov_b32_e32 v2, v17
                                        ; implicit-def: $vgpr15
	s_and_saveexec_b64 s[28:29], vcc
	s_xor_b64 s[30:31], exec, s[28:29]
	s_cbranch_execz .LBB4_9190
; %bb.9177:                             ;   in Loop: Header=BB4_7680 Depth=3
	v_and_b32_e32 v6, 0x7fffffff, v3
	v_mov_b32_e32 v7, v17
	v_cmp_gt_u64_e32 vcc, s[78:79], v[6:7]
	v_and_b32_sdwa v25, v3, s96 dst_sel:DWORD dst_unused:UNUSED_PAD src0_sel:BYTE_3 src1_sel:DWORD
                                        ; implicit-def: $vgpr15
	s_and_saveexec_b64 s[28:29], vcc
	s_xor_b64 s[34:35], exec, s[28:29]
	s_cbranch_execz .LBB4_9187
; %bb.9178:                             ;   in Loop: Header=BB4_7680 Depth=3
	v_mov_b32_e32 v15, 0
	v_cmp_ne_u32_e32 vcc, 0, v3
	s_and_saveexec_b64 s[36:37], vcc
	s_cbranch_execz .LBB4_9186
; %bb.9179:                             ;   in Loop: Header=BB4_7680 Depth=3
	v_bfe_u32 v15, v3, 23, 8
	v_cmp_gt_u32_e64 s[28:29], s46, v15
	v_sub_u32_e32 v3, 0x71, v15
	v_cmp_eq_u32_e32 vcc, 0, v15
	v_cndmask_b32_e64 v3, 0, v3, s[28:29]
	v_mov_b32_e32 v7, 0x70
	v_cndmask_b32_e32 v39, v3, v7, vcc
	v_or_b32_e32 v6, 0x800000, v1
	v_add_u32_e32 v3, 21, v39
	v_cndmask_b32_e32 v1, v6, v1, vcc
	v_lshlrev_b64 v[6:7], v3, -1
	v_add_u32_e32 v3, 20, v39
	v_bfi_b32 v6, v6, 0, v1
	v_lshlrev_b64 v[48:49], v3, 1
	v_lshrrev_b64 v[1:2], v39, v[1:2]
	v_bfi_b32 v7, v7, 0, 0
	v_cmp_eq_u64_e64 s[28:29], v[6:7], v[48:49]
	v_mov_b32_e32 v3, v2
	v_mov_b32_e32 v2, v1
	s_and_saveexec_b64 s[38:39], s[28:29]
; %bb.9180:                             ;   in Loop: Header=BB4_7680 Depth=3
	v_bfe_u32 v2, v1, 21, 1
	v_add_co_u32_e64 v2, s[28:29], v1, v2
	v_add_co_u32_e64 v2, s[28:29], -1, v2
; %bb.9181:                             ;   in Loop: Header=BB4_7680 Depth=3
	s_or_b64 exec, exec, s[38:39]
	v_add_u32_e32 v3, 0xffffff81, v15
	v_mov_b32_e32 v6, 0xffffff82
	v_cndmask_b32_e32 v3, v3, v6, vcc
	v_lshrrev_b32_e32 v6, 23, v1
	v_add3_u32 v39, v39, v3, v6
	v_add_u32_e32 v15, 14, v39
	v_and_b32_e32 v2, 0x1fffff, v2
	v_add_u32_e32 v1, v2, v1
	v_mov_b32_e32 v2, v17
	v_cmp_ne_u32_e32 vcc, 0, v15
                                        ; implicit-def: $vgpr3
	s_and_saveexec_b64 s[28:29], vcc
	s_xor_b64 s[28:29], exec, s[28:29]
; %bb.9182:                             ;   in Loop: Header=BB4_7680 Depth=3
	v_cmp_lt_u64_e32 vcc, s[88:89], v[1:2]
	v_add_u32_e32 v3, 15, v39
	v_cndmask_b32_e64 v6, 0, 1, vcc
	v_lshrrev_b64 v[1:2], v6, v[1:2]
	v_cndmask_b32_e32 v3, v15, v3, vcc
; %bb.9183:                             ;   in Loop: Header=BB4_7680 Depth=3
	s_andn2_saveexec_b64 s[28:29], s[28:29]
; %bb.9184:                             ;   in Loop: Header=BB4_7680 Depth=3
	v_bfe_u32 v3, v1, 23, 1
; %bb.9185:                             ;   in Loop: Header=BB4_7680 Depth=3
	s_or_b64 exec, exec, s[28:29]
	v_lshrrev_b64 v[1:2], 21, v[1:2]
	v_cmp_gt_i32_e32 vcc, 32, v3
	v_cndmask_b32_e32 v2, 0, v2, vcc
	v_cndmask_b32_e32 v1, 3, v1, vcc
	v_cmp_eq_u64_e64 s[28:29], 0, v[1:2]
	v_min_i32_e32 v2, 31, v3
	v_lshlrev_b32_e32 v2, 2, v2
	v_cmp_eq_u32_e32 vcc, 0, v3
	v_and_b32_e32 v2, 0xfc, v2
	v_and_or_b32 v1, v1, 3, v2
	s_and_b64 s[28:29], vcc, s[28:29]
	v_cndmask_b32_e64 v1, v1, 0, s[28:29]
	v_or_b32_e32 v15, v1, v25
.LBB4_9186:                             ;   in Loop: Header=BB4_7680 Depth=3
	s_or_b64 exec, exec, s[36:37]
                                        ; implicit-def: $vgpr25
.LBB4_9187:                             ;   in Loop: Header=BB4_7680 Depth=3
	s_andn2_saveexec_b64 s[28:29], s[34:35]
; %bb.9188:                             ;   in Loop: Header=BB4_7680 Depth=3
	v_or_b32_e32 v15, 0x7b, v25
; %bb.9189:                             ;   in Loop: Header=BB4_7680 Depth=3
	s_or_b64 exec, exec, s[28:29]
                                        ; implicit-def: $vgpr3
                                        ; implicit-def: $vgpr1_vgpr2
.LBB4_9190:                             ;   in Loop: Header=BB4_7680 Depth=3
	s_andn2_saveexec_b64 s[28:29], s[30:31]
	s_cbranch_execz .LBB4_9196
; %bb.9191:                             ;   in Loop: Header=BB4_7680 Depth=3
	v_cmp_ne_u64_e32 vcc, 0, v[1:2]
                                        ; implicit-def: $vgpr15
	s_and_saveexec_b64 s[30:31], vcc
	s_xor_b64 vcc, exec, s[30:31]
; %bb.9192:                             ;   in Loop: Header=BB4_7680 Depth=3
	v_or_b32_sdwa v15, v3, s47 dst_sel:DWORD dst_unused:UNUSED_PAD src0_sel:BYTE_3 src1_sel:DWORD
                                        ; implicit-def: $vgpr3
; %bb.9193:                             ;   in Loop: Header=BB4_7680 Depth=3
	s_andn2_saveexec_b64 s[30:31], vcc
; %bb.9194:                             ;   in Loop: Header=BB4_7680 Depth=3
	v_cmp_lt_i32_e32 vcc, -1, v3
	v_bfrev_b32_e32 v1, 0.5
	v_cndmask_b32_e32 v15, v1, v52, vcc
; %bb.9195:                             ;   in Loop: Header=BB4_7680 Depth=3
	s_or_b64 exec, exec, s[30:31]
.LBB4_9196:                             ;   in Loop: Header=BB4_7680 Depth=3
	s_or_b64 exec, exec, s[28:29]
	v_lshrrev_b16_e32 v1, 8, v35
	v_cmp_ne_u16_e32 vcc, 0, v1
	v_mov_b32_e32 v3, 0
	v_mov_b32_e32 v25, 0
	s_and_saveexec_b64 s[28:29], vcc
	s_cbranch_execz .LBB4_9204
; %bb.9197:                             ;   in Loop: Header=BB4_7680 Depth=3
	v_cmp_ne_u16_e32 vcc, s96, v1
	v_bfrev_b32_e32 v25, 1
	s_and_saveexec_b64 s[30:31], vcc
	s_cbranch_execz .LBB4_9203
; %bb.9198:                             ;   in Loop: Header=BB4_7680 Depth=3
	v_and_b32_e32 v2, 0x7c, v1
	v_and_b32_e32 v39, 3, v1
	v_cmp_ne_u32_e32 vcc, s85, v2
                                        ; implicit-def: $vgpr25
	s_and_saveexec_b64 s[34:35], vcc
	s_xor_b64 s[34:35], exec, s[34:35]
	s_cbranch_execz .LBB4_9200
; %bb.9199:                             ;   in Loop: Header=BB4_7680 Depth=3
	v_ffbh_u32_e32 v7, v39
	v_min_u32_e32 v7, 32, v7
	v_mov_b32_e32 v2, v17
	v_subrev_u32_e32 v25, 29, v7
	v_bfe_u32 v6, v1, 2, 5
	v_lshlrev_b64 v[1:2], v25, v[1:2]
	v_sub_u32_e32 v2, 30, v7
	v_cmp_eq_u32_e32 vcc, 0, v6
	v_cndmask_b32_e32 v2, v6, v2, vcc
	v_lshlrev_b32_e32 v6, 16, v35
	v_and_b32_e32 v1, 3, v1
	v_and_b32_e32 v6, 0x80000000, v6
	v_cndmask_b32_e32 v1, v39, v1, vcc
	v_lshl_add_u32 v2, v2, 23, v6
	v_lshl_or_b32 v1, v1, 21, v2
	v_add_u32_e32 v25, 0x38000000, v1
                                        ; implicit-def: $vgpr39
                                        ; implicit-def: $vgpr35
.LBB4_9200:                             ;   in Loop: Header=BB4_7680 Depth=3
	s_andn2_saveexec_b64 s[34:35], s[34:35]
; %bb.9201:                             ;   in Loop: Header=BB4_7680 Depth=3
	v_cmp_lt_i16_e32 vcc, -1, v35
	v_mov_b32_e32 v1, 0xff800000
	v_mov_b32_e32 v2, 0x7f800000
	v_cndmask_b32_e32 v1, v1, v2, vcc
	v_cmp_eq_u32_e32 vcc, 0, v39
	v_mov_b32_e32 v2, 0x7f800001
	v_cndmask_b32_e32 v25, v2, v1, vcc
; %bb.9202:                             ;   in Loop: Header=BB4_7680 Depth=3
	s_or_b64 exec, exec, s[34:35]
.LBB4_9203:                             ;   in Loop: Header=BB4_7680 Depth=3
	s_or_b64 exec, exec, s[30:31]
.LBB4_9204:                             ;   in Loop: Header=BB4_7680 Depth=3
	s_or_b64 exec, exec, s[28:29]
	v_lshrrev_b16_e32 v1, 8, v8
	v_cmp_ne_u16_e32 vcc, 0, v1
	s_and_saveexec_b64 s[28:29], vcc
	s_cbranch_execz .LBB4_9212
; %bb.9205:                             ;   in Loop: Header=BB4_7680 Depth=3
	v_cmp_ne_u16_e32 vcc, s96, v1
	v_bfrev_b32_e32 v3, 1
	s_and_saveexec_b64 s[30:31], vcc
	s_cbranch_execz .LBB4_9211
; %bb.9206:                             ;   in Loop: Header=BB4_7680 Depth=3
	v_and_b32_e32 v2, 0x7c, v1
	v_and_b32_e32 v35, 3, v1
	v_cmp_ne_u32_e32 vcc, s85, v2
                                        ; implicit-def: $vgpr3
	s_and_saveexec_b64 s[34:35], vcc
	s_xor_b64 s[34:35], exec, s[34:35]
	s_cbranch_execz .LBB4_9208
; %bb.9207:                             ;   in Loop: Header=BB4_7680 Depth=3
	v_ffbh_u32_e32 v6, v35
	v_min_u32_e32 v6, 32, v6
	v_mov_b32_e32 v2, v17
	v_subrev_u32_e32 v7, 29, v6
	v_bfe_u32 v3, v1, 2, 5
	v_lshlrev_b64 v[1:2], v7, v[1:2]
	v_sub_u32_e32 v2, 30, v6
	v_cmp_eq_u32_e32 vcc, 0, v3
	v_cndmask_b32_e32 v2, v3, v2, vcc
	v_lshlrev_b32_e32 v3, 16, v8
	v_and_b32_e32 v1, 3, v1
	v_and_b32_e32 v3, 0x80000000, v3
	v_cndmask_b32_e32 v1, v35, v1, vcc
	v_lshl_add_u32 v2, v2, 23, v3
	v_lshl_or_b32 v1, v1, 21, v2
	v_add_u32_e32 v3, 0x38000000, v1
                                        ; implicit-def: $vgpr35
.LBB4_9208:                             ;   in Loop: Header=BB4_7680 Depth=3
	s_andn2_saveexec_b64 s[34:35], s[34:35]
; %bb.9209:                             ;   in Loop: Header=BB4_7680 Depth=3
	v_cmp_lt_i16_e32 vcc, -1, v8
	v_mov_b32_e32 v1, 0xff800000
	v_mov_b32_e32 v2, 0x7f800000
	v_cndmask_b32_e32 v1, v1, v2, vcc
	v_cmp_eq_u32_e32 vcc, 0, v35
	v_mov_b32_e32 v2, 0x7f800001
	v_cndmask_b32_e32 v3, v2, v1, vcc
; %bb.9210:                             ;   in Loop: Header=BB4_7680 Depth=3
	s_or_b64 exec, exec, s[34:35]
.LBB4_9211:                             ;   in Loop: Header=BB4_7680 Depth=3
	s_or_b64 exec, exec, s[30:31]
.LBB4_9212:                             ;   in Loop: Header=BB4_7680 Depth=3
	s_or_b64 exec, exec, s[28:29]
	v_add_f32_e32 v3, v25, v3
	v_and_b32_e32 v6, 0x7f800000, v3
	v_mov_b32_e32 v7, v17
	v_cmp_ne_u64_e32 vcc, s[76:77], v[6:7]
	v_and_b32_e32 v1, 0x7fffff, v3
	v_mov_b32_e32 v2, v17
                                        ; implicit-def: $vgpr25
	s_and_saveexec_b64 s[28:29], vcc
	s_xor_b64 s[30:31], exec, s[28:29]
	s_cbranch_execz .LBB4_9226
; %bb.9213:                             ;   in Loop: Header=BB4_7680 Depth=3
	v_and_b32_e32 v6, 0x7fffffff, v3
	v_mov_b32_e32 v7, v17
	v_cmp_gt_u64_e32 vcc, s[78:79], v[6:7]
	v_and_b32_sdwa v35, v3, s96 dst_sel:DWORD dst_unused:UNUSED_PAD src0_sel:BYTE_3 src1_sel:DWORD
                                        ; implicit-def: $vgpr25
	s_and_saveexec_b64 s[28:29], vcc
	s_xor_b64 s[34:35], exec, s[28:29]
	s_cbranch_execz .LBB4_9223
; %bb.9214:                             ;   in Loop: Header=BB4_7680 Depth=3
	v_mov_b32_e32 v25, 0
	v_cmp_ne_u32_e32 vcc, 0, v3
	s_and_saveexec_b64 s[36:37], vcc
	s_cbranch_execz .LBB4_9222
; %bb.9215:                             ;   in Loop: Header=BB4_7680 Depth=3
	v_bfe_u32 v25, v3, 23, 8
	v_cmp_gt_u32_e64 s[28:29], s46, v25
	v_sub_u32_e32 v3, 0x71, v25
	v_cmp_eq_u32_e32 vcc, 0, v25
	v_cndmask_b32_e64 v3, 0, v3, s[28:29]
	v_mov_b32_e32 v7, 0x70
	v_cndmask_b32_e32 v39, v3, v7, vcc
	v_or_b32_e32 v6, 0x800000, v1
	v_add_u32_e32 v3, 21, v39
	v_cndmask_b32_e32 v1, v6, v1, vcc
	v_lshlrev_b64 v[6:7], v3, -1
	v_add_u32_e32 v3, 20, v39
	v_bfi_b32 v6, v6, 0, v1
	v_lshlrev_b64 v[48:49], v3, 1
	v_lshrrev_b64 v[1:2], v39, v[1:2]
	v_bfi_b32 v7, v7, 0, 0
	v_cmp_eq_u64_e64 s[28:29], v[6:7], v[48:49]
	v_mov_b32_e32 v3, v2
	v_mov_b32_e32 v2, v1
	s_and_saveexec_b64 s[38:39], s[28:29]
; %bb.9216:                             ;   in Loop: Header=BB4_7680 Depth=3
	v_bfe_u32 v2, v1, 21, 1
	v_add_co_u32_e64 v2, s[28:29], v1, v2
	v_add_co_u32_e64 v2, s[28:29], -1, v2
; %bb.9217:                             ;   in Loop: Header=BB4_7680 Depth=3
	s_or_b64 exec, exec, s[38:39]
	v_add_u32_e32 v3, 0xffffff81, v25
	v_mov_b32_e32 v6, 0xffffff82
	v_cndmask_b32_e32 v3, v3, v6, vcc
	v_lshrrev_b32_e32 v6, 23, v1
	v_add3_u32 v39, v39, v3, v6
	v_add_u32_e32 v25, 14, v39
	v_and_b32_e32 v2, 0x1fffff, v2
	v_add_u32_e32 v1, v2, v1
	v_mov_b32_e32 v2, v17
	v_cmp_ne_u32_e32 vcc, 0, v25
                                        ; implicit-def: $vgpr3
	s_and_saveexec_b64 s[28:29], vcc
	s_xor_b64 s[28:29], exec, s[28:29]
; %bb.9218:                             ;   in Loop: Header=BB4_7680 Depth=3
	v_cmp_lt_u64_e32 vcc, s[88:89], v[1:2]
	v_add_u32_e32 v3, 15, v39
	v_cndmask_b32_e64 v6, 0, 1, vcc
	v_lshrrev_b64 v[1:2], v6, v[1:2]
	v_cndmask_b32_e32 v3, v25, v3, vcc
; %bb.9219:                             ;   in Loop: Header=BB4_7680 Depth=3
	s_andn2_saveexec_b64 s[28:29], s[28:29]
; %bb.9220:                             ;   in Loop: Header=BB4_7680 Depth=3
	v_bfe_u32 v3, v1, 23, 1
; %bb.9221:                             ;   in Loop: Header=BB4_7680 Depth=3
	s_or_b64 exec, exec, s[28:29]
	v_lshrrev_b64 v[1:2], 21, v[1:2]
	v_cmp_gt_i32_e32 vcc, 32, v3
	v_cndmask_b32_e32 v2, 0, v2, vcc
	v_cndmask_b32_e32 v1, 3, v1, vcc
	v_cmp_eq_u64_e64 s[28:29], 0, v[1:2]
	v_min_i32_e32 v2, 31, v3
	v_lshlrev_b32_e32 v2, 2, v2
	v_cmp_eq_u32_e32 vcc, 0, v3
	v_and_b32_e32 v2, 0xfc, v2
	v_and_or_b32 v1, v1, 3, v2
	s_and_b64 s[28:29], vcc, s[28:29]
	v_cndmask_b32_e64 v1, v1, 0, s[28:29]
	v_or_b32_e32 v25, v1, v35
.LBB4_9222:                             ;   in Loop: Header=BB4_7680 Depth=3
	s_or_b64 exec, exec, s[36:37]
                                        ; implicit-def: $vgpr35
.LBB4_9223:                             ;   in Loop: Header=BB4_7680 Depth=3
	s_andn2_saveexec_b64 s[28:29], s[34:35]
; %bb.9224:                             ;   in Loop: Header=BB4_7680 Depth=3
	v_or_b32_e32 v25, 0x7b, v35
; %bb.9225:                             ;   in Loop: Header=BB4_7680 Depth=3
	s_or_b64 exec, exec, s[28:29]
                                        ; implicit-def: $vgpr3
                                        ; implicit-def: $vgpr1_vgpr2
.LBB4_9226:                             ;   in Loop: Header=BB4_7680 Depth=3
	s_andn2_saveexec_b64 s[28:29], s[30:31]
	s_cbranch_execz .LBB4_9232
; %bb.9227:                             ;   in Loop: Header=BB4_7680 Depth=3
	v_cmp_ne_u64_e32 vcc, 0, v[1:2]
                                        ; implicit-def: $vgpr25
	s_and_saveexec_b64 s[30:31], vcc
	s_xor_b64 vcc, exec, s[30:31]
; %bb.9228:                             ;   in Loop: Header=BB4_7680 Depth=3
	v_or_b32_sdwa v25, v3, s47 dst_sel:DWORD dst_unused:UNUSED_PAD src0_sel:BYTE_3 src1_sel:DWORD
                                        ; implicit-def: $vgpr3
; %bb.9229:                             ;   in Loop: Header=BB4_7680 Depth=3
	s_andn2_saveexec_b64 s[30:31], vcc
; %bb.9230:                             ;   in Loop: Header=BB4_7680 Depth=3
	v_cmp_lt_i32_e32 vcc, -1, v3
	v_bfrev_b32_e32 v1, 0.5
	v_cndmask_b32_e32 v25, v1, v52, vcc
; %bb.9231:                             ;   in Loop: Header=BB4_7680 Depth=3
	s_or_b64 exec, exec, s[30:31]
.LBB4_9232:                             ;   in Loop: Header=BB4_7680 Depth=3
	s_or_b64 exec, exec, s[28:29]
	v_and_b32_sdwa v35, v0, s87 dst_sel:DWORD dst_unused:UNUSED_PAD src0_sel:WORD_1 src1_sel:DWORD
	v_lshrrev_b32_e32 v1, 16, v0
	v_cmp_ne_u16_e32 vcc, 0, v35
	v_mov_b32_e32 v2, 0
	v_mov_b32_e32 v3, 0
	s_and_saveexec_b64 s[28:29], vcc
	s_cbranch_execz .LBB4_9240
; %bb.9233:                             ;   in Loop: Header=BB4_7680 Depth=3
	v_cmp_ne_u16_e32 vcc, s96, v35
	v_bfrev_b32_e32 v3, 1
	s_and_saveexec_b64 s[30:31], vcc
	s_cbranch_execz .LBB4_9239
; %bb.9234:                             ;   in Loop: Header=BB4_7680 Depth=3
	v_and_b32_e32 v3, 0x7c0000, v0
	v_bfe_u32 v35, v0, 16, 2
	v_cmp_ne_u32_e32 vcc, s44, v3
                                        ; implicit-def: $vgpr3
	s_and_saveexec_b64 s[34:35], vcc
	s_xor_b64 s[34:35], exec, s[34:35]
	s_cbranch_execz .LBB4_9236
; %bb.9235:                             ;   in Loop: Header=BB4_7680 Depth=3
	v_ffbh_u32_e32 v6, v35
	v_min_u32_e32 v28, 32, v6
	v_subrev_u32_e32 v6, 29, v28
	v_lshlrev_b64 v[6:7], v6, v[1:2]
	v_bfe_u32 v3, v0, 18, 5
	v_sub_u32_e32 v1, 30, v28
	v_and_b32_e32 v6, 3, v6
	v_cmp_eq_u32_e32 vcc, 0, v3
	v_cndmask_b32_e32 v1, v3, v1, vcc
	v_cndmask_b32_e32 v3, v35, v6, vcc
	v_lshlrev_b32_e32 v6, 8, v0
	v_and_b32_e32 v6, 0x80000000, v6
	v_lshl_add_u32 v1, v1, 23, v6
	v_lshl_or_b32 v1, v3, 21, v1
	v_add_u32_e32 v3, 0x38000000, v1
                                        ; implicit-def: $vgpr35
                                        ; implicit-def: $vgpr1
.LBB4_9236:                             ;   in Loop: Header=BB4_7680 Depth=3
	s_andn2_saveexec_b64 s[34:35], s[34:35]
; %bb.9237:                             ;   in Loop: Header=BB4_7680 Depth=3
	v_mov_b32_e32 v3, -1
	v_cmp_gt_i16_sdwa vcc, sext(v1), v3 src0_sel:BYTE_0 src1_sel:DWORD
	v_mov_b32_e32 v1, 0xff800000
	v_mov_b32_e32 v3, 0x7f800000
	v_cndmask_b32_e32 v1, v1, v3, vcc
	v_cmp_eq_u32_e32 vcc, 0, v35
	v_mov_b32_e32 v3, 0x7f800001
	v_cndmask_b32_e32 v3, v3, v1, vcc
; %bb.9238:                             ;   in Loop: Header=BB4_7680 Depth=3
	s_or_b64 exec, exec, s[34:35]
.LBB4_9239:                             ;   in Loop: Header=BB4_7680 Depth=3
	s_or_b64 exec, exec, s[30:31]
.LBB4_9240:                             ;   in Loop: Header=BB4_7680 Depth=3
	s_or_b64 exec, exec, s[28:29]
	v_lshrrev_b32_e32 v1, 16, v8
	v_cmp_ne_u16_sdwa vcc, v1, v17 src0_sel:BYTE_0 src1_sel:DWORD
	s_and_saveexec_b64 s[28:29], vcc
	s_cbranch_execz .LBB4_9248
; %bb.9241:                             ;   in Loop: Header=BB4_7680 Depth=3
	v_cmp_ne_u16_sdwa vcc, v1, s96 src0_sel:BYTE_0 src1_sel:DWORD
	v_bfrev_b32_e32 v2, 1
	s_and_saveexec_b64 s[30:31], vcc
	s_cbranch_execz .LBB4_9247
; %bb.9242:                             ;   in Loop: Header=BB4_7680 Depth=3
	v_and_b32_e32 v2, 0x7c0000, v8
	v_bfe_u32 v35, v8, 16, 2
	v_cmp_ne_u32_e32 vcc, s44, v2
                                        ; implicit-def: $vgpr2
	s_and_saveexec_b64 s[34:35], vcc
	s_xor_b64 s[34:35], exec, s[34:35]
	s_cbranch_execz .LBB4_9244
; %bb.9243:                             ;   in Loop: Header=BB4_7680 Depth=3
	v_ffbh_u32_e32 v2, v35
	v_min_u32_e32 v7, 32, v2
	v_subrev_u32_e32 v2, 29, v7
	v_bfe_u32 v6, v8, 18, 5
	v_lshlrev_b64 v[1:2], v2, v[1:2]
	v_sub_u32_e32 v2, 30, v7
	v_cmp_eq_u32_e32 vcc, 0, v6
	v_cndmask_b32_e32 v2, v6, v2, vcc
	v_lshlrev_b32_e32 v6, 8, v8
	v_and_b32_e32 v1, 3, v1
	v_and_b32_e32 v6, 0x80000000, v6
	v_cndmask_b32_e32 v1, v35, v1, vcc
	v_lshl_add_u32 v2, v2, 23, v6
	v_lshl_or_b32 v1, v1, 21, v2
	v_add_u32_e32 v2, 0x38000000, v1
                                        ; implicit-def: $vgpr35
                                        ; implicit-def: $vgpr1
.LBB4_9244:                             ;   in Loop: Header=BB4_7680 Depth=3
	s_andn2_saveexec_b64 s[34:35], s[34:35]
; %bb.9245:                             ;   in Loop: Header=BB4_7680 Depth=3
	v_mov_b32_e32 v2, -1
	v_cmp_gt_i16_sdwa vcc, sext(v1), v2 src0_sel:BYTE_0 src1_sel:DWORD
	v_mov_b32_e32 v1, 0xff800000
	v_mov_b32_e32 v2, 0x7f800000
	v_cndmask_b32_e32 v1, v1, v2, vcc
	v_cmp_eq_u32_e32 vcc, 0, v35
	v_mov_b32_e32 v2, 0x7f800001
	v_cndmask_b32_e32 v2, v2, v1, vcc
; %bb.9246:                             ;   in Loop: Header=BB4_7680 Depth=3
	s_or_b64 exec, exec, s[34:35]
.LBB4_9247:                             ;   in Loop: Header=BB4_7680 Depth=3
	s_or_b64 exec, exec, s[30:31]
.LBB4_9248:                             ;   in Loop: Header=BB4_7680 Depth=3
	s_or_b64 exec, exec, s[28:29]
	v_add_f32_e32 v3, v3, v2
	v_and_b32_e32 v6, 0x7f800000, v3
	v_mov_b32_e32 v7, v17
	v_cmp_ne_u64_e32 vcc, s[76:77], v[6:7]
	v_and_b32_e32 v1, 0x7fffff, v3
	v_mov_b32_e32 v2, v17
                                        ; implicit-def: $vgpr35
	s_and_saveexec_b64 s[28:29], vcc
	s_xor_b64 s[30:31], exec, s[28:29]
	s_cbranch_execz .LBB4_9262
; %bb.9249:                             ;   in Loop: Header=BB4_7680 Depth=3
	v_and_b32_e32 v6, 0x7fffffff, v3
	v_mov_b32_e32 v7, v17
	v_cmp_gt_u64_e32 vcc, s[78:79], v[6:7]
	v_and_b32_sdwa v39, v3, s96 dst_sel:DWORD dst_unused:UNUSED_PAD src0_sel:BYTE_3 src1_sel:DWORD
                                        ; implicit-def: $vgpr35
	s_and_saveexec_b64 s[28:29], vcc
	s_xor_b64 s[34:35], exec, s[28:29]
	s_cbranch_execz .LBB4_9259
; %bb.9250:                             ;   in Loop: Header=BB4_7680 Depth=3
	v_mov_b32_e32 v35, 0
	v_cmp_ne_u32_e32 vcc, 0, v3
	s_and_saveexec_b64 s[36:37], vcc
	s_cbranch_execz .LBB4_9258
; %bb.9251:                             ;   in Loop: Header=BB4_7680 Depth=3
	v_bfe_u32 v35, v3, 23, 8
	v_cmp_gt_u32_e64 s[28:29], s46, v35
	v_sub_u32_e32 v3, 0x71, v35
	v_cmp_eq_u32_e32 vcc, 0, v35
	v_cndmask_b32_e64 v3, 0, v3, s[28:29]
	v_mov_b32_e32 v7, 0x70
	v_cndmask_b32_e32 v53, v3, v7, vcc
	v_or_b32_e32 v6, 0x800000, v1
	v_add_u32_e32 v3, 21, v53
	v_cndmask_b32_e32 v1, v6, v1, vcc
	v_lshlrev_b64 v[6:7], v3, -1
	v_add_u32_e32 v3, 20, v53
	v_bfi_b32 v6, v6, 0, v1
	v_lshlrev_b64 v[48:49], v3, 1
	v_lshrrev_b64 v[1:2], v53, v[1:2]
	v_bfi_b32 v7, v7, 0, 0
	v_cmp_eq_u64_e64 s[28:29], v[6:7], v[48:49]
	v_mov_b32_e32 v3, v2
	v_mov_b32_e32 v2, v1
	s_and_saveexec_b64 s[38:39], s[28:29]
; %bb.9252:                             ;   in Loop: Header=BB4_7680 Depth=3
	v_bfe_u32 v2, v1, 21, 1
	v_add_co_u32_e64 v2, s[28:29], v1, v2
	v_add_co_u32_e64 v2, s[28:29], -1, v2
; %bb.9253:                             ;   in Loop: Header=BB4_7680 Depth=3
	s_or_b64 exec, exec, s[38:39]
	v_add_u32_e32 v3, 0xffffff81, v35
	v_mov_b32_e32 v6, 0xffffff82
	v_cndmask_b32_e32 v3, v3, v6, vcc
	v_lshrrev_b32_e32 v6, 23, v1
	v_add3_u32 v53, v53, v3, v6
	v_add_u32_e32 v35, 14, v53
	v_and_b32_e32 v2, 0x1fffff, v2
	v_add_u32_e32 v1, v2, v1
	v_mov_b32_e32 v2, v17
	v_cmp_ne_u32_e32 vcc, 0, v35
                                        ; implicit-def: $vgpr3
	s_and_saveexec_b64 s[28:29], vcc
	s_xor_b64 s[28:29], exec, s[28:29]
; %bb.9254:                             ;   in Loop: Header=BB4_7680 Depth=3
	v_cmp_lt_u64_e32 vcc, s[88:89], v[1:2]
	v_add_u32_e32 v3, 15, v53
	v_cndmask_b32_e64 v6, 0, 1, vcc
	v_lshrrev_b64 v[1:2], v6, v[1:2]
	v_cndmask_b32_e32 v3, v35, v3, vcc
; %bb.9255:                             ;   in Loop: Header=BB4_7680 Depth=3
	s_andn2_saveexec_b64 s[28:29], s[28:29]
; %bb.9256:                             ;   in Loop: Header=BB4_7680 Depth=3
	v_bfe_u32 v3, v1, 23, 1
; %bb.9257:                             ;   in Loop: Header=BB4_7680 Depth=3
	s_or_b64 exec, exec, s[28:29]
	v_lshrrev_b64 v[1:2], 21, v[1:2]
	v_cmp_gt_i32_e32 vcc, 32, v3
	v_cndmask_b32_e32 v2, 0, v2, vcc
	v_cndmask_b32_e32 v1, 3, v1, vcc
	v_cmp_eq_u64_e64 s[28:29], 0, v[1:2]
	v_min_i32_e32 v2, 31, v3
	v_lshlrev_b32_e32 v2, 2, v2
	v_cmp_eq_u32_e32 vcc, 0, v3
	v_and_b32_e32 v2, 0xfc, v2
	v_and_or_b32 v1, v1, 3, v2
	s_and_b64 s[28:29], vcc, s[28:29]
	v_cndmask_b32_e64 v1, v1, 0, s[28:29]
	v_or_b32_e32 v35, v1, v39
.LBB4_9258:                             ;   in Loop: Header=BB4_7680 Depth=3
	s_or_b64 exec, exec, s[36:37]
                                        ; implicit-def: $vgpr39
.LBB4_9259:                             ;   in Loop: Header=BB4_7680 Depth=3
	s_andn2_saveexec_b64 s[28:29], s[34:35]
; %bb.9260:                             ;   in Loop: Header=BB4_7680 Depth=3
	v_or_b32_e32 v35, 0x7b, v39
; %bb.9261:                             ;   in Loop: Header=BB4_7680 Depth=3
	s_or_b64 exec, exec, s[28:29]
                                        ; implicit-def: $vgpr3
                                        ; implicit-def: $vgpr1_vgpr2
.LBB4_9262:                             ;   in Loop: Header=BB4_7680 Depth=3
	s_andn2_saveexec_b64 s[28:29], s[30:31]
	s_cbranch_execz .LBB4_9268
; %bb.9263:                             ;   in Loop: Header=BB4_7680 Depth=3
	v_cmp_ne_u64_e32 vcc, 0, v[1:2]
                                        ; implicit-def: $vgpr35
	s_and_saveexec_b64 s[30:31], vcc
	s_xor_b64 vcc, exec, s[30:31]
; %bb.9264:                             ;   in Loop: Header=BB4_7680 Depth=3
	v_or_b32_sdwa v35, v3, s47 dst_sel:DWORD dst_unused:UNUSED_PAD src0_sel:BYTE_3 src1_sel:DWORD
                                        ; implicit-def: $vgpr3
; %bb.9265:                             ;   in Loop: Header=BB4_7680 Depth=3
	s_andn2_saveexec_b64 s[30:31], vcc
; %bb.9266:                             ;   in Loop: Header=BB4_7680 Depth=3
	v_cmp_lt_i32_e32 vcc, -1, v3
	v_bfrev_b32_e32 v1, 0.5
	v_cndmask_b32_e32 v35, v1, v52, vcc
; %bb.9267:                             ;   in Loop: Header=BB4_7680 Depth=3
	s_or_b64 exec, exec, s[30:31]
.LBB4_9268:                             ;   in Loop: Header=BB4_7680 Depth=3
	s_or_b64 exec, exec, s[28:29]
	v_cmp_lt_u32_e32 vcc, s57, v0
	v_mov_b32_e32 v2, 0
	v_mov_b32_e32 v3, 0
	s_and_saveexec_b64 s[28:29], vcc
	s_cbranch_execz .LBB4_9276
; %bb.9269:                             ;   in Loop: Header=BB4_7680 Depth=3
	v_lshrrev_b32_e32 v1, 24, v0
	v_cmp_ne_u32_e32 vcc, s96, v1
	v_bfrev_b32_e32 v3, 1
	s_and_saveexec_b64 s[30:31], vcc
	s_cbranch_execz .LBB4_9275
; %bb.9270:                             ;   in Loop: Header=BB4_7680 Depth=3
	v_and_b32_e32 v3, 0x7c000000, v0
	v_bfe_u32 v39, v0, 24, 2
	v_cmp_ne_u32_e32 vcc, s45, v3
                                        ; implicit-def: $vgpr3
	s_and_saveexec_b64 s[34:35], vcc
	s_xor_b64 s[34:35], exec, s[34:35]
	s_cbranch_execz .LBB4_9272
; %bb.9271:                             ;   in Loop: Header=BB4_7680 Depth=3
	v_ffbh_u32_e32 v6, v39
	v_min_u32_e32 v28, 32, v6
	v_subrev_u32_e32 v6, 29, v28
	v_bfe_u32 v3, v0, 26, 5
	v_lshlrev_b64 v[6:7], v6, v[1:2]
	v_sub_u32_e32 v1, 30, v28
	v_cmp_eq_u32_e32 vcc, 0, v3
	v_and_b32_e32 v6, 3, v6
	v_cndmask_b32_e32 v1, v3, v1, vcc
	v_and_b32_e32 v0, 0x80000000, v0
	v_cndmask_b32_e32 v3, v39, v6, vcc
	v_lshl_add_u32 v0, v1, 23, v0
	v_lshl_or_b32 v0, v3, 21, v0
	v_add_u32_e32 v3, 0x38000000, v0
                                        ; implicit-def: $vgpr39
                                        ; implicit-def: $vgpr0_vgpr1
.LBB4_9272:                             ;   in Loop: Header=BB4_7680 Depth=3
	s_andn2_saveexec_b64 s[34:35], s[34:35]
; %bb.9273:                             ;   in Loop: Header=BB4_7680 Depth=3
	v_cmp_lt_i32_e32 vcc, -1, v0
	v_mov_b32_e32 v0, 0xff800000
	v_mov_b32_e32 v1, 0x7f800000
	v_cndmask_b32_e32 v0, v0, v1, vcc
	v_cmp_eq_u32_e32 vcc, 0, v39
	v_mov_b32_e32 v1, 0x7f800001
	v_cndmask_b32_e32 v3, v1, v0, vcc
; %bb.9274:                             ;   in Loop: Header=BB4_7680 Depth=3
	s_or_b64 exec, exec, s[34:35]
.LBB4_9275:                             ;   in Loop: Header=BB4_7680 Depth=3
	s_or_b64 exec, exec, s[30:31]
.LBB4_9276:                             ;   in Loop: Header=BB4_7680 Depth=3
	s_or_b64 exec, exec, s[28:29]
	v_cmp_lt_u32_e32 vcc, s57, v8
	s_and_saveexec_b64 s[28:29], vcc
	s_cbranch_execz .LBB4_9284
; %bb.9277:                             ;   in Loop: Header=BB4_7680 Depth=3
	v_lshrrev_b32_e32 v0, 24, v8
	v_cmp_ne_u32_e32 vcc, s96, v0
	v_bfrev_b32_e32 v2, 1
	s_and_saveexec_b64 s[30:31], vcc
	s_cbranch_execz .LBB4_9283
; %bb.9278:                             ;   in Loop: Header=BB4_7680 Depth=3
	v_and_b32_e32 v2, 0x7c000000, v8
	v_bfe_u32 v1, v8, 24, 2
	v_cmp_ne_u32_e32 vcc, s45, v2
                                        ; implicit-def: $vgpr2
	s_and_saveexec_b64 s[34:35], vcc
	s_xor_b64 s[34:35], exec, s[34:35]
	s_cbranch_execz .LBB4_9280
; %bb.9279:                             ;   in Loop: Header=BB4_7680 Depth=3
	v_ffbh_u32_e32 v6, v1
	v_min_u32_e32 v28, 32, v6
	v_subrev_u32_e32 v6, 29, v28
	v_bfe_u32 v2, v8, 26, 5
	v_lshlrev_b64 v[6:7], v6, v[0:1]
	v_sub_u32_e32 v0, 30, v28
	v_cmp_eq_u32_e32 vcc, 0, v2
	v_and_b32_e32 v6, 3, v6
	v_cndmask_b32_e32 v0, v2, v0, vcc
	v_and_b32_e32 v2, 0x80000000, v8
	v_cndmask_b32_e32 v1, v1, v6, vcc
	v_lshl_add_u32 v0, v0, 23, v2
	v_lshl_or_b32 v0, v1, 21, v0
	v_add_u32_e32 v2, 0x38000000, v0
                                        ; implicit-def: $vgpr1
.LBB4_9280:                             ;   in Loop: Header=BB4_7680 Depth=3
	s_andn2_saveexec_b64 s[34:35], s[34:35]
; %bb.9281:                             ;   in Loop: Header=BB4_7680 Depth=3
	v_cmp_lt_i32_e32 vcc, -1, v8
	v_mov_b32_e32 v0, 0xff800000
	v_mov_b32_e32 v2, 0x7f800000
	v_cndmask_b32_e32 v0, v0, v2, vcc
	v_cmp_eq_u32_e32 vcc, 0, v1
	v_mov_b32_e32 v1, 0x7f800001
	v_cndmask_b32_e32 v2, v1, v0, vcc
; %bb.9282:                             ;   in Loop: Header=BB4_7680 Depth=3
	s_or_b64 exec, exec, s[34:35]
.LBB4_9283:                             ;   in Loop: Header=BB4_7680 Depth=3
	s_or_b64 exec, exec, s[30:31]
.LBB4_9284:                             ;   in Loop: Header=BB4_7680 Depth=3
	s_or_b64 exec, exec, s[28:29]
	v_add_f32_e32 v2, v3, v2
	v_and_b32_e32 v6, 0x7f800000, v2
	v_mov_b32_e32 v7, v17
	v_cmp_ne_u64_e32 vcc, s[76:77], v[6:7]
	v_and_b32_e32 v0, 0x7fffff, v2
	v_mov_b32_e32 v1, v17
                                        ; implicit-def: $vgpr39
	s_and_saveexec_b64 s[28:29], vcc
	s_xor_b64 s[30:31], exec, s[28:29]
	s_cbranch_execz .LBB4_9298
; %bb.9285:                             ;   in Loop: Header=BB4_7680 Depth=3
	v_and_b32_e32 v6, 0x7fffffff, v2
	v_mov_b32_e32 v7, v17
	v_cmp_gt_u64_e32 vcc, s[78:79], v[6:7]
	v_and_b32_sdwa v3, v2, s96 dst_sel:DWORD dst_unused:UNUSED_PAD src0_sel:BYTE_3 src1_sel:DWORD
                                        ; implicit-def: $vgpr39
	s_and_saveexec_b64 s[28:29], vcc
	s_xor_b64 s[34:35], exec, s[28:29]
	s_cbranch_execz .LBB4_9295
; %bb.9286:                             ;   in Loop: Header=BB4_7680 Depth=3
	v_mov_b32_e32 v39, 0
	v_cmp_ne_u32_e32 vcc, 0, v2
	s_and_saveexec_b64 s[36:37], vcc
	s_cbranch_execz .LBB4_9294
; %bb.9287:                             ;   in Loop: Header=BB4_7680 Depth=3
	v_bfe_u32 v39, v2, 23, 8
	v_cmp_gt_u32_e64 s[28:29], s46, v39
	v_sub_u32_e32 v2, 0x71, v39
	v_cmp_eq_u32_e32 vcc, 0, v39
	v_cndmask_b32_e64 v2, 0, v2, s[28:29]
	v_mov_b32_e32 v7, 0x70
	v_cndmask_b32_e32 v53, v2, v7, vcc
	v_or_b32_e32 v6, 0x800000, v0
	v_add_u32_e32 v2, 21, v53
	v_cndmask_b32_e32 v0, v6, v0, vcc
	v_lshlrev_b64 v[6:7], v2, -1
	v_add_u32_e32 v2, 20, v53
	v_bfi_b32 v6, v6, 0, v0
	v_lshlrev_b64 v[48:49], v2, 1
	v_lshrrev_b64 v[0:1], v53, v[0:1]
	v_bfi_b32 v7, v7, 0, 0
	v_cmp_eq_u64_e64 s[28:29], v[6:7], v[48:49]
	v_mov_b32_e32 v2, v1
	v_mov_b32_e32 v1, v0
	s_and_saveexec_b64 s[38:39], s[28:29]
; %bb.9288:                             ;   in Loop: Header=BB4_7680 Depth=3
	v_bfe_u32 v1, v0, 21, 1
	v_add_co_u32_e64 v1, s[28:29], v0, v1
	v_add_co_u32_e64 v1, s[28:29], -1, v1
; %bb.9289:                             ;   in Loop: Header=BB4_7680 Depth=3
	s_or_b64 exec, exec, s[38:39]
	v_add_u32_e32 v2, 0xffffff81, v39
	v_mov_b32_e32 v6, 0xffffff82
	v_cndmask_b32_e32 v2, v2, v6, vcc
	v_lshrrev_b32_e32 v6, 23, v0
	v_add3_u32 v53, v53, v2, v6
	v_add_u32_e32 v39, 14, v53
	v_and_b32_e32 v1, 0x1fffff, v1
	v_add_u32_e32 v0, v1, v0
	v_mov_b32_e32 v1, v17
	v_cmp_ne_u32_e32 vcc, 0, v39
                                        ; implicit-def: $vgpr2
	s_and_saveexec_b64 s[28:29], vcc
	s_xor_b64 s[28:29], exec, s[28:29]
; %bb.9290:                             ;   in Loop: Header=BB4_7680 Depth=3
	v_cmp_lt_u64_e32 vcc, s[88:89], v[0:1]
	v_add_u32_e32 v2, 15, v53
	v_cndmask_b32_e64 v6, 0, 1, vcc
	v_lshrrev_b64 v[0:1], v6, v[0:1]
	v_cndmask_b32_e32 v2, v39, v2, vcc
; %bb.9291:                             ;   in Loop: Header=BB4_7680 Depth=3
	s_andn2_saveexec_b64 s[28:29], s[28:29]
; %bb.9292:                             ;   in Loop: Header=BB4_7680 Depth=3
	v_bfe_u32 v2, v0, 23, 1
; %bb.9293:                             ;   in Loop: Header=BB4_7680 Depth=3
	s_or_b64 exec, exec, s[28:29]
	v_lshrrev_b64 v[0:1], 21, v[0:1]
	v_cmp_gt_i32_e32 vcc, 32, v2
	v_cndmask_b32_e32 v1, 0, v1, vcc
	v_cndmask_b32_e32 v0, 3, v0, vcc
	v_cmp_eq_u64_e64 s[28:29], 0, v[0:1]
	v_min_i32_e32 v1, 31, v2
	v_lshlrev_b32_e32 v1, 2, v1
	v_cmp_eq_u32_e32 vcc, 0, v2
	v_and_b32_e32 v1, 0xfc, v1
	v_and_or_b32 v0, v0, 3, v1
	s_and_b64 s[28:29], vcc, s[28:29]
	v_cndmask_b32_e64 v0, v0, 0, s[28:29]
	v_or_b32_e32 v39, v0, v3
.LBB4_9294:                             ;   in Loop: Header=BB4_7680 Depth=3
	s_or_b64 exec, exec, s[36:37]
                                        ; implicit-def: $vgpr3
.LBB4_9295:                             ;   in Loop: Header=BB4_7680 Depth=3
	s_andn2_saveexec_b64 s[28:29], s[34:35]
; %bb.9296:                             ;   in Loop: Header=BB4_7680 Depth=3
	v_or_b32_e32 v39, 0x7b, v3
; %bb.9297:                             ;   in Loop: Header=BB4_7680 Depth=3
	s_or_b64 exec, exec, s[28:29]
                                        ; implicit-def: $vgpr2
                                        ; implicit-def: $vgpr0_vgpr1
.LBB4_9298:                             ;   in Loop: Header=BB4_7680 Depth=3
	s_andn2_saveexec_b64 s[28:29], s[30:31]
	s_cbranch_execz .LBB4_9304
; %bb.9299:                             ;   in Loop: Header=BB4_7680 Depth=3
	v_cmp_ne_u64_e32 vcc, 0, v[0:1]
                                        ; implicit-def: $vgpr39
	s_and_saveexec_b64 s[30:31], vcc
	s_xor_b64 vcc, exec, s[30:31]
; %bb.9300:                             ;   in Loop: Header=BB4_7680 Depth=3
	v_or_b32_sdwa v39, v2, s47 dst_sel:DWORD dst_unused:UNUSED_PAD src0_sel:BYTE_3 src1_sel:DWORD
                                        ; implicit-def: $vgpr2
; %bb.9301:                             ;   in Loop: Header=BB4_7680 Depth=3
	s_andn2_saveexec_b64 s[30:31], vcc
; %bb.9302:                             ;   in Loop: Header=BB4_7680 Depth=3
	v_cmp_lt_i32_e32 vcc, -1, v2
	v_bfrev_b32_e32 v0, 0.5
	v_cndmask_b32_e32 v39, v0, v52, vcc
; %bb.9303:                             ;   in Loop: Header=BB4_7680 Depth=3
	s_or_b64 exec, exec, s[30:31]
.LBB4_9304:                             ;   in Loop: Header=BB4_7680 Depth=3
	s_or_b64 exec, exec, s[28:29]
	v_lshl_or_b32 v30, v30, 8, v21
	v_lshlrev_b32_e32 v0, 16, v34
	v_lshlrev_b32_e32 v1, 24, v38
	v_or3_b32 v0, v0, v1, v30
	v_mov_b32_e32 v1, v17
	v_cmp_ne_u32_e32 vcc, 0, v21
	v_mov_b32_e32 v2, 0
	v_mov_b32_e32 v3, 0
	s_and_saveexec_b64 s[30:31], vcc
	s_cbranch_execz .LBB4_9312
; %bb.9305:                             ;   in Loop: Header=BB4_7680 Depth=3
	v_cmp_ne_u32_e32 vcc, s96, v21
	v_bfrev_b32_e32 v3, 1
	s_and_saveexec_b64 s[34:35], vcc
	s_cbranch_execz .LBB4_9311
; %bb.9306:                             ;   in Loop: Header=BB4_7680 Depth=3
	v_and_b32_e32 v3, 0x7c, v21
	v_and_b32_e32 v34, 3, v21
	v_cmp_ne_u32_e32 vcc, s85, v3
                                        ; implicit-def: $vgpr3
	s_and_saveexec_b64 s[28:29], vcc
	s_xor_b64 s[28:29], exec, s[28:29]
	s_cbranch_execz .LBB4_9308
; %bb.9307:                             ;   in Loop: Header=BB4_7680 Depth=3
	v_ffbh_u32_e32 v6, v34
	v_min_u32_e32 v28, 32, v6
	v_subrev_u32_e32 v6, 29, v28
	v_lshlrev_b64 v[6:7], v6, v[0:1]
	v_bfe_u32 v3, v21, 2, 5
	v_sub_u32_e32 v1, 30, v28
	v_and_b32_e32 v6, 3, v6
	v_cmp_eq_u32_e32 vcc, 0, v3
	v_cndmask_b32_e32 v1, v3, v1, vcc
	v_cndmask_b32_e32 v3, v34, v6, vcc
	v_lshlrev_b32_e32 v6, 24, v21
	v_and_b32_e32 v6, 0x80000000, v6
	v_lshl_add_u32 v1, v1, 23, v6
	v_lshl_or_b32 v1, v3, 21, v1
	v_add_u32_e32 v3, 0x38000000, v1
                                        ; implicit-def: $vgpr34
                                        ; implicit-def: $vgpr21
.LBB4_9308:                             ;   in Loop: Header=BB4_7680 Depth=3
	s_andn2_saveexec_b64 s[36:37], s[28:29]
; %bb.9309:                             ;   in Loop: Header=BB4_7680 Depth=3
	v_and_b32_e32 v1, 0x80, v21
	v_cmp_eq_u32_e64 s[28:29], 0, v1
	v_mov_b32_e32 v1, 0xff800000
	v_mov_b32_e32 v3, 0x7f800000
	v_cmp_eq_u32_e32 vcc, 0, v34
	v_cndmask_b32_e64 v1, v1, v3, s[28:29]
	v_mov_b32_e32 v3, 0x7f800001
	v_cndmask_b32_e32 v3, v3, v1, vcc
; %bb.9310:                             ;   in Loop: Header=BB4_7680 Depth=3
	s_or_b64 exec, exec, s[36:37]
.LBB4_9311:                             ;   in Loop: Header=BB4_7680 Depth=3
	s_or_b64 exec, exec, s[34:35]
.LBB4_9312:                             ;   in Loop: Header=BB4_7680 Depth=3
	s_or_b64 exec, exec, s[30:31]
	v_cmp_ne_u16_sdwa vcc, v9, v17 src0_sel:BYTE_0 src1_sel:DWORD
	s_and_saveexec_b64 s[28:29], vcc
	s_cbranch_execz .LBB4_9320
; %bb.9313:                             ;   in Loop: Header=BB4_7680 Depth=3
	v_cmp_ne_u16_sdwa vcc, v9, s96 src0_sel:BYTE_0 src1_sel:DWORD
	v_bfrev_b32_e32 v2, 1
	s_and_saveexec_b64 s[30:31], vcc
	s_cbranch_execz .LBB4_9319
; %bb.9314:                             ;   in Loop: Header=BB4_7680 Depth=3
	v_and_b32_e32 v2, 0x7c, v9
	v_and_b32_e32 v1, 3, v9
	v_cmp_ne_u32_e32 vcc, s85, v2
                                        ; implicit-def: $vgpr2
	s_and_saveexec_b64 s[34:35], vcc
	s_xor_b64 s[34:35], exec, s[34:35]
	s_cbranch_execz .LBB4_9316
; %bb.9315:                             ;   in Loop: Header=BB4_7680 Depth=3
	v_ffbh_u32_e32 v21, v1
	v_min_u32_e32 v21, 32, v21
	v_mov_b32_e32 v6, v9
	v_mov_b32_e32 v7, v17
	v_subrev_u32_e32 v28, 29, v21
	v_lshlrev_b64 v[6:7], v28, v[6:7]
	v_bfe_u32 v2, v9, 2, 5
	v_and_b32_e32 v6, 3, v6
	v_cmp_eq_u32_e32 vcc, 0, v2
	v_sub_u32_e32 v7, 30, v21
	v_cndmask_b32_e32 v1, v1, v6, vcc
	v_lshlrev_b32_e32 v6, 24, v9
	v_cndmask_b32_e32 v2, v2, v7, vcc
	v_and_b32_e32 v6, 0x80000000, v6
	v_lshl_add_u32 v2, v2, 23, v6
	v_lshl_or_b32 v1, v1, 21, v2
	v_add_u32_e32 v2, 0x38000000, v1
                                        ; implicit-def: $vgpr1
.LBB4_9316:                             ;   in Loop: Header=BB4_7680 Depth=3
	s_andn2_saveexec_b64 s[34:35], s[34:35]
; %bb.9317:                             ;   in Loop: Header=BB4_7680 Depth=3
	v_mov_b32_e32 v2, -1
	v_cmp_gt_i16_sdwa vcc, sext(v9), v2 src0_sel:BYTE_0 src1_sel:DWORD
	v_mov_b32_e32 v2, 0xff800000
	v_mov_b32_e32 v6, 0x7f800000
	v_cndmask_b32_e32 v2, v2, v6, vcc
	v_cmp_eq_u32_e32 vcc, 0, v1
	v_mov_b32_e32 v1, 0x7f800001
	v_cndmask_b32_e32 v2, v1, v2, vcc
; %bb.9318:                             ;   in Loop: Header=BB4_7680 Depth=3
	s_or_b64 exec, exec, s[34:35]
.LBB4_9319:                             ;   in Loop: Header=BB4_7680 Depth=3
	s_or_b64 exec, exec, s[30:31]
.LBB4_9320:                             ;   in Loop: Header=BB4_7680 Depth=3
	s_or_b64 exec, exec, s[28:29]
	v_add_f32_e32 v3, v3, v2
	v_and_b32_e32 v6, 0x7f800000, v3
	v_mov_b32_e32 v7, v17
	v_cmp_ne_u64_e32 vcc, s[76:77], v[6:7]
	v_and_b32_e32 v1, 0x7fffff, v3
	v_mov_b32_e32 v2, v17
                                        ; implicit-def: $vgpr21
	s_and_saveexec_b64 s[28:29], vcc
	s_xor_b64 s[30:31], exec, s[28:29]
	s_cbranch_execz .LBB4_9334
; %bb.9321:                             ;   in Loop: Header=BB4_7680 Depth=3
	v_and_b32_e32 v6, 0x7fffffff, v3
	v_mov_b32_e32 v7, v17
	v_cmp_gt_u64_e32 vcc, s[78:79], v[6:7]
	v_and_b32_sdwa v34, v3, s96 dst_sel:DWORD dst_unused:UNUSED_PAD src0_sel:BYTE_3 src1_sel:DWORD
                                        ; implicit-def: $vgpr21
	s_and_saveexec_b64 s[28:29], vcc
	s_xor_b64 s[34:35], exec, s[28:29]
	s_cbranch_execz .LBB4_9331
; %bb.9322:                             ;   in Loop: Header=BB4_7680 Depth=3
	v_mov_b32_e32 v21, 0
	v_cmp_ne_u32_e32 vcc, 0, v3
	s_and_saveexec_b64 s[36:37], vcc
	s_cbranch_execz .LBB4_9330
; %bb.9323:                             ;   in Loop: Header=BB4_7680 Depth=3
	v_bfe_u32 v21, v3, 23, 8
	v_cmp_gt_u32_e64 s[28:29], s46, v21
	v_sub_u32_e32 v3, 0x71, v21
	v_cmp_eq_u32_e32 vcc, 0, v21
	v_cndmask_b32_e64 v3, 0, v3, s[28:29]
	v_mov_b32_e32 v7, 0x70
	v_cndmask_b32_e32 v38, v3, v7, vcc
	v_or_b32_e32 v6, 0x800000, v1
	v_add_u32_e32 v3, 21, v38
	v_cndmask_b32_e32 v1, v6, v1, vcc
	v_lshlrev_b64 v[6:7], v3, -1
	v_add_u32_e32 v3, 20, v38
	v_bfi_b32 v6, v6, 0, v1
	v_lshlrev_b64 v[48:49], v3, 1
	v_lshrrev_b64 v[1:2], v38, v[1:2]
	v_bfi_b32 v7, v7, 0, 0
	v_cmp_eq_u64_e64 s[28:29], v[6:7], v[48:49]
	v_mov_b32_e32 v3, v2
	v_mov_b32_e32 v2, v1
	s_and_saveexec_b64 s[38:39], s[28:29]
; %bb.9324:                             ;   in Loop: Header=BB4_7680 Depth=3
	v_bfe_u32 v2, v1, 21, 1
	v_add_co_u32_e64 v2, s[28:29], v1, v2
	v_add_co_u32_e64 v2, s[28:29], -1, v2
; %bb.9325:                             ;   in Loop: Header=BB4_7680 Depth=3
	s_or_b64 exec, exec, s[38:39]
	v_add_u32_e32 v3, 0xffffff81, v21
	v_mov_b32_e32 v6, 0xffffff82
	v_cndmask_b32_e32 v3, v3, v6, vcc
	v_lshrrev_b32_e32 v6, 23, v1
	v_add3_u32 v38, v38, v3, v6
	v_add_u32_e32 v21, 14, v38
	v_and_b32_e32 v2, 0x1fffff, v2
	v_add_u32_e32 v1, v2, v1
	v_mov_b32_e32 v2, v17
	v_cmp_ne_u32_e32 vcc, 0, v21
                                        ; implicit-def: $vgpr3
	s_and_saveexec_b64 s[28:29], vcc
	s_xor_b64 s[28:29], exec, s[28:29]
; %bb.9326:                             ;   in Loop: Header=BB4_7680 Depth=3
	v_cmp_lt_u64_e32 vcc, s[88:89], v[1:2]
	v_add_u32_e32 v3, 15, v38
	v_cndmask_b32_e64 v6, 0, 1, vcc
	v_lshrrev_b64 v[1:2], v6, v[1:2]
	v_cndmask_b32_e32 v3, v21, v3, vcc
; %bb.9327:                             ;   in Loop: Header=BB4_7680 Depth=3
	s_andn2_saveexec_b64 s[28:29], s[28:29]
; %bb.9328:                             ;   in Loop: Header=BB4_7680 Depth=3
	v_bfe_u32 v3, v1, 23, 1
; %bb.9329:                             ;   in Loop: Header=BB4_7680 Depth=3
	s_or_b64 exec, exec, s[28:29]
	v_lshrrev_b64 v[1:2], 21, v[1:2]
	v_cmp_gt_i32_e32 vcc, 32, v3
	v_cndmask_b32_e32 v2, 0, v2, vcc
	v_cndmask_b32_e32 v1, 3, v1, vcc
	v_cmp_eq_u64_e64 s[28:29], 0, v[1:2]
	v_min_i32_e32 v2, 31, v3
	v_lshlrev_b32_e32 v2, 2, v2
	v_cmp_eq_u32_e32 vcc, 0, v3
	v_and_b32_e32 v2, 0xfc, v2
	v_and_or_b32 v1, v1, 3, v2
	s_and_b64 s[28:29], vcc, s[28:29]
	v_cndmask_b32_e64 v1, v1, 0, s[28:29]
	v_or_b32_e32 v21, v1, v34
.LBB4_9330:                             ;   in Loop: Header=BB4_7680 Depth=3
	s_or_b64 exec, exec, s[36:37]
                                        ; implicit-def: $vgpr34
.LBB4_9331:                             ;   in Loop: Header=BB4_7680 Depth=3
	s_andn2_saveexec_b64 s[28:29], s[34:35]
; %bb.9332:                             ;   in Loop: Header=BB4_7680 Depth=3
	v_or_b32_e32 v21, 0x7b, v34
; %bb.9333:                             ;   in Loop: Header=BB4_7680 Depth=3
	s_or_b64 exec, exec, s[28:29]
                                        ; implicit-def: $vgpr3
                                        ; implicit-def: $vgpr1_vgpr2
.LBB4_9334:                             ;   in Loop: Header=BB4_7680 Depth=3
	s_andn2_saveexec_b64 s[28:29], s[30:31]
	s_cbranch_execz .LBB4_9340
; %bb.9335:                             ;   in Loop: Header=BB4_7680 Depth=3
	v_cmp_ne_u64_e32 vcc, 0, v[1:2]
                                        ; implicit-def: $vgpr21
	s_and_saveexec_b64 s[30:31], vcc
	s_xor_b64 vcc, exec, s[30:31]
; %bb.9336:                             ;   in Loop: Header=BB4_7680 Depth=3
	v_or_b32_sdwa v21, v3, s47 dst_sel:DWORD dst_unused:UNUSED_PAD src0_sel:BYTE_3 src1_sel:DWORD
                                        ; implicit-def: $vgpr3
; %bb.9337:                             ;   in Loop: Header=BB4_7680 Depth=3
	s_andn2_saveexec_b64 s[30:31], vcc
; %bb.9338:                             ;   in Loop: Header=BB4_7680 Depth=3
	v_cmp_lt_i32_e32 vcc, -1, v3
	v_bfrev_b32_e32 v1, 0.5
	v_cndmask_b32_e32 v21, v1, v52, vcc
; %bb.9339:                             ;   in Loop: Header=BB4_7680 Depth=3
	s_or_b64 exec, exec, s[30:31]
.LBB4_9340:                             ;   in Loop: Header=BB4_7680 Depth=3
	s_or_b64 exec, exec, s[28:29]
	v_lshrrev_b16_e32 v1, 8, v30
	v_cmp_ne_u16_e32 vcc, 0, v1
	v_mov_b32_e32 v3, 0
	v_mov_b32_e32 v34, 0
	s_and_saveexec_b64 s[28:29], vcc
	s_cbranch_execz .LBB4_9348
; %bb.9341:                             ;   in Loop: Header=BB4_7680 Depth=3
	v_cmp_ne_u16_e32 vcc, s96, v1
	v_bfrev_b32_e32 v34, 1
	s_and_saveexec_b64 s[30:31], vcc
	s_cbranch_execz .LBB4_9347
; %bb.9342:                             ;   in Loop: Header=BB4_7680 Depth=3
	v_and_b32_e32 v2, 0x7c, v1
	v_and_b32_e32 v38, 3, v1
	v_cmp_ne_u32_e32 vcc, s85, v2
                                        ; implicit-def: $vgpr34
	s_and_saveexec_b64 s[34:35], vcc
	s_xor_b64 s[34:35], exec, s[34:35]
	s_cbranch_execz .LBB4_9344
; %bb.9343:                             ;   in Loop: Header=BB4_7680 Depth=3
	v_ffbh_u32_e32 v7, v38
	v_min_u32_e32 v7, 32, v7
	v_mov_b32_e32 v2, v17
	v_subrev_u32_e32 v28, 29, v7
	v_bfe_u32 v6, v1, 2, 5
	v_lshlrev_b64 v[1:2], v28, v[1:2]
	v_sub_u32_e32 v2, 30, v7
	v_cmp_eq_u32_e32 vcc, 0, v6
	v_cndmask_b32_e32 v2, v6, v2, vcc
	v_lshlrev_b32_e32 v6, 16, v30
	v_and_b32_e32 v1, 3, v1
	v_and_b32_e32 v6, 0x80000000, v6
	v_cndmask_b32_e32 v1, v38, v1, vcc
	v_lshl_add_u32 v2, v2, 23, v6
	v_lshl_or_b32 v1, v1, 21, v2
	v_add_u32_e32 v34, 0x38000000, v1
                                        ; implicit-def: $vgpr38
                                        ; implicit-def: $vgpr30
.LBB4_9344:                             ;   in Loop: Header=BB4_7680 Depth=3
	s_andn2_saveexec_b64 s[34:35], s[34:35]
; %bb.9345:                             ;   in Loop: Header=BB4_7680 Depth=3
	v_cmp_lt_i16_e32 vcc, -1, v30
	v_mov_b32_e32 v1, 0xff800000
	v_mov_b32_e32 v2, 0x7f800000
	v_cndmask_b32_e32 v1, v1, v2, vcc
	v_cmp_eq_u32_e32 vcc, 0, v38
	v_mov_b32_e32 v2, 0x7f800001
	v_cndmask_b32_e32 v34, v2, v1, vcc
; %bb.9346:                             ;   in Loop: Header=BB4_7680 Depth=3
	s_or_b64 exec, exec, s[34:35]
.LBB4_9347:                             ;   in Loop: Header=BB4_7680 Depth=3
	s_or_b64 exec, exec, s[30:31]
.LBB4_9348:                             ;   in Loop: Header=BB4_7680 Depth=3
	s_or_b64 exec, exec, s[28:29]
	v_lshrrev_b16_e32 v1, 8, v9
	v_cmp_ne_u16_e32 vcc, 0, v1
	s_and_saveexec_b64 s[28:29], vcc
	s_cbranch_execz .LBB4_9356
; %bb.9349:                             ;   in Loop: Header=BB4_7680 Depth=3
	v_cmp_ne_u16_e32 vcc, s96, v1
	v_bfrev_b32_e32 v3, 1
	s_and_saveexec_b64 s[30:31], vcc
	s_cbranch_execz .LBB4_9355
; %bb.9350:                             ;   in Loop: Header=BB4_7680 Depth=3
	v_and_b32_e32 v2, 0x7c, v1
	v_and_b32_e32 v30, 3, v1
	v_cmp_ne_u32_e32 vcc, s85, v2
                                        ; implicit-def: $vgpr3
	s_and_saveexec_b64 s[34:35], vcc
	s_xor_b64 s[34:35], exec, s[34:35]
	s_cbranch_execz .LBB4_9352
; %bb.9351:                             ;   in Loop: Header=BB4_7680 Depth=3
	v_ffbh_u32_e32 v6, v30
	v_min_u32_e32 v6, 32, v6
	v_mov_b32_e32 v2, v17
	v_subrev_u32_e32 v7, 29, v6
	v_bfe_u32 v3, v1, 2, 5
	v_lshlrev_b64 v[1:2], v7, v[1:2]
	v_sub_u32_e32 v2, 30, v6
	v_cmp_eq_u32_e32 vcc, 0, v3
	v_cndmask_b32_e32 v2, v3, v2, vcc
	v_lshlrev_b32_e32 v3, 16, v9
	v_and_b32_e32 v1, 3, v1
	v_and_b32_e32 v3, 0x80000000, v3
	v_cndmask_b32_e32 v1, v30, v1, vcc
	v_lshl_add_u32 v2, v2, 23, v3
	v_lshl_or_b32 v1, v1, 21, v2
	v_add_u32_e32 v3, 0x38000000, v1
                                        ; implicit-def: $vgpr30
.LBB4_9352:                             ;   in Loop: Header=BB4_7680 Depth=3
	s_andn2_saveexec_b64 s[34:35], s[34:35]
; %bb.9353:                             ;   in Loop: Header=BB4_7680 Depth=3
	v_cmp_lt_i16_e32 vcc, -1, v9
	v_mov_b32_e32 v1, 0xff800000
	v_mov_b32_e32 v2, 0x7f800000
	v_cndmask_b32_e32 v1, v1, v2, vcc
	v_cmp_eq_u32_e32 vcc, 0, v30
	v_mov_b32_e32 v2, 0x7f800001
	v_cndmask_b32_e32 v3, v2, v1, vcc
; %bb.9354:                             ;   in Loop: Header=BB4_7680 Depth=3
	s_or_b64 exec, exec, s[34:35]
.LBB4_9355:                             ;   in Loop: Header=BB4_7680 Depth=3
	s_or_b64 exec, exec, s[30:31]
.LBB4_9356:                             ;   in Loop: Header=BB4_7680 Depth=3
	s_or_b64 exec, exec, s[28:29]
	v_add_f32_e32 v3, v34, v3
	v_and_b32_e32 v6, 0x7f800000, v3
	v_mov_b32_e32 v7, v17
	v_cmp_ne_u64_e32 vcc, s[76:77], v[6:7]
	v_and_b32_e32 v1, 0x7fffff, v3
	v_mov_b32_e32 v2, v17
                                        ; implicit-def: $vgpr30
	s_and_saveexec_b64 s[28:29], vcc
	s_xor_b64 s[30:31], exec, s[28:29]
	s_cbranch_execz .LBB4_9370
; %bb.9357:                             ;   in Loop: Header=BB4_7680 Depth=3
	v_and_b32_e32 v6, 0x7fffffff, v3
	v_mov_b32_e32 v7, v17
	v_cmp_gt_u64_e32 vcc, s[78:79], v[6:7]
	v_and_b32_sdwa v34, v3, s96 dst_sel:DWORD dst_unused:UNUSED_PAD src0_sel:BYTE_3 src1_sel:DWORD
                                        ; implicit-def: $vgpr30
	s_and_saveexec_b64 s[28:29], vcc
	s_xor_b64 s[34:35], exec, s[28:29]
	s_cbranch_execz .LBB4_9367
; %bb.9358:                             ;   in Loop: Header=BB4_7680 Depth=3
	v_mov_b32_e32 v30, 0
	v_cmp_ne_u32_e32 vcc, 0, v3
	s_and_saveexec_b64 s[36:37], vcc
	s_cbranch_execz .LBB4_9366
; %bb.9359:                             ;   in Loop: Header=BB4_7680 Depth=3
	v_bfe_u32 v30, v3, 23, 8
	v_cmp_gt_u32_e64 s[28:29], s46, v30
	v_sub_u32_e32 v3, 0x71, v30
	v_cmp_eq_u32_e32 vcc, 0, v30
	v_cndmask_b32_e64 v3, 0, v3, s[28:29]
	v_mov_b32_e32 v7, 0x70
	v_cndmask_b32_e32 v38, v3, v7, vcc
	v_or_b32_e32 v6, 0x800000, v1
	v_add_u32_e32 v3, 21, v38
	v_cndmask_b32_e32 v1, v6, v1, vcc
	v_lshlrev_b64 v[6:7], v3, -1
	v_add_u32_e32 v3, 20, v38
	v_bfi_b32 v6, v6, 0, v1
	v_lshlrev_b64 v[48:49], v3, 1
	v_lshrrev_b64 v[1:2], v38, v[1:2]
	v_bfi_b32 v7, v7, 0, 0
	v_cmp_eq_u64_e64 s[28:29], v[6:7], v[48:49]
	v_mov_b32_e32 v3, v2
	v_mov_b32_e32 v2, v1
	s_and_saveexec_b64 s[38:39], s[28:29]
; %bb.9360:                             ;   in Loop: Header=BB4_7680 Depth=3
	v_bfe_u32 v2, v1, 21, 1
	v_add_co_u32_e64 v2, s[28:29], v1, v2
	v_add_co_u32_e64 v2, s[28:29], -1, v2
; %bb.9361:                             ;   in Loop: Header=BB4_7680 Depth=3
	s_or_b64 exec, exec, s[38:39]
	v_add_u32_e32 v3, 0xffffff81, v30
	v_mov_b32_e32 v6, 0xffffff82
	v_cndmask_b32_e32 v3, v3, v6, vcc
	v_lshrrev_b32_e32 v6, 23, v1
	v_add3_u32 v38, v38, v3, v6
	v_add_u32_e32 v30, 14, v38
	v_and_b32_e32 v2, 0x1fffff, v2
	v_add_u32_e32 v1, v2, v1
	v_mov_b32_e32 v2, v17
	v_cmp_ne_u32_e32 vcc, 0, v30
                                        ; implicit-def: $vgpr3
	s_and_saveexec_b64 s[28:29], vcc
	s_xor_b64 s[28:29], exec, s[28:29]
; %bb.9362:                             ;   in Loop: Header=BB4_7680 Depth=3
	v_cmp_lt_u64_e32 vcc, s[88:89], v[1:2]
	v_add_u32_e32 v3, 15, v38
	v_cndmask_b32_e64 v6, 0, 1, vcc
	v_lshrrev_b64 v[1:2], v6, v[1:2]
	v_cndmask_b32_e32 v3, v30, v3, vcc
; %bb.9363:                             ;   in Loop: Header=BB4_7680 Depth=3
	s_andn2_saveexec_b64 s[28:29], s[28:29]
; %bb.9364:                             ;   in Loop: Header=BB4_7680 Depth=3
	v_bfe_u32 v3, v1, 23, 1
; %bb.9365:                             ;   in Loop: Header=BB4_7680 Depth=3
	s_or_b64 exec, exec, s[28:29]
	v_lshrrev_b64 v[1:2], 21, v[1:2]
	v_cmp_gt_i32_e32 vcc, 32, v3
	v_cndmask_b32_e32 v2, 0, v2, vcc
	v_cndmask_b32_e32 v1, 3, v1, vcc
	v_cmp_eq_u64_e64 s[28:29], 0, v[1:2]
	v_min_i32_e32 v2, 31, v3
	v_lshlrev_b32_e32 v2, 2, v2
	v_cmp_eq_u32_e32 vcc, 0, v3
	v_and_b32_e32 v2, 0xfc, v2
	v_and_or_b32 v1, v1, 3, v2
	s_and_b64 s[28:29], vcc, s[28:29]
	v_cndmask_b32_e64 v1, v1, 0, s[28:29]
	v_or_b32_e32 v30, v1, v34
.LBB4_9366:                             ;   in Loop: Header=BB4_7680 Depth=3
	s_or_b64 exec, exec, s[36:37]
                                        ; implicit-def: $vgpr34
.LBB4_9367:                             ;   in Loop: Header=BB4_7680 Depth=3
	s_andn2_saveexec_b64 s[28:29], s[34:35]
; %bb.9368:                             ;   in Loop: Header=BB4_7680 Depth=3
	v_or_b32_e32 v30, 0x7b, v34
; %bb.9369:                             ;   in Loop: Header=BB4_7680 Depth=3
	s_or_b64 exec, exec, s[28:29]
                                        ; implicit-def: $vgpr3
                                        ; implicit-def: $vgpr1_vgpr2
.LBB4_9370:                             ;   in Loop: Header=BB4_7680 Depth=3
	s_andn2_saveexec_b64 s[28:29], s[30:31]
	s_cbranch_execz .LBB4_9376
; %bb.9371:                             ;   in Loop: Header=BB4_7680 Depth=3
	v_cmp_ne_u64_e32 vcc, 0, v[1:2]
                                        ; implicit-def: $vgpr30
	s_and_saveexec_b64 s[30:31], vcc
	s_xor_b64 vcc, exec, s[30:31]
; %bb.9372:                             ;   in Loop: Header=BB4_7680 Depth=3
	v_or_b32_sdwa v30, v3, s47 dst_sel:DWORD dst_unused:UNUSED_PAD src0_sel:BYTE_3 src1_sel:DWORD
                                        ; implicit-def: $vgpr3
; %bb.9373:                             ;   in Loop: Header=BB4_7680 Depth=3
	s_andn2_saveexec_b64 s[30:31], vcc
; %bb.9374:                             ;   in Loop: Header=BB4_7680 Depth=3
	v_cmp_lt_i32_e32 vcc, -1, v3
	v_bfrev_b32_e32 v1, 0.5
	v_cndmask_b32_e32 v30, v1, v52, vcc
; %bb.9375:                             ;   in Loop: Header=BB4_7680 Depth=3
	s_or_b64 exec, exec, s[30:31]
.LBB4_9376:                             ;   in Loop: Header=BB4_7680 Depth=3
	s_or_b64 exec, exec, s[28:29]
	v_and_b32_sdwa v34, v0, s87 dst_sel:DWORD dst_unused:UNUSED_PAD src0_sel:WORD_1 src1_sel:DWORD
	v_lshrrev_b32_e32 v1, 16, v0
	v_cmp_ne_u16_e32 vcc, 0, v34
	v_mov_b32_e32 v2, 0
	v_mov_b32_e32 v3, 0
	s_and_saveexec_b64 s[28:29], vcc
	s_cbranch_execz .LBB4_9384
; %bb.9377:                             ;   in Loop: Header=BB4_7680 Depth=3
	v_cmp_ne_u16_e32 vcc, s96, v34
	v_bfrev_b32_e32 v3, 1
	s_and_saveexec_b64 s[30:31], vcc
	s_cbranch_execz .LBB4_9383
; %bb.9378:                             ;   in Loop: Header=BB4_7680 Depth=3
	v_and_b32_e32 v3, 0x7c0000, v0
	v_bfe_u32 v34, v0, 16, 2
	v_cmp_ne_u32_e32 vcc, s44, v3
                                        ; implicit-def: $vgpr3
	s_and_saveexec_b64 s[34:35], vcc
	s_xor_b64 s[34:35], exec, s[34:35]
	s_cbranch_execz .LBB4_9380
; %bb.9379:                             ;   in Loop: Header=BB4_7680 Depth=3
	v_ffbh_u32_e32 v6, v34
	v_min_u32_e32 v28, 32, v6
	v_subrev_u32_e32 v6, 29, v28
	v_lshlrev_b64 v[6:7], v6, v[1:2]
	v_bfe_u32 v3, v0, 18, 5
	v_sub_u32_e32 v1, 30, v28
	v_and_b32_e32 v6, 3, v6
	v_cmp_eq_u32_e32 vcc, 0, v3
	v_cndmask_b32_e32 v1, v3, v1, vcc
	v_cndmask_b32_e32 v3, v34, v6, vcc
	v_lshlrev_b32_e32 v6, 8, v0
	v_and_b32_e32 v6, 0x80000000, v6
	v_lshl_add_u32 v1, v1, 23, v6
	v_lshl_or_b32 v1, v3, 21, v1
	v_add_u32_e32 v3, 0x38000000, v1
                                        ; implicit-def: $vgpr34
                                        ; implicit-def: $vgpr1
.LBB4_9380:                             ;   in Loop: Header=BB4_7680 Depth=3
	s_andn2_saveexec_b64 s[34:35], s[34:35]
; %bb.9381:                             ;   in Loop: Header=BB4_7680 Depth=3
	v_mov_b32_e32 v3, -1
	v_cmp_gt_i16_sdwa vcc, sext(v1), v3 src0_sel:BYTE_0 src1_sel:DWORD
	v_mov_b32_e32 v1, 0xff800000
	v_mov_b32_e32 v3, 0x7f800000
	v_cndmask_b32_e32 v1, v1, v3, vcc
	v_cmp_eq_u32_e32 vcc, 0, v34
	v_mov_b32_e32 v3, 0x7f800001
	v_cndmask_b32_e32 v3, v3, v1, vcc
; %bb.9382:                             ;   in Loop: Header=BB4_7680 Depth=3
	s_or_b64 exec, exec, s[34:35]
.LBB4_9383:                             ;   in Loop: Header=BB4_7680 Depth=3
	s_or_b64 exec, exec, s[30:31]
.LBB4_9384:                             ;   in Loop: Header=BB4_7680 Depth=3
	s_or_b64 exec, exec, s[28:29]
	v_lshrrev_b32_e32 v1, 16, v9
	v_cmp_ne_u16_sdwa vcc, v1, v17 src0_sel:BYTE_0 src1_sel:DWORD
	s_and_saveexec_b64 s[28:29], vcc
	s_cbranch_execz .LBB4_9392
; %bb.9385:                             ;   in Loop: Header=BB4_7680 Depth=3
	v_cmp_ne_u16_sdwa vcc, v1, s96 src0_sel:BYTE_0 src1_sel:DWORD
	v_bfrev_b32_e32 v2, 1
	s_and_saveexec_b64 s[30:31], vcc
	s_cbranch_execz .LBB4_9391
; %bb.9386:                             ;   in Loop: Header=BB4_7680 Depth=3
	v_and_b32_e32 v2, 0x7c0000, v9
	v_bfe_u32 v34, v9, 16, 2
	v_cmp_ne_u32_e32 vcc, s44, v2
                                        ; implicit-def: $vgpr2
	s_and_saveexec_b64 s[34:35], vcc
	s_xor_b64 s[34:35], exec, s[34:35]
	s_cbranch_execz .LBB4_9388
; %bb.9387:                             ;   in Loop: Header=BB4_7680 Depth=3
	v_ffbh_u32_e32 v2, v34
	v_min_u32_e32 v7, 32, v2
	v_subrev_u32_e32 v2, 29, v7
	v_bfe_u32 v6, v9, 18, 5
	v_lshlrev_b64 v[1:2], v2, v[1:2]
	v_sub_u32_e32 v2, 30, v7
	v_cmp_eq_u32_e32 vcc, 0, v6
	v_cndmask_b32_e32 v2, v6, v2, vcc
	v_lshlrev_b32_e32 v6, 8, v9
	v_and_b32_e32 v1, 3, v1
	v_and_b32_e32 v6, 0x80000000, v6
	v_cndmask_b32_e32 v1, v34, v1, vcc
	v_lshl_add_u32 v2, v2, 23, v6
	v_lshl_or_b32 v1, v1, 21, v2
	v_add_u32_e32 v2, 0x38000000, v1
                                        ; implicit-def: $vgpr34
                                        ; implicit-def: $vgpr1
.LBB4_9388:                             ;   in Loop: Header=BB4_7680 Depth=3
	s_andn2_saveexec_b64 s[34:35], s[34:35]
; %bb.9389:                             ;   in Loop: Header=BB4_7680 Depth=3
	v_mov_b32_e32 v2, -1
	v_cmp_gt_i16_sdwa vcc, sext(v1), v2 src0_sel:BYTE_0 src1_sel:DWORD
	v_mov_b32_e32 v1, 0xff800000
	v_mov_b32_e32 v2, 0x7f800000
	v_cndmask_b32_e32 v1, v1, v2, vcc
	v_cmp_eq_u32_e32 vcc, 0, v34
	v_mov_b32_e32 v2, 0x7f800001
	v_cndmask_b32_e32 v2, v2, v1, vcc
; %bb.9390:                             ;   in Loop: Header=BB4_7680 Depth=3
	s_or_b64 exec, exec, s[34:35]
.LBB4_9391:                             ;   in Loop: Header=BB4_7680 Depth=3
	s_or_b64 exec, exec, s[30:31]
.LBB4_9392:                             ;   in Loop: Header=BB4_7680 Depth=3
	s_or_b64 exec, exec, s[28:29]
	v_add_f32_e32 v3, v3, v2
	v_and_b32_e32 v6, 0x7f800000, v3
	v_mov_b32_e32 v7, v17
	v_cmp_ne_u64_e32 vcc, s[76:77], v[6:7]
	v_and_b32_e32 v1, 0x7fffff, v3
	v_mov_b32_e32 v2, v17
                                        ; implicit-def: $vgpr34
	s_and_saveexec_b64 s[28:29], vcc
	s_xor_b64 s[30:31], exec, s[28:29]
	s_cbranch_execz .LBB4_9406
; %bb.9393:                             ;   in Loop: Header=BB4_7680 Depth=3
	v_and_b32_e32 v6, 0x7fffffff, v3
	v_mov_b32_e32 v7, v17
	v_cmp_gt_u64_e32 vcc, s[78:79], v[6:7]
	v_and_b32_sdwa v38, v3, s96 dst_sel:DWORD dst_unused:UNUSED_PAD src0_sel:BYTE_3 src1_sel:DWORD
                                        ; implicit-def: $vgpr34
	s_and_saveexec_b64 s[28:29], vcc
	s_xor_b64 s[34:35], exec, s[28:29]
	s_cbranch_execz .LBB4_9403
; %bb.9394:                             ;   in Loop: Header=BB4_7680 Depth=3
	v_mov_b32_e32 v34, 0
	v_cmp_ne_u32_e32 vcc, 0, v3
	s_and_saveexec_b64 s[36:37], vcc
	s_cbranch_execz .LBB4_9402
; %bb.9395:                             ;   in Loop: Header=BB4_7680 Depth=3
	v_bfe_u32 v34, v3, 23, 8
	v_cmp_gt_u32_e64 s[28:29], s46, v34
	v_sub_u32_e32 v3, 0x71, v34
	v_cmp_eq_u32_e32 vcc, 0, v34
	v_cndmask_b32_e64 v3, 0, v3, s[28:29]
	v_mov_b32_e32 v7, 0x70
	v_cndmask_b32_e32 v53, v3, v7, vcc
	v_or_b32_e32 v6, 0x800000, v1
	v_add_u32_e32 v3, 21, v53
	v_cndmask_b32_e32 v1, v6, v1, vcc
	v_lshlrev_b64 v[6:7], v3, -1
	v_add_u32_e32 v3, 20, v53
	v_bfi_b32 v6, v6, 0, v1
	v_lshlrev_b64 v[48:49], v3, 1
	v_lshrrev_b64 v[1:2], v53, v[1:2]
	v_bfi_b32 v7, v7, 0, 0
	v_cmp_eq_u64_e64 s[28:29], v[6:7], v[48:49]
	v_mov_b32_e32 v3, v2
	v_mov_b32_e32 v2, v1
	s_and_saveexec_b64 s[38:39], s[28:29]
; %bb.9396:                             ;   in Loop: Header=BB4_7680 Depth=3
	v_bfe_u32 v2, v1, 21, 1
	v_add_co_u32_e64 v2, s[28:29], v1, v2
	v_add_co_u32_e64 v2, s[28:29], -1, v2
; %bb.9397:                             ;   in Loop: Header=BB4_7680 Depth=3
	s_or_b64 exec, exec, s[38:39]
	v_add_u32_e32 v3, 0xffffff81, v34
	v_mov_b32_e32 v6, 0xffffff82
	v_cndmask_b32_e32 v3, v3, v6, vcc
	v_lshrrev_b32_e32 v6, 23, v1
	v_add3_u32 v53, v53, v3, v6
	v_add_u32_e32 v34, 14, v53
	v_and_b32_e32 v2, 0x1fffff, v2
	v_add_u32_e32 v1, v2, v1
	v_mov_b32_e32 v2, v17
	v_cmp_ne_u32_e32 vcc, 0, v34
                                        ; implicit-def: $vgpr3
	s_and_saveexec_b64 s[28:29], vcc
	s_xor_b64 s[28:29], exec, s[28:29]
; %bb.9398:                             ;   in Loop: Header=BB4_7680 Depth=3
	v_cmp_lt_u64_e32 vcc, s[88:89], v[1:2]
	v_add_u32_e32 v3, 15, v53
	v_cndmask_b32_e64 v6, 0, 1, vcc
	v_lshrrev_b64 v[1:2], v6, v[1:2]
	v_cndmask_b32_e32 v3, v34, v3, vcc
; %bb.9399:                             ;   in Loop: Header=BB4_7680 Depth=3
	s_andn2_saveexec_b64 s[28:29], s[28:29]
; %bb.9400:                             ;   in Loop: Header=BB4_7680 Depth=3
	v_bfe_u32 v3, v1, 23, 1
; %bb.9401:                             ;   in Loop: Header=BB4_7680 Depth=3
	s_or_b64 exec, exec, s[28:29]
	v_lshrrev_b64 v[1:2], 21, v[1:2]
	v_cmp_gt_i32_e32 vcc, 32, v3
	v_cndmask_b32_e32 v2, 0, v2, vcc
	v_cndmask_b32_e32 v1, 3, v1, vcc
	v_cmp_eq_u64_e64 s[28:29], 0, v[1:2]
	v_min_i32_e32 v2, 31, v3
	v_lshlrev_b32_e32 v2, 2, v2
	v_cmp_eq_u32_e32 vcc, 0, v3
	v_and_b32_e32 v2, 0xfc, v2
	v_and_or_b32 v1, v1, 3, v2
	s_and_b64 s[28:29], vcc, s[28:29]
	v_cndmask_b32_e64 v1, v1, 0, s[28:29]
	v_or_b32_e32 v34, v1, v38
.LBB4_9402:                             ;   in Loop: Header=BB4_7680 Depth=3
	s_or_b64 exec, exec, s[36:37]
                                        ; implicit-def: $vgpr38
.LBB4_9403:                             ;   in Loop: Header=BB4_7680 Depth=3
	s_andn2_saveexec_b64 s[28:29], s[34:35]
; %bb.9404:                             ;   in Loop: Header=BB4_7680 Depth=3
	v_or_b32_e32 v34, 0x7b, v38
; %bb.9405:                             ;   in Loop: Header=BB4_7680 Depth=3
	s_or_b64 exec, exec, s[28:29]
                                        ; implicit-def: $vgpr3
                                        ; implicit-def: $vgpr1_vgpr2
.LBB4_9406:                             ;   in Loop: Header=BB4_7680 Depth=3
	s_andn2_saveexec_b64 s[28:29], s[30:31]
	s_cbranch_execz .LBB4_9412
; %bb.9407:                             ;   in Loop: Header=BB4_7680 Depth=3
	v_cmp_ne_u64_e32 vcc, 0, v[1:2]
                                        ; implicit-def: $vgpr34
	s_and_saveexec_b64 s[30:31], vcc
	s_xor_b64 vcc, exec, s[30:31]
; %bb.9408:                             ;   in Loop: Header=BB4_7680 Depth=3
	v_or_b32_sdwa v34, v3, s47 dst_sel:DWORD dst_unused:UNUSED_PAD src0_sel:BYTE_3 src1_sel:DWORD
                                        ; implicit-def: $vgpr3
; %bb.9409:                             ;   in Loop: Header=BB4_7680 Depth=3
	s_andn2_saveexec_b64 s[30:31], vcc
; %bb.9410:                             ;   in Loop: Header=BB4_7680 Depth=3
	v_cmp_lt_i32_e32 vcc, -1, v3
	v_bfrev_b32_e32 v1, 0.5
	v_cndmask_b32_e32 v34, v1, v52, vcc
; %bb.9411:                             ;   in Loop: Header=BB4_7680 Depth=3
	s_or_b64 exec, exec, s[30:31]
.LBB4_9412:                             ;   in Loop: Header=BB4_7680 Depth=3
	s_or_b64 exec, exec, s[28:29]
	v_cmp_lt_u32_e32 vcc, s57, v0
	v_mov_b32_e32 v2, 0
	v_mov_b32_e32 v3, 0
	s_and_saveexec_b64 s[28:29], vcc
	s_cbranch_execz .LBB4_9420
; %bb.9413:                             ;   in Loop: Header=BB4_7680 Depth=3
	v_lshrrev_b32_e32 v1, 24, v0
	v_cmp_ne_u32_e32 vcc, s96, v1
	v_bfrev_b32_e32 v3, 1
	s_and_saveexec_b64 s[30:31], vcc
	s_cbranch_execz .LBB4_9419
; %bb.9414:                             ;   in Loop: Header=BB4_7680 Depth=3
	v_and_b32_e32 v3, 0x7c000000, v0
	v_bfe_u32 v38, v0, 24, 2
	v_cmp_ne_u32_e32 vcc, s45, v3
                                        ; implicit-def: $vgpr3
	s_and_saveexec_b64 s[34:35], vcc
	s_xor_b64 s[34:35], exec, s[34:35]
	s_cbranch_execz .LBB4_9416
; %bb.9415:                             ;   in Loop: Header=BB4_7680 Depth=3
	v_ffbh_u32_e32 v6, v38
	v_min_u32_e32 v28, 32, v6
	v_subrev_u32_e32 v6, 29, v28
	v_bfe_u32 v3, v0, 26, 5
	v_lshlrev_b64 v[6:7], v6, v[1:2]
	v_sub_u32_e32 v1, 30, v28
	v_cmp_eq_u32_e32 vcc, 0, v3
	v_and_b32_e32 v6, 3, v6
	v_cndmask_b32_e32 v1, v3, v1, vcc
	v_and_b32_e32 v0, 0x80000000, v0
	v_cndmask_b32_e32 v3, v38, v6, vcc
	v_lshl_add_u32 v0, v1, 23, v0
	v_lshl_or_b32 v0, v3, 21, v0
	v_add_u32_e32 v3, 0x38000000, v0
                                        ; implicit-def: $vgpr38
                                        ; implicit-def: $vgpr0_vgpr1
.LBB4_9416:                             ;   in Loop: Header=BB4_7680 Depth=3
	s_andn2_saveexec_b64 s[34:35], s[34:35]
; %bb.9417:                             ;   in Loop: Header=BB4_7680 Depth=3
	v_cmp_lt_i32_e32 vcc, -1, v0
	v_mov_b32_e32 v0, 0xff800000
	v_mov_b32_e32 v1, 0x7f800000
	v_cndmask_b32_e32 v0, v0, v1, vcc
	v_cmp_eq_u32_e32 vcc, 0, v38
	v_mov_b32_e32 v1, 0x7f800001
	v_cndmask_b32_e32 v3, v1, v0, vcc
; %bb.9418:                             ;   in Loop: Header=BB4_7680 Depth=3
	s_or_b64 exec, exec, s[34:35]
.LBB4_9419:                             ;   in Loop: Header=BB4_7680 Depth=3
	s_or_b64 exec, exec, s[30:31]
.LBB4_9420:                             ;   in Loop: Header=BB4_7680 Depth=3
	s_or_b64 exec, exec, s[28:29]
	v_cmp_lt_u64_e32 vcc, s[56:57], v[8:9]
	s_and_saveexec_b64 s[28:29], vcc
	s_cbranch_execz .LBB4_9428
; %bb.9421:                             ;   in Loop: Header=BB4_7680 Depth=3
	v_lshrrev_b32_e32 v0, 24, v9
	v_cmp_ne_u32_e32 vcc, s96, v0
	v_bfrev_b32_e32 v2, 1
	s_and_saveexec_b64 s[30:31], vcc
	s_cbranch_execz .LBB4_9427
; %bb.9422:                             ;   in Loop: Header=BB4_7680 Depth=3
	v_and_b32_e32 v2, 0x7c000000, v9
	v_bfe_u32 v1, v9, 24, 2
	v_cmp_ne_u32_e32 vcc, s45, v2
                                        ; implicit-def: $vgpr2
	s_and_saveexec_b64 s[34:35], vcc
	s_xor_b64 s[34:35], exec, s[34:35]
	s_cbranch_execz .LBB4_9424
; %bb.9423:                             ;   in Loop: Header=BB4_7680 Depth=3
	v_ffbh_u32_e32 v6, v1
	v_min_u32_e32 v28, 32, v6
	v_subrev_u32_e32 v6, 29, v28
	v_bfe_u32 v2, v9, 26, 5
	v_lshlrev_b64 v[6:7], v6, v[0:1]
	v_sub_u32_e32 v0, 30, v28
	v_cmp_eq_u32_e32 vcc, 0, v2
	v_and_b32_e32 v6, 3, v6
	v_cndmask_b32_e32 v0, v2, v0, vcc
	v_and_b32_e32 v2, 0x80000000, v9
	v_cndmask_b32_e32 v1, v1, v6, vcc
	v_lshl_add_u32 v0, v0, 23, v2
	v_lshl_or_b32 v0, v1, 21, v0
	v_add_u32_e32 v2, 0x38000000, v0
                                        ; implicit-def: $vgpr1
.LBB4_9424:                             ;   in Loop: Header=BB4_7680 Depth=3
	s_andn2_saveexec_b64 s[34:35], s[34:35]
; %bb.9425:                             ;   in Loop: Header=BB4_7680 Depth=3
	v_cmp_lt_i64_e32 vcc, -1, v[8:9]
	v_mov_b32_e32 v0, 0xff800000
	v_mov_b32_e32 v2, 0x7f800000
	v_cndmask_b32_e32 v0, v0, v2, vcc
	v_cmp_eq_u32_e32 vcc, 0, v1
	v_mov_b32_e32 v1, 0x7f800001
	v_cndmask_b32_e32 v2, v1, v0, vcc
; %bb.9426:                             ;   in Loop: Header=BB4_7680 Depth=3
	s_or_b64 exec, exec, s[34:35]
.LBB4_9427:                             ;   in Loop: Header=BB4_7680 Depth=3
	s_or_b64 exec, exec, s[30:31]
.LBB4_9428:                             ;   in Loop: Header=BB4_7680 Depth=3
	s_or_b64 exec, exec, s[28:29]
	v_add_f32_e32 v2, v3, v2
	v_and_b32_e32 v6, 0x7f800000, v2
	v_mov_b32_e32 v7, v17
	v_cmp_ne_u64_e32 vcc, s[76:77], v[6:7]
	v_and_b32_e32 v0, 0x7fffff, v2
	v_mov_b32_e32 v1, v17
                                        ; implicit-def: $vgpr8
	s_and_saveexec_b64 s[28:29], vcc
	s_xor_b64 s[30:31], exec, s[28:29]
	s_cbranch_execz .LBB4_9442
; %bb.9429:                             ;   in Loop: Header=BB4_7680 Depth=3
	v_and_b32_e32 v6, 0x7fffffff, v2
	v_mov_b32_e32 v7, v17
	v_cmp_gt_u64_e32 vcc, s[78:79], v[6:7]
	v_and_b32_sdwa v3, v2, s96 dst_sel:DWORD dst_unused:UNUSED_PAD src0_sel:BYTE_3 src1_sel:DWORD
                                        ; implicit-def: $vgpr8
	s_and_saveexec_b64 s[28:29], vcc
	s_xor_b64 s[34:35], exec, s[28:29]
	s_cbranch_execz .LBB4_9439
; %bb.9430:                             ;   in Loop: Header=BB4_7680 Depth=3
	v_mov_b32_e32 v8, 0
	v_cmp_ne_u32_e32 vcc, 0, v2
	s_and_saveexec_b64 s[36:37], vcc
	s_cbranch_execz .LBB4_9438
; %bb.9431:                             ;   in Loop: Header=BB4_7680 Depth=3
	v_bfe_u32 v8, v2, 23, 8
	v_cmp_gt_u32_e64 s[28:29], s46, v8
	v_sub_u32_e32 v2, 0x71, v8
	v_cmp_eq_u32_e32 vcc, 0, v8
	v_cndmask_b32_e64 v2, 0, v2, s[28:29]
	v_mov_b32_e32 v7, 0x70
	v_cndmask_b32_e32 v9, v2, v7, vcc
	v_or_b32_e32 v6, 0x800000, v0
	v_add_u32_e32 v2, 21, v9
	v_cndmask_b32_e32 v0, v6, v0, vcc
	v_lshlrev_b64 v[6:7], v2, -1
	v_add_u32_e32 v2, 20, v9
	v_bfi_b32 v6, v6, 0, v0
	v_lshlrev_b64 v[48:49], v2, 1
	v_lshrrev_b64 v[0:1], v9, v[0:1]
	v_bfi_b32 v7, v7, 0, 0
	v_cmp_eq_u64_e64 s[28:29], v[6:7], v[48:49]
	v_mov_b32_e32 v2, v1
	v_mov_b32_e32 v1, v0
	s_and_saveexec_b64 s[38:39], s[28:29]
; %bb.9432:                             ;   in Loop: Header=BB4_7680 Depth=3
	v_bfe_u32 v1, v0, 21, 1
	v_add_co_u32_e64 v1, s[28:29], v0, v1
	v_add_co_u32_e64 v1, s[28:29], -1, v1
; %bb.9433:                             ;   in Loop: Header=BB4_7680 Depth=3
	s_or_b64 exec, exec, s[38:39]
	v_add_u32_e32 v2, 0xffffff81, v8
	v_mov_b32_e32 v6, 0xffffff82
	v_cndmask_b32_e32 v2, v2, v6, vcc
	v_lshrrev_b32_e32 v6, 23, v0
	v_add3_u32 v9, v9, v2, v6
	v_add_u32_e32 v8, 14, v9
	v_and_b32_e32 v1, 0x1fffff, v1
	v_add_u32_e32 v0, v1, v0
	v_mov_b32_e32 v1, v17
	v_cmp_ne_u32_e32 vcc, 0, v8
                                        ; implicit-def: $vgpr2
	s_and_saveexec_b64 s[28:29], vcc
	s_xor_b64 s[28:29], exec, s[28:29]
; %bb.9434:                             ;   in Loop: Header=BB4_7680 Depth=3
	v_cmp_lt_u64_e32 vcc, s[88:89], v[0:1]
	v_add_u32_e32 v2, 15, v9
	v_cndmask_b32_e64 v6, 0, 1, vcc
	v_lshrrev_b64 v[0:1], v6, v[0:1]
	v_cndmask_b32_e32 v2, v8, v2, vcc
; %bb.9435:                             ;   in Loop: Header=BB4_7680 Depth=3
	s_andn2_saveexec_b64 s[28:29], s[28:29]
; %bb.9436:                             ;   in Loop: Header=BB4_7680 Depth=3
	v_bfe_u32 v2, v0, 23, 1
; %bb.9437:                             ;   in Loop: Header=BB4_7680 Depth=3
	s_or_b64 exec, exec, s[28:29]
	v_lshrrev_b64 v[0:1], 21, v[0:1]
	v_cmp_gt_i32_e32 vcc, 32, v2
	v_cndmask_b32_e32 v1, 0, v1, vcc
	v_cndmask_b32_e32 v0, 3, v0, vcc
	v_cmp_eq_u64_e64 s[28:29], 0, v[0:1]
	v_min_i32_e32 v1, 31, v2
	v_lshlrev_b32_e32 v1, 2, v1
	v_cmp_eq_u32_e32 vcc, 0, v2
	v_and_b32_e32 v1, 0xfc, v1
	v_and_or_b32 v0, v0, 3, v1
	s_and_b64 s[28:29], vcc, s[28:29]
	v_cndmask_b32_e64 v0, v0, 0, s[28:29]
	v_or_b32_e32 v8, v0, v3
.LBB4_9438:                             ;   in Loop: Header=BB4_7680 Depth=3
	s_or_b64 exec, exec, s[36:37]
                                        ; implicit-def: $vgpr3
.LBB4_9439:                             ;   in Loop: Header=BB4_7680 Depth=3
	s_andn2_saveexec_b64 s[28:29], s[34:35]
; %bb.9440:                             ;   in Loop: Header=BB4_7680 Depth=3
	v_or_b32_e32 v8, 0x7b, v3
; %bb.9441:                             ;   in Loop: Header=BB4_7680 Depth=3
	s_or_b64 exec, exec, s[28:29]
                                        ; implicit-def: $vgpr2
                                        ; implicit-def: $vgpr0_vgpr1
.LBB4_9442:                             ;   in Loop: Header=BB4_7680 Depth=3
	s_andn2_saveexec_b64 s[28:29], s[30:31]
	s_cbranch_execz .LBB4_9448
; %bb.9443:                             ;   in Loop: Header=BB4_7680 Depth=3
	v_cmp_ne_u64_e32 vcc, 0, v[0:1]
                                        ; implicit-def: $vgpr8
	s_and_saveexec_b64 s[30:31], vcc
	s_xor_b64 vcc, exec, s[30:31]
; %bb.9444:                             ;   in Loop: Header=BB4_7680 Depth=3
	v_or_b32_sdwa v8, v2, s47 dst_sel:DWORD dst_unused:UNUSED_PAD src0_sel:BYTE_3 src1_sel:DWORD
                                        ; implicit-def: $vgpr2
; %bb.9445:                             ;   in Loop: Header=BB4_7680 Depth=3
	s_andn2_saveexec_b64 s[30:31], vcc
; %bb.9446:                             ;   in Loop: Header=BB4_7680 Depth=3
	v_cmp_lt_i32_e32 vcc, -1, v2
	v_bfrev_b32_e32 v0, 0.5
	v_cndmask_b32_e32 v8, v0, v52, vcc
; %bb.9447:                             ;   in Loop: Header=BB4_7680 Depth=3
	s_or_b64 exec, exec, s[30:31]
.LBB4_9448:                             ;   in Loop: Header=BB4_7680 Depth=3
	s_or_b64 exec, exec, s[28:29]
	v_lshl_or_b32 v24, v24, 8, v19
	v_lshlrev_b32_e32 v0, 16, v26
	v_lshlrev_b32_e32 v1, 24, v33
	v_or3_b32 v0, v0, v1, v24
	v_mov_b32_e32 v1, v17
	v_cmp_ne_u32_e32 vcc, 0, v19
	v_mov_b32_e32 v2, 0
	v_mov_b32_e32 v3, 0
	s_and_saveexec_b64 s[30:31], vcc
	s_cbranch_execz .LBB4_9456
; %bb.9449:                             ;   in Loop: Header=BB4_7680 Depth=3
	v_cmp_ne_u32_e32 vcc, s96, v19
	v_bfrev_b32_e32 v3, 1
	s_and_saveexec_b64 s[34:35], vcc
	s_cbranch_execz .LBB4_9455
; %bb.9450:                             ;   in Loop: Header=BB4_7680 Depth=3
	v_and_b32_e32 v3, 0x7c, v19
	v_and_b32_e32 v9, 3, v19
	v_cmp_ne_u32_e32 vcc, s85, v3
                                        ; implicit-def: $vgpr3
	s_and_saveexec_b64 s[28:29], vcc
	s_xor_b64 s[28:29], exec, s[28:29]
	s_cbranch_execz .LBB4_9452
; %bb.9451:                             ;   in Loop: Header=BB4_7680 Depth=3
	v_ffbh_u32_e32 v6, v9
	v_min_u32_e32 v26, 32, v6
	v_subrev_u32_e32 v6, 29, v26
	v_lshlrev_b64 v[6:7], v6, v[0:1]
	v_bfe_u32 v3, v19, 2, 5
	v_sub_u32_e32 v1, 30, v26
	v_and_b32_e32 v6, 3, v6
	v_cmp_eq_u32_e32 vcc, 0, v3
	v_cndmask_b32_e32 v1, v3, v1, vcc
	v_cndmask_b32_e32 v3, v9, v6, vcc
	v_lshlrev_b32_e32 v6, 24, v19
	v_and_b32_e32 v6, 0x80000000, v6
	v_lshl_add_u32 v1, v1, 23, v6
	v_lshl_or_b32 v1, v3, 21, v1
	v_add_u32_e32 v3, 0x38000000, v1
                                        ; implicit-def: $vgpr9
                                        ; implicit-def: $vgpr19
.LBB4_9452:                             ;   in Loop: Header=BB4_7680 Depth=3
	s_andn2_saveexec_b64 s[36:37], s[28:29]
; %bb.9453:                             ;   in Loop: Header=BB4_7680 Depth=3
	v_and_b32_e32 v1, 0x80, v19
	v_cmp_eq_u32_e64 s[28:29], 0, v1
	v_mov_b32_e32 v1, 0xff800000
	v_mov_b32_e32 v3, 0x7f800000
	v_cmp_eq_u32_e32 vcc, 0, v9
	v_cndmask_b32_e64 v1, v1, v3, s[28:29]
	v_mov_b32_e32 v3, 0x7f800001
	v_cndmask_b32_e32 v3, v3, v1, vcc
; %bb.9454:                             ;   in Loop: Header=BB4_7680 Depth=3
	s_or_b64 exec, exec, s[36:37]
.LBB4_9455:                             ;   in Loop: Header=BB4_7680 Depth=3
	s_or_b64 exec, exec, s[34:35]
.LBB4_9456:                             ;   in Loop: Header=BB4_7680 Depth=3
	s_or_b64 exec, exec, s[30:31]
	v_cmp_ne_u16_sdwa vcc, v10, v17 src0_sel:BYTE_0 src1_sel:DWORD
	s_and_saveexec_b64 s[28:29], vcc
	s_cbranch_execz .LBB4_9464
; %bb.9457:                             ;   in Loop: Header=BB4_7680 Depth=3
	v_cmp_ne_u16_sdwa vcc, sext(v10), s97 src0_sel:BYTE_0 src1_sel:DWORD
	v_bfrev_b32_e32 v2, 1
	s_and_saveexec_b64 s[30:31], vcc
	s_cbranch_execz .LBB4_9463
; %bb.9458:                             ;   in Loop: Header=BB4_7680 Depth=3
	v_and_b32_e32 v2, 0x7c, v10
	v_and_b32_e32 v1, 3, v10
	v_cmp_ne_u32_e32 vcc, s85, v2
                                        ; implicit-def: $vgpr2
	s_and_saveexec_b64 s[34:35], vcc
	s_xor_b64 s[34:35], exec, s[34:35]
	s_cbranch_execz .LBB4_9460
; %bb.9459:                             ;   in Loop: Header=BB4_7680 Depth=3
	v_ffbh_u32_e32 v6, v1
	v_min_u32_e32 v9, 32, v6
	v_subrev_u32_e32 v6, 29, v9
	v_lshlrev_b64 v[6:7], v6, v[10:11]
	v_bfe_u32 v2, v10, 2, 5
	v_and_b32_e32 v6, 3, v6
	v_cmp_eq_u32_e32 vcc, 0, v2
	v_sub_u32_e32 v7, 30, v9
	v_cndmask_b32_e32 v1, v1, v6, vcc
	v_lshlrev_b32_e32 v6, 24, v10
	v_cndmask_b32_e32 v2, v2, v7, vcc
	v_and_b32_e32 v6, 0x80000000, v6
	v_lshl_add_u32 v2, v2, 23, v6
	v_lshl_or_b32 v1, v1, 21, v2
	v_add_u32_e32 v2, 0x38000000, v1
                                        ; implicit-def: $vgpr1
.LBB4_9460:                             ;   in Loop: Header=BB4_7680 Depth=3
	s_andn2_saveexec_b64 s[34:35], s[34:35]
; %bb.9461:                             ;   in Loop: Header=BB4_7680 Depth=3
	v_mov_b32_e32 v2, -1
	v_cmp_gt_i16_sdwa vcc, sext(v10), v2 src0_sel:BYTE_0 src1_sel:DWORD
	v_mov_b32_e32 v2, 0xff800000
	v_mov_b32_e32 v6, 0x7f800000
	v_cndmask_b32_e32 v2, v2, v6, vcc
	v_cmp_eq_u32_e32 vcc, 0, v1
	v_mov_b32_e32 v1, 0x7f800001
	v_cndmask_b32_e32 v2, v1, v2, vcc
; %bb.9462:                             ;   in Loop: Header=BB4_7680 Depth=3
	s_or_b64 exec, exec, s[34:35]
.LBB4_9463:                             ;   in Loop: Header=BB4_7680 Depth=3
	s_or_b64 exec, exec, s[30:31]
.LBB4_9464:                             ;   in Loop: Header=BB4_7680 Depth=3
	s_or_b64 exec, exec, s[28:29]
	v_add_f32_e32 v3, v3, v2
	v_and_b32_e32 v6, 0x7f800000, v3
	v_mov_b32_e32 v7, v17
	v_cmp_ne_u64_e32 vcc, s[76:77], v[6:7]
	v_and_b32_e32 v1, 0x7fffff, v3
	v_mov_b32_e32 v2, v17
                                        ; implicit-def: $vgpr9
	s_and_saveexec_b64 s[28:29], vcc
	s_xor_b64 s[30:31], exec, s[28:29]
	s_cbranch_execz .LBB4_9478
; %bb.9465:                             ;   in Loop: Header=BB4_7680 Depth=3
	v_and_b32_e32 v6, 0x7fffffff, v3
	v_mov_b32_e32 v7, v17
	v_cmp_gt_u64_e32 vcc, s[78:79], v[6:7]
	v_and_b32_sdwa v19, v3, s96 dst_sel:DWORD dst_unused:UNUSED_PAD src0_sel:BYTE_3 src1_sel:DWORD
                                        ; implicit-def: $vgpr9
	s_and_saveexec_b64 s[28:29], vcc
	s_xor_b64 s[34:35], exec, s[28:29]
	s_cbranch_execz .LBB4_9475
; %bb.9466:                             ;   in Loop: Header=BB4_7680 Depth=3
	v_mov_b32_e32 v9, 0
	v_cmp_ne_u32_e32 vcc, 0, v3
	s_and_saveexec_b64 s[36:37], vcc
	s_cbranch_execz .LBB4_9474
; %bb.9467:                             ;   in Loop: Header=BB4_7680 Depth=3
	v_bfe_u32 v9, v3, 23, 8
	v_cmp_gt_u32_e64 s[28:29], s46, v9
	v_sub_u32_e32 v3, 0x71, v9
	v_cmp_eq_u32_e32 vcc, 0, v9
	v_cndmask_b32_e64 v3, 0, v3, s[28:29]
	v_mov_b32_e32 v7, 0x70
	v_cndmask_b32_e32 v26, v3, v7, vcc
	v_or_b32_e32 v6, 0x800000, v1
	v_add_u32_e32 v3, 21, v26
	v_cndmask_b32_e32 v1, v6, v1, vcc
	v_lshlrev_b64 v[6:7], v3, -1
	v_add_u32_e32 v3, 20, v26
	v_bfi_b32 v6, v6, 0, v1
	v_lshlrev_b64 v[48:49], v3, 1
	v_lshrrev_b64 v[1:2], v26, v[1:2]
	v_bfi_b32 v7, v7, 0, 0
	v_cmp_eq_u64_e64 s[28:29], v[6:7], v[48:49]
	v_mov_b32_e32 v3, v2
	v_mov_b32_e32 v2, v1
	s_and_saveexec_b64 s[38:39], s[28:29]
; %bb.9468:                             ;   in Loop: Header=BB4_7680 Depth=3
	v_bfe_u32 v2, v1, 21, 1
	v_add_co_u32_e64 v2, s[28:29], v1, v2
	v_add_co_u32_e64 v2, s[28:29], -1, v2
; %bb.9469:                             ;   in Loop: Header=BB4_7680 Depth=3
	s_or_b64 exec, exec, s[38:39]
	v_add_u32_e32 v3, 0xffffff81, v9
	v_mov_b32_e32 v6, 0xffffff82
	v_cndmask_b32_e32 v3, v3, v6, vcc
	v_lshrrev_b32_e32 v6, 23, v1
	v_add3_u32 v26, v26, v3, v6
	v_add_u32_e32 v9, 14, v26
	v_and_b32_e32 v2, 0x1fffff, v2
	v_add_u32_e32 v1, v2, v1
	v_mov_b32_e32 v2, v17
	v_cmp_ne_u32_e32 vcc, 0, v9
                                        ; implicit-def: $vgpr3
	s_and_saveexec_b64 s[28:29], vcc
	s_xor_b64 s[28:29], exec, s[28:29]
; %bb.9470:                             ;   in Loop: Header=BB4_7680 Depth=3
	v_cmp_lt_u64_e32 vcc, s[88:89], v[1:2]
	v_add_u32_e32 v3, 15, v26
	v_cndmask_b32_e64 v6, 0, 1, vcc
	v_lshrrev_b64 v[1:2], v6, v[1:2]
	v_cndmask_b32_e32 v3, v9, v3, vcc
; %bb.9471:                             ;   in Loop: Header=BB4_7680 Depth=3
	s_andn2_saveexec_b64 s[28:29], s[28:29]
; %bb.9472:                             ;   in Loop: Header=BB4_7680 Depth=3
	v_bfe_u32 v3, v1, 23, 1
; %bb.9473:                             ;   in Loop: Header=BB4_7680 Depth=3
	s_or_b64 exec, exec, s[28:29]
	v_lshrrev_b64 v[1:2], 21, v[1:2]
	v_cmp_gt_i32_e32 vcc, 32, v3
	v_cndmask_b32_e32 v2, 0, v2, vcc
	v_cndmask_b32_e32 v1, 3, v1, vcc
	v_cmp_eq_u64_e64 s[28:29], 0, v[1:2]
	v_min_i32_e32 v2, 31, v3
	v_lshlrev_b32_e32 v2, 2, v2
	v_cmp_eq_u32_e32 vcc, 0, v3
	v_and_b32_e32 v2, 0xfc, v2
	v_and_or_b32 v1, v1, 3, v2
	s_and_b64 s[28:29], vcc, s[28:29]
	v_cndmask_b32_e64 v1, v1, 0, s[28:29]
	v_or_b32_e32 v9, v1, v19
.LBB4_9474:                             ;   in Loop: Header=BB4_7680 Depth=3
	s_or_b64 exec, exec, s[36:37]
                                        ; implicit-def: $vgpr19
.LBB4_9475:                             ;   in Loop: Header=BB4_7680 Depth=3
	s_andn2_saveexec_b64 s[28:29], s[34:35]
; %bb.9476:                             ;   in Loop: Header=BB4_7680 Depth=3
	v_or_b32_e32 v9, 0x7b, v19
; %bb.9477:                             ;   in Loop: Header=BB4_7680 Depth=3
	s_or_b64 exec, exec, s[28:29]
                                        ; implicit-def: $vgpr3
                                        ; implicit-def: $vgpr1_vgpr2
.LBB4_9478:                             ;   in Loop: Header=BB4_7680 Depth=3
	s_andn2_saveexec_b64 s[28:29], s[30:31]
	s_cbranch_execz .LBB4_9484
; %bb.9479:                             ;   in Loop: Header=BB4_7680 Depth=3
	v_cmp_ne_u64_e32 vcc, 0, v[1:2]
                                        ; implicit-def: $vgpr9
	s_and_saveexec_b64 s[30:31], vcc
	s_xor_b64 vcc, exec, s[30:31]
; %bb.9480:                             ;   in Loop: Header=BB4_7680 Depth=3
	v_or_b32_sdwa v9, v3, s47 dst_sel:DWORD dst_unused:UNUSED_PAD src0_sel:BYTE_3 src1_sel:DWORD
                                        ; implicit-def: $vgpr3
; %bb.9481:                             ;   in Loop: Header=BB4_7680 Depth=3
	s_andn2_saveexec_b64 s[30:31], vcc
; %bb.9482:                             ;   in Loop: Header=BB4_7680 Depth=3
	v_cmp_lt_i32_e32 vcc, -1, v3
	v_bfrev_b32_e32 v1, 0.5
	v_cndmask_b32_e32 v9, v1, v52, vcc
; %bb.9483:                             ;   in Loop: Header=BB4_7680 Depth=3
	s_or_b64 exec, exec, s[30:31]
.LBB4_9484:                             ;   in Loop: Header=BB4_7680 Depth=3
	s_or_b64 exec, exec, s[28:29]
	v_lshrrev_b16_e32 v1, 8, v24
	v_cmp_ne_u16_e32 vcc, 0, v1
	v_mov_b32_e32 v3, 0
	v_mov_b32_e32 v19, 0
	s_and_saveexec_b64 s[28:29], vcc
	s_cbranch_execz .LBB4_9492
; %bb.9485:                             ;   in Loop: Header=BB4_7680 Depth=3
	v_cmp_ne_u16_e32 vcc, s96, v1
	v_bfrev_b32_e32 v19, 1
	s_and_saveexec_b64 s[30:31], vcc
	s_cbranch_execz .LBB4_9491
; %bb.9486:                             ;   in Loop: Header=BB4_7680 Depth=3
	v_and_b32_e32 v2, 0x7c, v1
	v_and_b32_e32 v26, 3, v1
	v_cmp_ne_u32_e32 vcc, s85, v2
                                        ; implicit-def: $vgpr19
	s_and_saveexec_b64 s[34:35], vcc
	s_xor_b64 s[34:35], exec, s[34:35]
	s_cbranch_execz .LBB4_9488
; %bb.9487:                             ;   in Loop: Header=BB4_7680 Depth=3
	v_ffbh_u32_e32 v7, v26
	v_min_u32_e32 v7, 32, v7
	v_mov_b32_e32 v2, v17
	v_subrev_u32_e32 v19, 29, v7
	v_bfe_u32 v6, v1, 2, 5
	v_lshlrev_b64 v[1:2], v19, v[1:2]
	v_sub_u32_e32 v2, 30, v7
	v_cmp_eq_u32_e32 vcc, 0, v6
	v_cndmask_b32_e32 v2, v6, v2, vcc
	v_lshlrev_b32_e32 v6, 16, v24
	v_and_b32_e32 v1, 3, v1
	v_and_b32_e32 v6, 0x80000000, v6
	v_cndmask_b32_e32 v1, v26, v1, vcc
	v_lshl_add_u32 v2, v2, 23, v6
	v_lshl_or_b32 v1, v1, 21, v2
	v_add_u32_e32 v19, 0x38000000, v1
                                        ; implicit-def: $vgpr26
                                        ; implicit-def: $vgpr24
.LBB4_9488:                             ;   in Loop: Header=BB4_7680 Depth=3
	s_andn2_saveexec_b64 s[34:35], s[34:35]
; %bb.9489:                             ;   in Loop: Header=BB4_7680 Depth=3
	v_cmp_lt_i16_e32 vcc, -1, v24
	v_mov_b32_e32 v1, 0xff800000
	v_mov_b32_e32 v2, 0x7f800000
	v_cndmask_b32_e32 v1, v1, v2, vcc
	v_cmp_eq_u32_e32 vcc, 0, v26
	v_mov_b32_e32 v2, 0x7f800001
	v_cndmask_b32_e32 v19, v2, v1, vcc
; %bb.9490:                             ;   in Loop: Header=BB4_7680 Depth=3
	s_or_b64 exec, exec, s[34:35]
.LBB4_9491:                             ;   in Loop: Header=BB4_7680 Depth=3
	s_or_b64 exec, exec, s[30:31]
.LBB4_9492:                             ;   in Loop: Header=BB4_7680 Depth=3
	s_or_b64 exec, exec, s[28:29]
	v_lshrrev_b16_e32 v1, 8, v10
	v_cmp_ne_u16_e32 vcc, 0, v1
	s_and_saveexec_b64 s[28:29], vcc
	s_cbranch_execz .LBB4_9500
; %bb.9493:                             ;   in Loop: Header=BB4_7680 Depth=3
	v_cmp_ne_u16_e32 vcc, s96, v1
	v_bfrev_b32_e32 v3, 1
	s_and_saveexec_b64 s[30:31], vcc
	s_cbranch_execz .LBB4_9499
; %bb.9494:                             ;   in Loop: Header=BB4_7680 Depth=3
	v_and_b32_e32 v2, 0x7c, v1
	v_and_b32_e32 v24, 3, v1
	v_cmp_ne_u32_e32 vcc, s85, v2
                                        ; implicit-def: $vgpr3
	s_and_saveexec_b64 s[34:35], vcc
	s_xor_b64 s[34:35], exec, s[34:35]
	s_cbranch_execz .LBB4_9496
; %bb.9495:                             ;   in Loop: Header=BB4_7680 Depth=3
	v_ffbh_u32_e32 v6, v24
	v_min_u32_e32 v6, 32, v6
	v_mov_b32_e32 v2, v17
	v_subrev_u32_e32 v7, 29, v6
	v_bfe_u32 v3, v1, 2, 5
	v_lshlrev_b64 v[1:2], v7, v[1:2]
	v_sub_u32_e32 v2, 30, v6
	v_cmp_eq_u32_e32 vcc, 0, v3
	v_cndmask_b32_e32 v2, v3, v2, vcc
	v_lshlrev_b32_e32 v3, 16, v10
	v_and_b32_e32 v1, 3, v1
	v_and_b32_e32 v3, 0x80000000, v3
	v_cndmask_b32_e32 v1, v24, v1, vcc
	v_lshl_add_u32 v2, v2, 23, v3
	v_lshl_or_b32 v1, v1, 21, v2
	v_add_u32_e32 v3, 0x38000000, v1
                                        ; implicit-def: $vgpr24
.LBB4_9496:                             ;   in Loop: Header=BB4_7680 Depth=3
	s_andn2_saveexec_b64 s[34:35], s[34:35]
; %bb.9497:                             ;   in Loop: Header=BB4_7680 Depth=3
	v_cmp_lt_i16_e32 vcc, -1, v10
	v_mov_b32_e32 v1, 0xff800000
	v_mov_b32_e32 v2, 0x7f800000
	v_cndmask_b32_e32 v1, v1, v2, vcc
	v_cmp_eq_u32_e32 vcc, 0, v24
	v_mov_b32_e32 v2, 0x7f800001
	v_cndmask_b32_e32 v3, v2, v1, vcc
; %bb.9498:                             ;   in Loop: Header=BB4_7680 Depth=3
	s_or_b64 exec, exec, s[34:35]
.LBB4_9499:                             ;   in Loop: Header=BB4_7680 Depth=3
	s_or_b64 exec, exec, s[30:31]
.LBB4_9500:                             ;   in Loop: Header=BB4_7680 Depth=3
	s_or_b64 exec, exec, s[28:29]
	v_add_f32_e32 v3, v19, v3
	v_and_b32_e32 v6, 0x7f800000, v3
	v_mov_b32_e32 v7, v17
	v_cmp_ne_u64_e32 vcc, s[76:77], v[6:7]
	v_and_b32_e32 v1, 0x7fffff, v3
	v_mov_b32_e32 v2, v17
                                        ; implicit-def: $vgpr19
	s_and_saveexec_b64 s[28:29], vcc
	s_xor_b64 s[30:31], exec, s[28:29]
	s_cbranch_execz .LBB4_9514
; %bb.9501:                             ;   in Loop: Header=BB4_7680 Depth=3
	v_and_b32_e32 v6, 0x7fffffff, v3
	v_mov_b32_e32 v7, v17
	v_cmp_gt_u64_e32 vcc, s[78:79], v[6:7]
	v_and_b32_sdwa v24, v3, s96 dst_sel:DWORD dst_unused:UNUSED_PAD src0_sel:BYTE_3 src1_sel:DWORD
                                        ; implicit-def: $vgpr19
	s_and_saveexec_b64 s[28:29], vcc
	s_xor_b64 s[34:35], exec, s[28:29]
	s_cbranch_execz .LBB4_9511
; %bb.9502:                             ;   in Loop: Header=BB4_7680 Depth=3
	v_mov_b32_e32 v19, 0
	v_cmp_ne_u32_e32 vcc, 0, v3
	s_and_saveexec_b64 s[36:37], vcc
	s_cbranch_execz .LBB4_9510
; %bb.9503:                             ;   in Loop: Header=BB4_7680 Depth=3
	v_bfe_u32 v19, v3, 23, 8
	v_cmp_gt_u32_e64 s[28:29], s46, v19
	v_sub_u32_e32 v3, 0x71, v19
	v_cmp_eq_u32_e32 vcc, 0, v19
	v_cndmask_b32_e64 v3, 0, v3, s[28:29]
	v_mov_b32_e32 v7, 0x70
	v_cndmask_b32_e32 v26, v3, v7, vcc
	v_or_b32_e32 v6, 0x800000, v1
	v_add_u32_e32 v3, 21, v26
	v_cndmask_b32_e32 v1, v6, v1, vcc
	v_lshlrev_b64 v[6:7], v3, -1
	v_add_u32_e32 v3, 20, v26
	v_bfi_b32 v6, v6, 0, v1
	v_lshlrev_b64 v[48:49], v3, 1
	v_lshrrev_b64 v[1:2], v26, v[1:2]
	v_bfi_b32 v7, v7, 0, 0
	v_cmp_eq_u64_e64 s[28:29], v[6:7], v[48:49]
	v_mov_b32_e32 v3, v2
	v_mov_b32_e32 v2, v1
	s_and_saveexec_b64 s[38:39], s[28:29]
; %bb.9504:                             ;   in Loop: Header=BB4_7680 Depth=3
	v_bfe_u32 v2, v1, 21, 1
	v_add_co_u32_e64 v2, s[28:29], v1, v2
	v_add_co_u32_e64 v2, s[28:29], -1, v2
; %bb.9505:                             ;   in Loop: Header=BB4_7680 Depth=3
	s_or_b64 exec, exec, s[38:39]
	v_add_u32_e32 v3, 0xffffff81, v19
	v_mov_b32_e32 v6, 0xffffff82
	v_cndmask_b32_e32 v3, v3, v6, vcc
	v_lshrrev_b32_e32 v6, 23, v1
	v_add3_u32 v26, v26, v3, v6
	v_add_u32_e32 v19, 14, v26
	v_and_b32_e32 v2, 0x1fffff, v2
	v_add_u32_e32 v1, v2, v1
	v_mov_b32_e32 v2, v17
	v_cmp_ne_u32_e32 vcc, 0, v19
                                        ; implicit-def: $vgpr3
	s_and_saveexec_b64 s[28:29], vcc
	s_xor_b64 s[28:29], exec, s[28:29]
; %bb.9506:                             ;   in Loop: Header=BB4_7680 Depth=3
	v_cmp_lt_u64_e32 vcc, s[88:89], v[1:2]
	v_add_u32_e32 v3, 15, v26
	v_cndmask_b32_e64 v6, 0, 1, vcc
	v_lshrrev_b64 v[1:2], v6, v[1:2]
	v_cndmask_b32_e32 v3, v19, v3, vcc
; %bb.9507:                             ;   in Loop: Header=BB4_7680 Depth=3
	s_andn2_saveexec_b64 s[28:29], s[28:29]
; %bb.9508:                             ;   in Loop: Header=BB4_7680 Depth=3
	v_bfe_u32 v3, v1, 23, 1
; %bb.9509:                             ;   in Loop: Header=BB4_7680 Depth=3
	s_or_b64 exec, exec, s[28:29]
	v_lshrrev_b64 v[1:2], 21, v[1:2]
	v_cmp_gt_i32_e32 vcc, 32, v3
	v_cndmask_b32_e32 v2, 0, v2, vcc
	v_cndmask_b32_e32 v1, 3, v1, vcc
	v_cmp_eq_u64_e64 s[28:29], 0, v[1:2]
	v_min_i32_e32 v2, 31, v3
	v_lshlrev_b32_e32 v2, 2, v2
	v_cmp_eq_u32_e32 vcc, 0, v3
	v_and_b32_e32 v2, 0xfc, v2
	v_and_or_b32 v1, v1, 3, v2
	s_and_b64 s[28:29], vcc, s[28:29]
	v_cndmask_b32_e64 v1, v1, 0, s[28:29]
	v_or_b32_e32 v19, v1, v24
.LBB4_9510:                             ;   in Loop: Header=BB4_7680 Depth=3
	s_or_b64 exec, exec, s[36:37]
                                        ; implicit-def: $vgpr24
.LBB4_9511:                             ;   in Loop: Header=BB4_7680 Depth=3
	s_andn2_saveexec_b64 s[28:29], s[34:35]
; %bb.9512:                             ;   in Loop: Header=BB4_7680 Depth=3
	v_or_b32_e32 v19, 0x7b, v24
; %bb.9513:                             ;   in Loop: Header=BB4_7680 Depth=3
	s_or_b64 exec, exec, s[28:29]
                                        ; implicit-def: $vgpr3
                                        ; implicit-def: $vgpr1_vgpr2
.LBB4_9514:                             ;   in Loop: Header=BB4_7680 Depth=3
	s_andn2_saveexec_b64 s[28:29], s[30:31]
	s_cbranch_execz .LBB4_9520
; %bb.9515:                             ;   in Loop: Header=BB4_7680 Depth=3
	v_cmp_ne_u64_e32 vcc, 0, v[1:2]
                                        ; implicit-def: $vgpr19
	s_and_saveexec_b64 s[30:31], vcc
	s_xor_b64 vcc, exec, s[30:31]
; %bb.9516:                             ;   in Loop: Header=BB4_7680 Depth=3
	v_or_b32_sdwa v19, v3, s47 dst_sel:DWORD dst_unused:UNUSED_PAD src0_sel:BYTE_3 src1_sel:DWORD
                                        ; implicit-def: $vgpr3
; %bb.9517:                             ;   in Loop: Header=BB4_7680 Depth=3
	s_andn2_saveexec_b64 s[30:31], vcc
; %bb.9518:                             ;   in Loop: Header=BB4_7680 Depth=3
	v_cmp_lt_i32_e32 vcc, -1, v3
	v_bfrev_b32_e32 v1, 0.5
	v_cndmask_b32_e32 v19, v1, v52, vcc
; %bb.9519:                             ;   in Loop: Header=BB4_7680 Depth=3
	s_or_b64 exec, exec, s[30:31]
.LBB4_9520:                             ;   in Loop: Header=BB4_7680 Depth=3
	s_or_b64 exec, exec, s[28:29]
	v_and_b32_sdwa v24, v0, s87 dst_sel:DWORD dst_unused:UNUSED_PAD src0_sel:WORD_1 src1_sel:DWORD
	v_lshrrev_b32_e32 v1, 16, v0
	v_cmp_ne_u16_e32 vcc, 0, v24
	v_mov_b32_e32 v2, 0
	v_mov_b32_e32 v3, 0
	s_and_saveexec_b64 s[28:29], vcc
	s_cbranch_execz .LBB4_9528
; %bb.9521:                             ;   in Loop: Header=BB4_7680 Depth=3
	v_cmp_ne_u16_e32 vcc, s96, v24
	v_bfrev_b32_e32 v3, 1
	s_and_saveexec_b64 s[30:31], vcc
	s_cbranch_execz .LBB4_9527
; %bb.9522:                             ;   in Loop: Header=BB4_7680 Depth=3
	v_and_b32_e32 v3, 0x7c0000, v0
	v_bfe_u32 v24, v0, 16, 2
	v_cmp_ne_u32_e32 vcc, s44, v3
                                        ; implicit-def: $vgpr3
	s_and_saveexec_b64 s[34:35], vcc
	s_xor_b64 s[34:35], exec, s[34:35]
	s_cbranch_execz .LBB4_9524
; %bb.9523:                             ;   in Loop: Header=BB4_7680 Depth=3
	v_ffbh_u32_e32 v6, v24
	v_min_u32_e32 v26, 32, v6
	v_subrev_u32_e32 v6, 29, v26
	v_lshlrev_b64 v[6:7], v6, v[1:2]
	v_bfe_u32 v3, v0, 18, 5
	v_sub_u32_e32 v1, 30, v26
	v_and_b32_e32 v6, 3, v6
	v_cmp_eq_u32_e32 vcc, 0, v3
	v_cndmask_b32_e32 v1, v3, v1, vcc
	v_cndmask_b32_e32 v3, v24, v6, vcc
	v_lshlrev_b32_e32 v6, 8, v0
	v_and_b32_e32 v6, 0x80000000, v6
	v_lshl_add_u32 v1, v1, 23, v6
	v_lshl_or_b32 v1, v3, 21, v1
	v_add_u32_e32 v3, 0x38000000, v1
                                        ; implicit-def: $vgpr24
                                        ; implicit-def: $vgpr1
.LBB4_9524:                             ;   in Loop: Header=BB4_7680 Depth=3
	s_andn2_saveexec_b64 s[34:35], s[34:35]
; %bb.9525:                             ;   in Loop: Header=BB4_7680 Depth=3
	v_mov_b32_e32 v3, -1
	v_cmp_gt_i16_sdwa vcc, sext(v1), v3 src0_sel:BYTE_0 src1_sel:DWORD
	v_mov_b32_e32 v1, 0xff800000
	v_mov_b32_e32 v3, 0x7f800000
	v_cndmask_b32_e32 v1, v1, v3, vcc
	v_cmp_eq_u32_e32 vcc, 0, v24
	v_mov_b32_e32 v3, 0x7f800001
	v_cndmask_b32_e32 v3, v3, v1, vcc
; %bb.9526:                             ;   in Loop: Header=BB4_7680 Depth=3
	s_or_b64 exec, exec, s[34:35]
.LBB4_9527:                             ;   in Loop: Header=BB4_7680 Depth=3
	s_or_b64 exec, exec, s[30:31]
.LBB4_9528:                             ;   in Loop: Header=BB4_7680 Depth=3
	s_or_b64 exec, exec, s[28:29]
	v_lshrrev_b32_e32 v1, 16, v10
	v_cmp_ne_u16_sdwa vcc, v1, v17 src0_sel:BYTE_0 src1_sel:DWORD
	s_and_saveexec_b64 s[28:29], vcc
	s_cbranch_execz .LBB4_9536
; %bb.9529:                             ;   in Loop: Header=BB4_7680 Depth=3
	v_cmp_ne_u16_sdwa vcc, v1, s96 src0_sel:BYTE_0 src1_sel:DWORD
	v_bfrev_b32_e32 v2, 1
	s_and_saveexec_b64 s[30:31], vcc
	s_cbranch_execz .LBB4_9535
; %bb.9530:                             ;   in Loop: Header=BB4_7680 Depth=3
	v_and_b32_e32 v2, 0x7c0000, v10
	v_bfe_u32 v24, v10, 16, 2
	v_cmp_ne_u32_e32 vcc, s44, v2
                                        ; implicit-def: $vgpr2
	s_and_saveexec_b64 s[34:35], vcc
	s_xor_b64 s[34:35], exec, s[34:35]
	s_cbranch_execz .LBB4_9532
; %bb.9531:                             ;   in Loop: Header=BB4_7680 Depth=3
	v_ffbh_u32_e32 v2, v24
	v_min_u32_e32 v7, 32, v2
	v_subrev_u32_e32 v2, 29, v7
	v_bfe_u32 v6, v10, 18, 5
	v_lshlrev_b64 v[1:2], v2, v[1:2]
	v_sub_u32_e32 v2, 30, v7
	v_cmp_eq_u32_e32 vcc, 0, v6
	v_cndmask_b32_e32 v2, v6, v2, vcc
	v_lshlrev_b32_e32 v6, 8, v10
	v_and_b32_e32 v1, 3, v1
	v_and_b32_e32 v6, 0x80000000, v6
	v_cndmask_b32_e32 v1, v24, v1, vcc
	v_lshl_add_u32 v2, v2, 23, v6
	v_lshl_or_b32 v1, v1, 21, v2
	v_add_u32_e32 v2, 0x38000000, v1
                                        ; implicit-def: $vgpr24
                                        ; implicit-def: $vgpr1
.LBB4_9532:                             ;   in Loop: Header=BB4_7680 Depth=3
	s_andn2_saveexec_b64 s[34:35], s[34:35]
; %bb.9533:                             ;   in Loop: Header=BB4_7680 Depth=3
	v_mov_b32_e32 v2, -1
	v_cmp_gt_i16_sdwa vcc, sext(v1), v2 src0_sel:BYTE_0 src1_sel:DWORD
	v_mov_b32_e32 v1, 0xff800000
	v_mov_b32_e32 v2, 0x7f800000
	v_cndmask_b32_e32 v1, v1, v2, vcc
	v_cmp_eq_u32_e32 vcc, 0, v24
	v_mov_b32_e32 v2, 0x7f800001
	v_cndmask_b32_e32 v2, v2, v1, vcc
; %bb.9534:                             ;   in Loop: Header=BB4_7680 Depth=3
	s_or_b64 exec, exec, s[34:35]
.LBB4_9535:                             ;   in Loop: Header=BB4_7680 Depth=3
	s_or_b64 exec, exec, s[30:31]
.LBB4_9536:                             ;   in Loop: Header=BB4_7680 Depth=3
	s_or_b64 exec, exec, s[28:29]
	v_add_f32_e32 v3, v3, v2
	v_and_b32_e32 v6, 0x7f800000, v3
	v_mov_b32_e32 v7, v17
	v_cmp_ne_u64_e32 vcc, s[76:77], v[6:7]
	v_and_b32_e32 v1, 0x7fffff, v3
	v_mov_b32_e32 v2, v17
                                        ; implicit-def: $vgpr24
	s_and_saveexec_b64 s[28:29], vcc
	s_xor_b64 s[30:31], exec, s[28:29]
	s_cbranch_execz .LBB4_9550
; %bb.9537:                             ;   in Loop: Header=BB4_7680 Depth=3
	v_and_b32_e32 v6, 0x7fffffff, v3
	v_mov_b32_e32 v7, v17
	v_cmp_gt_u64_e32 vcc, s[78:79], v[6:7]
	v_and_b32_sdwa v26, v3, s96 dst_sel:DWORD dst_unused:UNUSED_PAD src0_sel:BYTE_3 src1_sel:DWORD
                                        ; implicit-def: $vgpr24
	s_and_saveexec_b64 s[28:29], vcc
	s_xor_b64 s[34:35], exec, s[28:29]
	s_cbranch_execz .LBB4_9547
; %bb.9538:                             ;   in Loop: Header=BB4_7680 Depth=3
	v_mov_b32_e32 v24, 0
	v_cmp_ne_u32_e32 vcc, 0, v3
	s_and_saveexec_b64 s[36:37], vcc
	s_cbranch_execz .LBB4_9546
; %bb.9539:                             ;   in Loop: Header=BB4_7680 Depth=3
	v_bfe_u32 v24, v3, 23, 8
	v_cmp_gt_u32_e64 s[28:29], s46, v24
	v_sub_u32_e32 v3, 0x71, v24
	v_cmp_eq_u32_e32 vcc, 0, v24
	v_cndmask_b32_e64 v3, 0, v3, s[28:29]
	v_mov_b32_e32 v7, 0x70
	v_cndmask_b32_e32 v33, v3, v7, vcc
	v_or_b32_e32 v6, 0x800000, v1
	v_add_u32_e32 v3, 21, v33
	v_cndmask_b32_e32 v1, v6, v1, vcc
	v_lshlrev_b64 v[6:7], v3, -1
	v_add_u32_e32 v3, 20, v33
	v_bfi_b32 v6, v6, 0, v1
	v_lshlrev_b64 v[48:49], v3, 1
	v_lshrrev_b64 v[1:2], v33, v[1:2]
	v_bfi_b32 v7, v7, 0, 0
	v_cmp_eq_u64_e64 s[28:29], v[6:7], v[48:49]
	v_mov_b32_e32 v3, v2
	v_mov_b32_e32 v2, v1
	s_and_saveexec_b64 s[38:39], s[28:29]
; %bb.9540:                             ;   in Loop: Header=BB4_7680 Depth=3
	v_bfe_u32 v2, v1, 21, 1
	v_add_co_u32_e64 v2, s[28:29], v1, v2
	v_add_co_u32_e64 v2, s[28:29], -1, v2
; %bb.9541:                             ;   in Loop: Header=BB4_7680 Depth=3
	s_or_b64 exec, exec, s[38:39]
	v_add_u32_e32 v3, 0xffffff81, v24
	v_mov_b32_e32 v6, 0xffffff82
	v_cndmask_b32_e32 v3, v3, v6, vcc
	v_lshrrev_b32_e32 v6, 23, v1
	v_add3_u32 v33, v33, v3, v6
	v_add_u32_e32 v24, 14, v33
	v_and_b32_e32 v2, 0x1fffff, v2
	v_add_u32_e32 v1, v2, v1
	v_mov_b32_e32 v2, v17
	v_cmp_ne_u32_e32 vcc, 0, v24
                                        ; implicit-def: $vgpr3
	s_and_saveexec_b64 s[28:29], vcc
	s_xor_b64 s[28:29], exec, s[28:29]
; %bb.9542:                             ;   in Loop: Header=BB4_7680 Depth=3
	v_cmp_lt_u64_e32 vcc, s[88:89], v[1:2]
	v_add_u32_e32 v3, 15, v33
	v_cndmask_b32_e64 v6, 0, 1, vcc
	v_lshrrev_b64 v[1:2], v6, v[1:2]
	v_cndmask_b32_e32 v3, v24, v3, vcc
; %bb.9543:                             ;   in Loop: Header=BB4_7680 Depth=3
	s_andn2_saveexec_b64 s[28:29], s[28:29]
; %bb.9544:                             ;   in Loop: Header=BB4_7680 Depth=3
	v_bfe_u32 v3, v1, 23, 1
; %bb.9545:                             ;   in Loop: Header=BB4_7680 Depth=3
	s_or_b64 exec, exec, s[28:29]
	v_lshrrev_b64 v[1:2], 21, v[1:2]
	v_cmp_gt_i32_e32 vcc, 32, v3
	v_cndmask_b32_e32 v2, 0, v2, vcc
	v_cndmask_b32_e32 v1, 3, v1, vcc
	v_cmp_eq_u64_e64 s[28:29], 0, v[1:2]
	v_min_i32_e32 v2, 31, v3
	v_lshlrev_b32_e32 v2, 2, v2
	v_cmp_eq_u32_e32 vcc, 0, v3
	v_and_b32_e32 v2, 0xfc, v2
	v_and_or_b32 v1, v1, 3, v2
	s_and_b64 s[28:29], vcc, s[28:29]
	v_cndmask_b32_e64 v1, v1, 0, s[28:29]
	v_or_b32_e32 v24, v1, v26
.LBB4_9546:                             ;   in Loop: Header=BB4_7680 Depth=3
	s_or_b64 exec, exec, s[36:37]
                                        ; implicit-def: $vgpr26
.LBB4_9547:                             ;   in Loop: Header=BB4_7680 Depth=3
	s_andn2_saveexec_b64 s[28:29], s[34:35]
; %bb.9548:                             ;   in Loop: Header=BB4_7680 Depth=3
	v_or_b32_e32 v24, 0x7b, v26
; %bb.9549:                             ;   in Loop: Header=BB4_7680 Depth=3
	s_or_b64 exec, exec, s[28:29]
                                        ; implicit-def: $vgpr3
                                        ; implicit-def: $vgpr1_vgpr2
.LBB4_9550:                             ;   in Loop: Header=BB4_7680 Depth=3
	s_andn2_saveexec_b64 s[28:29], s[30:31]
	s_cbranch_execz .LBB4_9556
; %bb.9551:                             ;   in Loop: Header=BB4_7680 Depth=3
	v_cmp_ne_u64_e32 vcc, 0, v[1:2]
                                        ; implicit-def: $vgpr24
	s_and_saveexec_b64 s[30:31], vcc
	s_xor_b64 vcc, exec, s[30:31]
; %bb.9552:                             ;   in Loop: Header=BB4_7680 Depth=3
	v_or_b32_sdwa v24, v3, s47 dst_sel:DWORD dst_unused:UNUSED_PAD src0_sel:BYTE_3 src1_sel:DWORD
                                        ; implicit-def: $vgpr3
; %bb.9553:                             ;   in Loop: Header=BB4_7680 Depth=3
	s_andn2_saveexec_b64 s[30:31], vcc
; %bb.9554:                             ;   in Loop: Header=BB4_7680 Depth=3
	v_cmp_lt_i32_e32 vcc, -1, v3
	v_bfrev_b32_e32 v1, 0.5
	v_cndmask_b32_e32 v24, v1, v52, vcc
; %bb.9555:                             ;   in Loop: Header=BB4_7680 Depth=3
	s_or_b64 exec, exec, s[30:31]
.LBB4_9556:                             ;   in Loop: Header=BB4_7680 Depth=3
	s_or_b64 exec, exec, s[28:29]
	v_cmp_lt_u32_e32 vcc, s57, v0
	v_mov_b32_e32 v2, 0
	v_mov_b32_e32 v3, 0
	s_and_saveexec_b64 s[28:29], vcc
	s_cbranch_execz .LBB4_9564
; %bb.9557:                             ;   in Loop: Header=BB4_7680 Depth=3
	v_lshrrev_b32_e32 v1, 24, v0
	v_cmp_ne_u32_e32 vcc, s96, v1
	v_bfrev_b32_e32 v3, 1
	s_and_saveexec_b64 s[30:31], vcc
	s_cbranch_execz .LBB4_9563
; %bb.9558:                             ;   in Loop: Header=BB4_7680 Depth=3
	v_and_b32_e32 v3, 0x7c000000, v0
	v_bfe_u32 v26, v0, 24, 2
	v_cmp_ne_u32_e32 vcc, s45, v3
                                        ; implicit-def: $vgpr3
	s_and_saveexec_b64 s[34:35], vcc
	s_xor_b64 s[34:35], exec, s[34:35]
	s_cbranch_execz .LBB4_9560
; %bb.9559:                             ;   in Loop: Header=BB4_7680 Depth=3
	v_ffbh_u32_e32 v6, v26
	v_min_u32_e32 v28, 32, v6
	v_subrev_u32_e32 v6, 29, v28
	v_bfe_u32 v3, v0, 26, 5
	v_lshlrev_b64 v[6:7], v6, v[1:2]
	v_sub_u32_e32 v1, 30, v28
	v_cmp_eq_u32_e32 vcc, 0, v3
	v_and_b32_e32 v6, 3, v6
	v_cndmask_b32_e32 v1, v3, v1, vcc
	v_and_b32_e32 v0, 0x80000000, v0
	v_cndmask_b32_e32 v3, v26, v6, vcc
	v_lshl_add_u32 v0, v1, 23, v0
	v_lshl_or_b32 v0, v3, 21, v0
	v_add_u32_e32 v3, 0x38000000, v0
                                        ; implicit-def: $vgpr26
                                        ; implicit-def: $vgpr0_vgpr1
.LBB4_9560:                             ;   in Loop: Header=BB4_7680 Depth=3
	s_andn2_saveexec_b64 s[34:35], s[34:35]
; %bb.9561:                             ;   in Loop: Header=BB4_7680 Depth=3
	v_cmp_lt_i32_e32 vcc, -1, v0
	v_mov_b32_e32 v0, 0xff800000
	v_mov_b32_e32 v1, 0x7f800000
	v_cndmask_b32_e32 v0, v0, v1, vcc
	v_cmp_eq_u32_e32 vcc, 0, v26
	v_mov_b32_e32 v1, 0x7f800001
	v_cndmask_b32_e32 v3, v1, v0, vcc
; %bb.9562:                             ;   in Loop: Header=BB4_7680 Depth=3
	s_or_b64 exec, exec, s[34:35]
.LBB4_9563:                             ;   in Loop: Header=BB4_7680 Depth=3
	s_or_b64 exec, exec, s[30:31]
.LBB4_9564:                             ;   in Loop: Header=BB4_7680 Depth=3
	s_or_b64 exec, exec, s[28:29]
	v_cmp_lt_u32_e32 vcc, s57, v10
	s_and_saveexec_b64 s[28:29], vcc
	s_cbranch_execz .LBB4_9572
; %bb.9565:                             ;   in Loop: Header=BB4_7680 Depth=3
	v_lshrrev_b32_e32 v0, 24, v10
	v_cmp_ne_u32_e32 vcc, s96, v0
	v_bfrev_b32_e32 v2, 1
	s_and_saveexec_b64 s[30:31], vcc
	s_cbranch_execz .LBB4_9571
; %bb.9566:                             ;   in Loop: Header=BB4_7680 Depth=3
	v_and_b32_e32 v2, 0x7c000000, v10
	v_bfe_u32 v1, v10, 24, 2
	v_cmp_ne_u32_e32 vcc, s45, v2
                                        ; implicit-def: $vgpr2
	s_and_saveexec_b64 s[34:35], vcc
	s_xor_b64 s[34:35], exec, s[34:35]
	s_cbranch_execz .LBB4_9568
; %bb.9567:                             ;   in Loop: Header=BB4_7680 Depth=3
	v_ffbh_u32_e32 v6, v1
	v_min_u32_e32 v26, 32, v6
	v_subrev_u32_e32 v6, 29, v26
	v_bfe_u32 v2, v10, 26, 5
	v_lshlrev_b64 v[6:7], v6, v[0:1]
	v_sub_u32_e32 v0, 30, v26
	v_cmp_eq_u32_e32 vcc, 0, v2
	v_and_b32_e32 v6, 3, v6
	v_cndmask_b32_e32 v0, v2, v0, vcc
	v_and_b32_e32 v2, 0x80000000, v10
	v_cndmask_b32_e32 v1, v1, v6, vcc
	v_lshl_add_u32 v0, v0, 23, v2
	v_lshl_or_b32 v0, v1, 21, v0
	v_add_u32_e32 v2, 0x38000000, v0
                                        ; implicit-def: $vgpr1
.LBB4_9568:                             ;   in Loop: Header=BB4_7680 Depth=3
	s_andn2_saveexec_b64 s[34:35], s[34:35]
; %bb.9569:                             ;   in Loop: Header=BB4_7680 Depth=3
	v_cmp_lt_i32_e32 vcc, -1, v10
	v_mov_b32_e32 v0, 0xff800000
	v_mov_b32_e32 v2, 0x7f800000
	v_cndmask_b32_e32 v0, v0, v2, vcc
	v_cmp_eq_u32_e32 vcc, 0, v1
	v_mov_b32_e32 v1, 0x7f800001
	v_cndmask_b32_e32 v2, v1, v0, vcc
; %bb.9570:                             ;   in Loop: Header=BB4_7680 Depth=3
	s_or_b64 exec, exec, s[34:35]
.LBB4_9571:                             ;   in Loop: Header=BB4_7680 Depth=3
	s_or_b64 exec, exec, s[30:31]
.LBB4_9572:                             ;   in Loop: Header=BB4_7680 Depth=3
	s_or_b64 exec, exec, s[28:29]
	v_add_f32_e32 v2, v3, v2
	v_and_b32_e32 v6, 0x7f800000, v2
	v_mov_b32_e32 v7, v17
	v_cmp_ne_u64_e32 vcc, s[76:77], v[6:7]
	v_and_b32_e32 v0, 0x7fffff, v2
	v_mov_b32_e32 v1, v17
                                        ; implicit-def: $vgpr26
	s_and_saveexec_b64 s[28:29], vcc
	s_xor_b64 s[30:31], exec, s[28:29]
	s_cbranch_execz .LBB4_9586
; %bb.9573:                             ;   in Loop: Header=BB4_7680 Depth=3
	v_and_b32_e32 v6, 0x7fffffff, v2
	v_mov_b32_e32 v7, v17
	v_cmp_gt_u64_e32 vcc, s[78:79], v[6:7]
	v_and_b32_sdwa v3, v2, s96 dst_sel:DWORD dst_unused:UNUSED_PAD src0_sel:BYTE_3 src1_sel:DWORD
                                        ; implicit-def: $vgpr26
	s_and_saveexec_b64 s[28:29], vcc
	s_xor_b64 s[34:35], exec, s[28:29]
	s_cbranch_execz .LBB4_9583
; %bb.9574:                             ;   in Loop: Header=BB4_7680 Depth=3
	v_mov_b32_e32 v26, 0
	v_cmp_ne_u32_e32 vcc, 0, v2
	s_and_saveexec_b64 s[36:37], vcc
	s_cbranch_execz .LBB4_9582
; %bb.9575:                             ;   in Loop: Header=BB4_7680 Depth=3
	v_bfe_u32 v26, v2, 23, 8
	v_cmp_gt_u32_e64 s[28:29], s46, v26
	v_sub_u32_e32 v2, 0x71, v26
	v_cmp_eq_u32_e32 vcc, 0, v26
	v_cndmask_b32_e64 v2, 0, v2, s[28:29]
	v_mov_b32_e32 v7, 0x70
	v_cndmask_b32_e32 v33, v2, v7, vcc
	v_or_b32_e32 v6, 0x800000, v0
	v_add_u32_e32 v2, 21, v33
	v_cndmask_b32_e32 v0, v6, v0, vcc
	v_lshlrev_b64 v[6:7], v2, -1
	v_add_u32_e32 v2, 20, v33
	v_bfi_b32 v6, v6, 0, v0
	v_lshlrev_b64 v[48:49], v2, 1
	v_lshrrev_b64 v[0:1], v33, v[0:1]
	v_bfi_b32 v7, v7, 0, 0
	v_cmp_eq_u64_e64 s[28:29], v[6:7], v[48:49]
	v_mov_b32_e32 v2, v1
	v_mov_b32_e32 v1, v0
	s_and_saveexec_b64 s[38:39], s[28:29]
; %bb.9576:                             ;   in Loop: Header=BB4_7680 Depth=3
	v_bfe_u32 v1, v0, 21, 1
	v_add_co_u32_e64 v1, s[28:29], v0, v1
	v_add_co_u32_e64 v1, s[28:29], -1, v1
; %bb.9577:                             ;   in Loop: Header=BB4_7680 Depth=3
	s_or_b64 exec, exec, s[38:39]
	v_add_u32_e32 v2, 0xffffff81, v26
	v_mov_b32_e32 v6, 0xffffff82
	v_cndmask_b32_e32 v2, v2, v6, vcc
	v_lshrrev_b32_e32 v6, 23, v0
	v_add3_u32 v33, v33, v2, v6
	v_add_u32_e32 v26, 14, v33
	v_and_b32_e32 v1, 0x1fffff, v1
	v_add_u32_e32 v0, v1, v0
	v_mov_b32_e32 v1, v17
	v_cmp_ne_u32_e32 vcc, 0, v26
                                        ; implicit-def: $vgpr2
	s_and_saveexec_b64 s[28:29], vcc
	s_xor_b64 s[28:29], exec, s[28:29]
; %bb.9578:                             ;   in Loop: Header=BB4_7680 Depth=3
	v_cmp_lt_u64_e32 vcc, s[88:89], v[0:1]
	v_add_u32_e32 v2, 15, v33
	v_cndmask_b32_e64 v6, 0, 1, vcc
	v_lshrrev_b64 v[0:1], v6, v[0:1]
	v_cndmask_b32_e32 v2, v26, v2, vcc
; %bb.9579:                             ;   in Loop: Header=BB4_7680 Depth=3
	s_andn2_saveexec_b64 s[28:29], s[28:29]
; %bb.9580:                             ;   in Loop: Header=BB4_7680 Depth=3
	v_bfe_u32 v2, v0, 23, 1
; %bb.9581:                             ;   in Loop: Header=BB4_7680 Depth=3
	s_or_b64 exec, exec, s[28:29]
	v_lshrrev_b64 v[0:1], 21, v[0:1]
	v_cmp_gt_i32_e32 vcc, 32, v2
	v_cndmask_b32_e32 v1, 0, v1, vcc
	v_cndmask_b32_e32 v0, 3, v0, vcc
	v_cmp_eq_u64_e64 s[28:29], 0, v[0:1]
	v_min_i32_e32 v1, 31, v2
	v_lshlrev_b32_e32 v1, 2, v1
	v_cmp_eq_u32_e32 vcc, 0, v2
	v_and_b32_e32 v1, 0xfc, v1
	v_and_or_b32 v0, v0, 3, v1
	s_and_b64 s[28:29], vcc, s[28:29]
	v_cndmask_b32_e64 v0, v0, 0, s[28:29]
	v_or_b32_e32 v26, v0, v3
.LBB4_9582:                             ;   in Loop: Header=BB4_7680 Depth=3
	s_or_b64 exec, exec, s[36:37]
                                        ; implicit-def: $vgpr3
.LBB4_9583:                             ;   in Loop: Header=BB4_7680 Depth=3
	s_andn2_saveexec_b64 s[28:29], s[34:35]
; %bb.9584:                             ;   in Loop: Header=BB4_7680 Depth=3
	v_or_b32_e32 v26, 0x7b, v3
; %bb.9585:                             ;   in Loop: Header=BB4_7680 Depth=3
	s_or_b64 exec, exec, s[28:29]
                                        ; implicit-def: $vgpr2
                                        ; implicit-def: $vgpr0_vgpr1
.LBB4_9586:                             ;   in Loop: Header=BB4_7680 Depth=3
	s_andn2_saveexec_b64 s[28:29], s[30:31]
	s_cbranch_execz .LBB4_9592
; %bb.9587:                             ;   in Loop: Header=BB4_7680 Depth=3
	v_cmp_ne_u64_e32 vcc, 0, v[0:1]
                                        ; implicit-def: $vgpr26
	s_and_saveexec_b64 s[30:31], vcc
	s_xor_b64 vcc, exec, s[30:31]
; %bb.9588:                             ;   in Loop: Header=BB4_7680 Depth=3
	v_or_b32_sdwa v26, v2, s47 dst_sel:DWORD dst_unused:UNUSED_PAD src0_sel:BYTE_3 src1_sel:DWORD
                                        ; implicit-def: $vgpr2
; %bb.9589:                             ;   in Loop: Header=BB4_7680 Depth=3
	s_andn2_saveexec_b64 s[30:31], vcc
; %bb.9590:                             ;   in Loop: Header=BB4_7680 Depth=3
	v_cmp_lt_i32_e32 vcc, -1, v2
	v_bfrev_b32_e32 v0, 0.5
	v_cndmask_b32_e32 v26, v0, v52, vcc
; %bb.9591:                             ;   in Loop: Header=BB4_7680 Depth=3
	s_or_b64 exec, exec, s[30:31]
.LBB4_9592:                             ;   in Loop: Header=BB4_7680 Depth=3
	s_or_b64 exec, exec, s[28:29]
	v_lshlrev_b32_e32 v0, 24, v27
	v_lshlrev_b32_e32 v1, 16, v23
	v_lshl_or_b32 v20, v20, 8, v16
	v_or3_b32 v0, v1, v0, v20
	v_mov_b32_e32 v1, v17
	v_cmp_ne_u32_e32 vcc, 0, v16
	v_mov_b32_e32 v2, 0
	v_mov_b32_e32 v3, 0
	s_and_saveexec_b64 s[30:31], vcc
	s_cbranch_execz .LBB4_9600
; %bb.9593:                             ;   in Loop: Header=BB4_7680 Depth=3
	v_cmp_ne_u32_e32 vcc, s96, v16
	v_bfrev_b32_e32 v3, 1
	s_and_saveexec_b64 s[34:35], vcc
	s_cbranch_execz .LBB4_9599
; %bb.9594:                             ;   in Loop: Header=BB4_7680 Depth=3
	v_and_b32_e32 v3, 0x7c, v16
	v_and_b32_e32 v23, 3, v16
	v_cmp_ne_u32_e32 vcc, s85, v3
                                        ; implicit-def: $vgpr3
	s_and_saveexec_b64 s[28:29], vcc
	s_xor_b64 s[28:29], exec, s[28:29]
	s_cbranch_execz .LBB4_9596
; %bb.9595:                             ;   in Loop: Header=BB4_7680 Depth=3
	v_ffbh_u32_e32 v6, v23
	v_min_u32_e32 v27, 32, v6
	v_subrev_u32_e32 v6, 29, v27
	v_lshlrev_b64 v[6:7], v6, v[0:1]
	v_bfe_u32 v3, v16, 2, 5
	v_sub_u32_e32 v1, 30, v27
	v_and_b32_e32 v6, 3, v6
	v_cmp_eq_u32_e32 vcc, 0, v3
	v_cndmask_b32_e32 v1, v3, v1, vcc
	v_cndmask_b32_e32 v3, v23, v6, vcc
	v_lshlrev_b32_e32 v6, 24, v16
	v_and_b32_e32 v6, 0x80000000, v6
	v_lshl_add_u32 v1, v1, 23, v6
	v_lshl_or_b32 v1, v3, 21, v1
	v_add_u32_e32 v3, 0x38000000, v1
                                        ; implicit-def: $vgpr23
                                        ; implicit-def: $vgpr16
.LBB4_9596:                             ;   in Loop: Header=BB4_7680 Depth=3
	s_andn2_saveexec_b64 s[36:37], s[28:29]
; %bb.9597:                             ;   in Loop: Header=BB4_7680 Depth=3
	v_and_b32_e32 v1, 0x80, v16
	v_cmp_eq_u32_e64 s[28:29], 0, v1
	v_mov_b32_e32 v1, 0xff800000
	v_mov_b32_e32 v3, 0x7f800000
	v_cmp_eq_u32_e32 vcc, 0, v23
	v_cndmask_b32_e64 v1, v1, v3, s[28:29]
	v_mov_b32_e32 v3, 0x7f800001
	v_cndmask_b32_e32 v3, v3, v1, vcc
; %bb.9598:                             ;   in Loop: Header=BB4_7680 Depth=3
	s_or_b64 exec, exec, s[36:37]
.LBB4_9599:                             ;   in Loop: Header=BB4_7680 Depth=3
	s_or_b64 exec, exec, s[34:35]
.LBB4_9600:                             ;   in Loop: Header=BB4_7680 Depth=3
	s_or_b64 exec, exec, s[30:31]
	v_cmp_ne_u16_sdwa vcc, v11, v17 src0_sel:BYTE_0 src1_sel:DWORD
	s_and_saveexec_b64 s[28:29], vcc
	s_cbranch_execz .LBB4_9608
; %bb.9601:                             ;   in Loop: Header=BB4_7680 Depth=3
	v_cmp_ne_u16_sdwa vcc, v11, s96 src0_sel:BYTE_0 src1_sel:DWORD
	v_bfrev_b32_e32 v2, 1
	s_and_saveexec_b64 s[30:31], vcc
	s_cbranch_execz .LBB4_9607
; %bb.9602:                             ;   in Loop: Header=BB4_7680 Depth=3
	v_and_b32_e32 v2, 0x7c, v11
	v_and_b32_e32 v1, 3, v11
	v_cmp_ne_u32_e32 vcc, s85, v2
                                        ; implicit-def: $vgpr2
	s_and_saveexec_b64 s[34:35], vcc
	s_xor_b64 s[34:35], exec, s[34:35]
	s_cbranch_execz .LBB4_9604
; %bb.9603:                             ;   in Loop: Header=BB4_7680 Depth=3
	v_ffbh_u32_e32 v16, v1
	v_min_u32_e32 v16, 32, v16
	v_mov_b32_e32 v6, v11
	v_mov_b32_e32 v7, v17
	v_subrev_u32_e32 v23, 29, v16
	v_lshlrev_b64 v[6:7], v23, v[6:7]
	v_bfe_u32 v2, v11, 2, 5
	v_and_b32_e32 v6, 3, v6
	v_cmp_eq_u32_e32 vcc, 0, v2
	v_sub_u32_e32 v7, 30, v16
	v_cndmask_b32_e32 v1, v1, v6, vcc
	v_lshlrev_b32_e32 v6, 24, v11
	v_cndmask_b32_e32 v2, v2, v7, vcc
	v_and_b32_e32 v6, 0x80000000, v6
	v_lshl_add_u32 v2, v2, 23, v6
	v_lshl_or_b32 v1, v1, 21, v2
	v_add_u32_e32 v2, 0x38000000, v1
                                        ; implicit-def: $vgpr1
.LBB4_9604:                             ;   in Loop: Header=BB4_7680 Depth=3
	s_andn2_saveexec_b64 s[34:35], s[34:35]
; %bb.9605:                             ;   in Loop: Header=BB4_7680 Depth=3
	v_mov_b32_e32 v2, -1
	v_cmp_gt_i16_sdwa vcc, sext(v11), v2 src0_sel:BYTE_0 src1_sel:DWORD
	v_mov_b32_e32 v2, 0xff800000
	v_mov_b32_e32 v6, 0x7f800000
	v_cndmask_b32_e32 v2, v2, v6, vcc
	v_cmp_eq_u32_e32 vcc, 0, v1
	v_mov_b32_e32 v1, 0x7f800001
	v_cndmask_b32_e32 v2, v1, v2, vcc
; %bb.9606:                             ;   in Loop: Header=BB4_7680 Depth=3
	s_or_b64 exec, exec, s[34:35]
.LBB4_9607:                             ;   in Loop: Header=BB4_7680 Depth=3
	s_or_b64 exec, exec, s[30:31]
.LBB4_9608:                             ;   in Loop: Header=BB4_7680 Depth=3
	s_or_b64 exec, exec, s[28:29]
	v_add_f32_e32 v3, v3, v2
	v_and_b32_e32 v6, 0x7f800000, v3
	v_mov_b32_e32 v7, v17
	v_cmp_ne_u64_e32 vcc, s[76:77], v[6:7]
	v_and_b32_e32 v1, 0x7fffff, v3
	v_mov_b32_e32 v2, v17
                                        ; implicit-def: $vgpr16
	s_and_saveexec_b64 s[28:29], vcc
	s_xor_b64 s[30:31], exec, s[28:29]
	s_cbranch_execz .LBB4_9622
; %bb.9609:                             ;   in Loop: Header=BB4_7680 Depth=3
	v_and_b32_e32 v6, 0x7fffffff, v3
	v_mov_b32_e32 v7, v17
	v_cmp_gt_u64_e32 vcc, s[78:79], v[6:7]
	v_and_b32_sdwa v23, v3, s96 dst_sel:DWORD dst_unused:UNUSED_PAD src0_sel:BYTE_3 src1_sel:DWORD
                                        ; implicit-def: $vgpr16
	s_and_saveexec_b64 s[28:29], vcc
	s_xor_b64 s[34:35], exec, s[28:29]
	s_cbranch_execz .LBB4_9619
; %bb.9610:                             ;   in Loop: Header=BB4_7680 Depth=3
	v_mov_b32_e32 v16, 0
	v_cmp_ne_u32_e32 vcc, 0, v3
	s_and_saveexec_b64 s[36:37], vcc
	s_cbranch_execz .LBB4_9618
; %bb.9611:                             ;   in Loop: Header=BB4_7680 Depth=3
	v_bfe_u32 v16, v3, 23, 8
	v_cmp_gt_u32_e64 s[28:29], s46, v16
	v_sub_u32_e32 v3, 0x71, v16
	v_cmp_eq_u32_e32 vcc, 0, v16
	v_cndmask_b32_e64 v3, 0, v3, s[28:29]
	v_mov_b32_e32 v7, 0x70
	v_cndmask_b32_e32 v27, v3, v7, vcc
	v_or_b32_e32 v6, 0x800000, v1
	v_add_u32_e32 v3, 21, v27
	v_cndmask_b32_e32 v1, v6, v1, vcc
	v_lshlrev_b64 v[6:7], v3, -1
	v_add_u32_e32 v3, 20, v27
	v_bfi_b32 v6, v6, 0, v1
	v_lshlrev_b64 v[48:49], v3, 1
	v_lshrrev_b64 v[1:2], v27, v[1:2]
	v_bfi_b32 v7, v7, 0, 0
	v_cmp_eq_u64_e64 s[28:29], v[6:7], v[48:49]
	v_mov_b32_e32 v3, v2
	v_mov_b32_e32 v2, v1
	s_and_saveexec_b64 s[38:39], s[28:29]
; %bb.9612:                             ;   in Loop: Header=BB4_7680 Depth=3
	v_bfe_u32 v2, v1, 21, 1
	v_add_co_u32_e64 v2, s[28:29], v1, v2
	v_add_co_u32_e64 v2, s[28:29], -1, v2
; %bb.9613:                             ;   in Loop: Header=BB4_7680 Depth=3
	s_or_b64 exec, exec, s[38:39]
	v_add_u32_e32 v3, 0xffffff81, v16
	v_mov_b32_e32 v6, 0xffffff82
	v_cndmask_b32_e32 v3, v3, v6, vcc
	v_lshrrev_b32_e32 v6, 23, v1
	v_add3_u32 v27, v27, v3, v6
	v_add_u32_e32 v16, 14, v27
	v_and_b32_e32 v2, 0x1fffff, v2
	v_add_u32_e32 v1, v2, v1
	v_mov_b32_e32 v2, v17
	v_cmp_ne_u32_e32 vcc, 0, v16
                                        ; implicit-def: $vgpr3
	s_and_saveexec_b64 s[28:29], vcc
	s_xor_b64 s[28:29], exec, s[28:29]
; %bb.9614:                             ;   in Loop: Header=BB4_7680 Depth=3
	v_cmp_lt_u64_e32 vcc, s[88:89], v[1:2]
	v_add_u32_e32 v3, 15, v27
	v_cndmask_b32_e64 v6, 0, 1, vcc
	v_lshrrev_b64 v[1:2], v6, v[1:2]
	v_cndmask_b32_e32 v3, v16, v3, vcc
; %bb.9615:                             ;   in Loop: Header=BB4_7680 Depth=3
	s_andn2_saveexec_b64 s[28:29], s[28:29]
; %bb.9616:                             ;   in Loop: Header=BB4_7680 Depth=3
	v_bfe_u32 v3, v1, 23, 1
; %bb.9617:                             ;   in Loop: Header=BB4_7680 Depth=3
	s_or_b64 exec, exec, s[28:29]
	v_lshrrev_b64 v[1:2], 21, v[1:2]
	v_cmp_gt_i32_e32 vcc, 32, v3
	v_cndmask_b32_e32 v2, 0, v2, vcc
	v_cndmask_b32_e32 v1, 3, v1, vcc
	v_cmp_eq_u64_e64 s[28:29], 0, v[1:2]
	v_min_i32_e32 v2, 31, v3
	v_lshlrev_b32_e32 v2, 2, v2
	v_cmp_eq_u32_e32 vcc, 0, v3
	v_and_b32_e32 v2, 0xfc, v2
	v_and_or_b32 v1, v1, 3, v2
	s_and_b64 s[28:29], vcc, s[28:29]
	v_cndmask_b32_e64 v1, v1, 0, s[28:29]
	v_or_b32_e32 v16, v1, v23
.LBB4_9618:                             ;   in Loop: Header=BB4_7680 Depth=3
	s_or_b64 exec, exec, s[36:37]
                                        ; implicit-def: $vgpr23
.LBB4_9619:                             ;   in Loop: Header=BB4_7680 Depth=3
	s_andn2_saveexec_b64 s[28:29], s[34:35]
; %bb.9620:                             ;   in Loop: Header=BB4_7680 Depth=3
	v_or_b32_e32 v16, 0x7b, v23
; %bb.9621:                             ;   in Loop: Header=BB4_7680 Depth=3
	s_or_b64 exec, exec, s[28:29]
                                        ; implicit-def: $vgpr3
                                        ; implicit-def: $vgpr1_vgpr2
.LBB4_9622:                             ;   in Loop: Header=BB4_7680 Depth=3
	s_andn2_saveexec_b64 s[28:29], s[30:31]
	s_cbranch_execz .LBB4_9628
; %bb.9623:                             ;   in Loop: Header=BB4_7680 Depth=3
	v_cmp_ne_u64_e32 vcc, 0, v[1:2]
                                        ; implicit-def: $vgpr16
	s_and_saveexec_b64 s[30:31], vcc
	s_xor_b64 vcc, exec, s[30:31]
; %bb.9624:                             ;   in Loop: Header=BB4_7680 Depth=3
	v_or_b32_sdwa v16, v3, s47 dst_sel:DWORD dst_unused:UNUSED_PAD src0_sel:BYTE_3 src1_sel:DWORD
                                        ; implicit-def: $vgpr3
; %bb.9625:                             ;   in Loop: Header=BB4_7680 Depth=3
	s_andn2_saveexec_b64 s[30:31], vcc
; %bb.9626:                             ;   in Loop: Header=BB4_7680 Depth=3
	v_cmp_lt_i32_e32 vcc, -1, v3
	v_bfrev_b32_e32 v1, 0.5
	v_cndmask_b32_e32 v16, v1, v52, vcc
; %bb.9627:                             ;   in Loop: Header=BB4_7680 Depth=3
	s_or_b64 exec, exec, s[30:31]
.LBB4_9628:                             ;   in Loop: Header=BB4_7680 Depth=3
	s_or_b64 exec, exec, s[28:29]
	v_lshrrev_b16_e32 v1, 8, v20
	v_cmp_ne_u16_e32 vcc, 0, v1
	v_mov_b32_e32 v3, 0
	v_mov_b32_e32 v23, 0
	s_and_saveexec_b64 s[28:29], vcc
	s_cbranch_execz .LBB4_9636
; %bb.9629:                             ;   in Loop: Header=BB4_7680 Depth=3
	v_cmp_ne_u16_e32 vcc, s96, v1
	v_bfrev_b32_e32 v23, 1
	s_and_saveexec_b64 s[30:31], vcc
	s_cbranch_execz .LBB4_9635
; %bb.9630:                             ;   in Loop: Header=BB4_7680 Depth=3
	v_and_b32_e32 v2, 0x7c, v1
	v_and_b32_e32 v27, 3, v1
	v_cmp_ne_u32_e32 vcc, s85, v2
                                        ; implicit-def: $vgpr23
	s_and_saveexec_b64 s[34:35], vcc
	s_xor_b64 s[34:35], exec, s[34:35]
	s_cbranch_execz .LBB4_9632
; %bb.9631:                             ;   in Loop: Header=BB4_7680 Depth=3
	v_ffbh_u32_e32 v7, v27
	v_min_u32_e32 v7, 32, v7
	v_mov_b32_e32 v2, v17
	v_subrev_u32_e32 v23, 29, v7
	v_bfe_u32 v6, v1, 2, 5
	v_lshlrev_b64 v[1:2], v23, v[1:2]
	v_sub_u32_e32 v2, 30, v7
	v_cmp_eq_u32_e32 vcc, 0, v6
	v_cndmask_b32_e32 v2, v6, v2, vcc
	v_lshlrev_b32_e32 v6, 16, v20
	v_and_b32_e32 v1, 3, v1
	v_and_b32_e32 v6, 0x80000000, v6
	v_cndmask_b32_e32 v1, v27, v1, vcc
	v_lshl_add_u32 v2, v2, 23, v6
	v_lshl_or_b32 v1, v1, 21, v2
	v_add_u32_e32 v23, 0x38000000, v1
                                        ; implicit-def: $vgpr27
                                        ; implicit-def: $vgpr20
.LBB4_9632:                             ;   in Loop: Header=BB4_7680 Depth=3
	s_andn2_saveexec_b64 s[34:35], s[34:35]
; %bb.9633:                             ;   in Loop: Header=BB4_7680 Depth=3
	v_cmp_lt_i16_e32 vcc, -1, v20
	v_mov_b32_e32 v1, 0xff800000
	v_mov_b32_e32 v2, 0x7f800000
	v_cndmask_b32_e32 v1, v1, v2, vcc
	v_cmp_eq_u32_e32 vcc, 0, v27
	v_mov_b32_e32 v2, 0x7f800001
	v_cndmask_b32_e32 v23, v2, v1, vcc
; %bb.9634:                             ;   in Loop: Header=BB4_7680 Depth=3
	s_or_b64 exec, exec, s[34:35]
.LBB4_9635:                             ;   in Loop: Header=BB4_7680 Depth=3
	s_or_b64 exec, exec, s[30:31]
.LBB4_9636:                             ;   in Loop: Header=BB4_7680 Depth=3
	s_or_b64 exec, exec, s[28:29]
	v_lshrrev_b16_e32 v1, 8, v11
	v_cmp_ne_u16_e32 vcc, 0, v1
	s_and_saveexec_b64 s[28:29], vcc
	s_cbranch_execz .LBB4_9644
; %bb.9637:                             ;   in Loop: Header=BB4_7680 Depth=3
	v_cmp_ne_u16_e32 vcc, s96, v1
	v_bfrev_b32_e32 v3, 1
	s_and_saveexec_b64 s[30:31], vcc
	s_cbranch_execz .LBB4_9643
; %bb.9638:                             ;   in Loop: Header=BB4_7680 Depth=3
	v_and_b32_e32 v2, 0x7c, v1
	v_and_b32_e32 v20, 3, v1
	v_cmp_ne_u32_e32 vcc, s85, v2
                                        ; implicit-def: $vgpr3
	s_and_saveexec_b64 s[34:35], vcc
	s_xor_b64 s[34:35], exec, s[34:35]
	s_cbranch_execz .LBB4_9640
; %bb.9639:                             ;   in Loop: Header=BB4_7680 Depth=3
	v_ffbh_u32_e32 v6, v20
	v_min_u32_e32 v6, 32, v6
	v_mov_b32_e32 v2, v17
	v_subrev_u32_e32 v7, 29, v6
	v_bfe_u32 v3, v1, 2, 5
	v_lshlrev_b64 v[1:2], v7, v[1:2]
	v_sub_u32_e32 v2, 30, v6
	v_cmp_eq_u32_e32 vcc, 0, v3
	v_cndmask_b32_e32 v2, v3, v2, vcc
	v_lshlrev_b32_e32 v3, 16, v11
	v_and_b32_e32 v1, 3, v1
	v_and_b32_e32 v3, 0x80000000, v3
	v_cndmask_b32_e32 v1, v20, v1, vcc
	v_lshl_add_u32 v2, v2, 23, v3
	v_lshl_or_b32 v1, v1, 21, v2
	v_add_u32_e32 v3, 0x38000000, v1
                                        ; implicit-def: $vgpr20
.LBB4_9640:                             ;   in Loop: Header=BB4_7680 Depth=3
	s_andn2_saveexec_b64 s[34:35], s[34:35]
; %bb.9641:                             ;   in Loop: Header=BB4_7680 Depth=3
	v_cmp_lt_i16_e32 vcc, -1, v11
	v_mov_b32_e32 v1, 0xff800000
	v_mov_b32_e32 v2, 0x7f800000
	v_cndmask_b32_e32 v1, v1, v2, vcc
	v_cmp_eq_u32_e32 vcc, 0, v20
	v_mov_b32_e32 v2, 0x7f800001
	v_cndmask_b32_e32 v3, v2, v1, vcc
; %bb.9642:                             ;   in Loop: Header=BB4_7680 Depth=3
	s_or_b64 exec, exec, s[34:35]
.LBB4_9643:                             ;   in Loop: Header=BB4_7680 Depth=3
	s_or_b64 exec, exec, s[30:31]
.LBB4_9644:                             ;   in Loop: Header=BB4_7680 Depth=3
	s_or_b64 exec, exec, s[28:29]
	v_add_f32_e32 v3, v23, v3
	v_and_b32_e32 v6, 0x7f800000, v3
	v_mov_b32_e32 v7, v17
	v_cmp_ne_u64_e32 vcc, s[76:77], v[6:7]
	v_and_b32_e32 v1, 0x7fffff, v3
	v_mov_b32_e32 v2, v17
                                        ; implicit-def: $vgpr20
	s_and_saveexec_b64 s[28:29], vcc
	s_xor_b64 s[30:31], exec, s[28:29]
	s_cbranch_execz .LBB4_9658
; %bb.9645:                             ;   in Loop: Header=BB4_7680 Depth=3
	v_and_b32_e32 v6, 0x7fffffff, v3
	v_mov_b32_e32 v7, v17
	v_cmp_gt_u64_e32 vcc, s[78:79], v[6:7]
	v_and_b32_sdwa v23, v3, s96 dst_sel:DWORD dst_unused:UNUSED_PAD src0_sel:BYTE_3 src1_sel:DWORD
                                        ; implicit-def: $vgpr20
	s_and_saveexec_b64 s[28:29], vcc
	s_xor_b64 s[34:35], exec, s[28:29]
	s_cbranch_execz .LBB4_9655
; %bb.9646:                             ;   in Loop: Header=BB4_7680 Depth=3
	v_mov_b32_e32 v20, 0
	v_cmp_ne_u32_e32 vcc, 0, v3
	s_and_saveexec_b64 s[36:37], vcc
	s_cbranch_execz .LBB4_9654
; %bb.9647:                             ;   in Loop: Header=BB4_7680 Depth=3
	v_bfe_u32 v20, v3, 23, 8
	v_cmp_gt_u32_e64 s[28:29], s46, v20
	v_sub_u32_e32 v3, 0x71, v20
	v_cmp_eq_u32_e32 vcc, 0, v20
	v_cndmask_b32_e64 v3, 0, v3, s[28:29]
	v_mov_b32_e32 v7, 0x70
	v_cndmask_b32_e32 v27, v3, v7, vcc
	v_or_b32_e32 v6, 0x800000, v1
	v_add_u32_e32 v3, 21, v27
	v_cndmask_b32_e32 v1, v6, v1, vcc
	v_lshlrev_b64 v[6:7], v3, -1
	v_add_u32_e32 v3, 20, v27
	v_bfi_b32 v6, v6, 0, v1
	v_lshlrev_b64 v[48:49], v3, 1
	v_lshrrev_b64 v[1:2], v27, v[1:2]
	v_bfi_b32 v7, v7, 0, 0
	v_cmp_eq_u64_e64 s[28:29], v[6:7], v[48:49]
	v_mov_b32_e32 v3, v2
	v_mov_b32_e32 v2, v1
	s_and_saveexec_b64 s[38:39], s[28:29]
; %bb.9648:                             ;   in Loop: Header=BB4_7680 Depth=3
	v_bfe_u32 v2, v1, 21, 1
	v_add_co_u32_e64 v2, s[28:29], v1, v2
	v_add_co_u32_e64 v2, s[28:29], -1, v2
; %bb.9649:                             ;   in Loop: Header=BB4_7680 Depth=3
	s_or_b64 exec, exec, s[38:39]
	v_add_u32_e32 v3, 0xffffff81, v20
	v_mov_b32_e32 v6, 0xffffff82
	v_cndmask_b32_e32 v3, v3, v6, vcc
	v_lshrrev_b32_e32 v6, 23, v1
	v_add3_u32 v27, v27, v3, v6
	v_add_u32_e32 v20, 14, v27
	v_and_b32_e32 v2, 0x1fffff, v2
	v_add_u32_e32 v1, v2, v1
	v_mov_b32_e32 v2, v17
	v_cmp_ne_u32_e32 vcc, 0, v20
                                        ; implicit-def: $vgpr3
	s_and_saveexec_b64 s[28:29], vcc
	s_xor_b64 s[28:29], exec, s[28:29]
; %bb.9650:                             ;   in Loop: Header=BB4_7680 Depth=3
	v_cmp_lt_u64_e32 vcc, s[88:89], v[1:2]
	v_add_u32_e32 v3, 15, v27
	v_cndmask_b32_e64 v6, 0, 1, vcc
	v_lshrrev_b64 v[1:2], v6, v[1:2]
	v_cndmask_b32_e32 v3, v20, v3, vcc
; %bb.9651:                             ;   in Loop: Header=BB4_7680 Depth=3
	s_andn2_saveexec_b64 s[28:29], s[28:29]
; %bb.9652:                             ;   in Loop: Header=BB4_7680 Depth=3
	v_bfe_u32 v3, v1, 23, 1
; %bb.9653:                             ;   in Loop: Header=BB4_7680 Depth=3
	s_or_b64 exec, exec, s[28:29]
	v_lshrrev_b64 v[1:2], 21, v[1:2]
	v_cmp_gt_i32_e32 vcc, 32, v3
	v_cndmask_b32_e32 v2, 0, v2, vcc
	v_cndmask_b32_e32 v1, 3, v1, vcc
	v_cmp_eq_u64_e64 s[28:29], 0, v[1:2]
	v_min_i32_e32 v2, 31, v3
	v_lshlrev_b32_e32 v2, 2, v2
	v_cmp_eq_u32_e32 vcc, 0, v3
	v_and_b32_e32 v2, 0xfc, v2
	v_and_or_b32 v1, v1, 3, v2
	s_and_b64 s[28:29], vcc, s[28:29]
	v_cndmask_b32_e64 v1, v1, 0, s[28:29]
	v_or_b32_e32 v20, v1, v23
.LBB4_9654:                             ;   in Loop: Header=BB4_7680 Depth=3
	s_or_b64 exec, exec, s[36:37]
                                        ; implicit-def: $vgpr23
.LBB4_9655:                             ;   in Loop: Header=BB4_7680 Depth=3
	s_andn2_saveexec_b64 s[28:29], s[34:35]
; %bb.9656:                             ;   in Loop: Header=BB4_7680 Depth=3
	v_or_b32_e32 v20, 0x7b, v23
; %bb.9657:                             ;   in Loop: Header=BB4_7680 Depth=3
	s_or_b64 exec, exec, s[28:29]
                                        ; implicit-def: $vgpr3
                                        ; implicit-def: $vgpr1_vgpr2
.LBB4_9658:                             ;   in Loop: Header=BB4_7680 Depth=3
	s_andn2_saveexec_b64 s[28:29], s[30:31]
	s_cbranch_execz .LBB4_9664
; %bb.9659:                             ;   in Loop: Header=BB4_7680 Depth=3
	v_cmp_ne_u64_e32 vcc, 0, v[1:2]
                                        ; implicit-def: $vgpr20
	s_and_saveexec_b64 s[30:31], vcc
	s_xor_b64 vcc, exec, s[30:31]
; %bb.9660:                             ;   in Loop: Header=BB4_7680 Depth=3
	v_or_b32_sdwa v20, v3, s47 dst_sel:DWORD dst_unused:UNUSED_PAD src0_sel:BYTE_3 src1_sel:DWORD
                                        ; implicit-def: $vgpr3
; %bb.9661:                             ;   in Loop: Header=BB4_7680 Depth=3
	s_andn2_saveexec_b64 s[30:31], vcc
; %bb.9662:                             ;   in Loop: Header=BB4_7680 Depth=3
	v_cmp_lt_i32_e32 vcc, -1, v3
	v_bfrev_b32_e32 v1, 0.5
	v_cndmask_b32_e32 v20, v1, v52, vcc
; %bb.9663:                             ;   in Loop: Header=BB4_7680 Depth=3
	s_or_b64 exec, exec, s[30:31]
.LBB4_9664:                             ;   in Loop: Header=BB4_7680 Depth=3
	s_or_b64 exec, exec, s[28:29]
	v_and_b32_sdwa v23, v0, s87 dst_sel:DWORD dst_unused:UNUSED_PAD src0_sel:WORD_1 src1_sel:DWORD
	v_lshrrev_b32_e32 v1, 16, v0
	v_cmp_ne_u16_e32 vcc, 0, v23
	v_mov_b32_e32 v2, 0
	v_mov_b32_e32 v3, 0
	s_and_saveexec_b64 s[28:29], vcc
	s_cbranch_execz .LBB4_9672
; %bb.9665:                             ;   in Loop: Header=BB4_7680 Depth=3
	v_cmp_ne_u16_e32 vcc, s96, v23
	v_bfrev_b32_e32 v3, 1
	s_and_saveexec_b64 s[30:31], vcc
	s_cbranch_execz .LBB4_9671
; %bb.9666:                             ;   in Loop: Header=BB4_7680 Depth=3
	v_and_b32_e32 v3, 0x7c0000, v0
	v_bfe_u32 v23, v0, 16, 2
	v_cmp_ne_u32_e32 vcc, s44, v3
                                        ; implicit-def: $vgpr3
	s_and_saveexec_b64 s[34:35], vcc
	s_xor_b64 s[34:35], exec, s[34:35]
	s_cbranch_execz .LBB4_9668
; %bb.9667:                             ;   in Loop: Header=BB4_7680 Depth=3
	v_ffbh_u32_e32 v6, v23
	v_min_u32_e32 v27, 32, v6
	v_subrev_u32_e32 v6, 29, v27
	v_lshlrev_b64 v[6:7], v6, v[1:2]
	v_bfe_u32 v3, v0, 18, 5
	v_sub_u32_e32 v1, 30, v27
	v_and_b32_e32 v6, 3, v6
	v_cmp_eq_u32_e32 vcc, 0, v3
	v_cndmask_b32_e32 v1, v3, v1, vcc
	v_cndmask_b32_e32 v3, v23, v6, vcc
	v_lshlrev_b32_e32 v6, 8, v0
	v_and_b32_e32 v6, 0x80000000, v6
	v_lshl_add_u32 v1, v1, 23, v6
	v_lshl_or_b32 v1, v3, 21, v1
	v_add_u32_e32 v3, 0x38000000, v1
                                        ; implicit-def: $vgpr23
                                        ; implicit-def: $vgpr1
.LBB4_9668:                             ;   in Loop: Header=BB4_7680 Depth=3
	s_andn2_saveexec_b64 s[34:35], s[34:35]
; %bb.9669:                             ;   in Loop: Header=BB4_7680 Depth=3
	v_mov_b32_e32 v3, -1
	v_cmp_gt_i16_sdwa vcc, sext(v1), v3 src0_sel:BYTE_0 src1_sel:DWORD
	v_mov_b32_e32 v1, 0xff800000
	v_mov_b32_e32 v3, 0x7f800000
	v_cndmask_b32_e32 v1, v1, v3, vcc
	v_cmp_eq_u32_e32 vcc, 0, v23
	v_mov_b32_e32 v3, 0x7f800001
	v_cndmask_b32_e32 v3, v3, v1, vcc
; %bb.9670:                             ;   in Loop: Header=BB4_7680 Depth=3
	s_or_b64 exec, exec, s[34:35]
.LBB4_9671:                             ;   in Loop: Header=BB4_7680 Depth=3
	s_or_b64 exec, exec, s[30:31]
.LBB4_9672:                             ;   in Loop: Header=BB4_7680 Depth=3
	s_or_b64 exec, exec, s[28:29]
	v_lshrrev_b32_e32 v1, 16, v11
	v_cmp_ne_u16_sdwa vcc, v1, v17 src0_sel:BYTE_0 src1_sel:DWORD
	s_and_saveexec_b64 s[28:29], vcc
	s_cbranch_execz .LBB4_9680
; %bb.9673:                             ;   in Loop: Header=BB4_7680 Depth=3
	v_cmp_ne_u16_sdwa vcc, v1, s96 src0_sel:BYTE_0 src1_sel:DWORD
	v_bfrev_b32_e32 v2, 1
	s_and_saveexec_b64 s[30:31], vcc
	s_cbranch_execz .LBB4_9679
; %bb.9674:                             ;   in Loop: Header=BB4_7680 Depth=3
	v_and_b32_e32 v2, 0x7c0000, v11
	v_bfe_u32 v23, v11, 16, 2
	v_cmp_ne_u32_e32 vcc, s44, v2
                                        ; implicit-def: $vgpr2
	s_and_saveexec_b64 s[34:35], vcc
	s_xor_b64 s[34:35], exec, s[34:35]
	s_cbranch_execz .LBB4_9676
; %bb.9675:                             ;   in Loop: Header=BB4_7680 Depth=3
	v_ffbh_u32_e32 v2, v23
	v_min_u32_e32 v7, 32, v2
	v_subrev_u32_e32 v2, 29, v7
	v_bfe_u32 v6, v11, 18, 5
	v_lshlrev_b64 v[1:2], v2, v[1:2]
	v_sub_u32_e32 v2, 30, v7
	v_cmp_eq_u32_e32 vcc, 0, v6
	v_cndmask_b32_e32 v2, v6, v2, vcc
	v_lshlrev_b32_e32 v6, 8, v11
	v_and_b32_e32 v1, 3, v1
	v_and_b32_e32 v6, 0x80000000, v6
	v_cndmask_b32_e32 v1, v23, v1, vcc
	v_lshl_add_u32 v2, v2, 23, v6
	v_lshl_or_b32 v1, v1, 21, v2
	v_add_u32_e32 v2, 0x38000000, v1
                                        ; implicit-def: $vgpr23
                                        ; implicit-def: $vgpr1
.LBB4_9676:                             ;   in Loop: Header=BB4_7680 Depth=3
	s_andn2_saveexec_b64 s[34:35], s[34:35]
; %bb.9677:                             ;   in Loop: Header=BB4_7680 Depth=3
	v_mov_b32_e32 v2, -1
	v_cmp_gt_i16_sdwa vcc, sext(v1), v2 src0_sel:BYTE_0 src1_sel:DWORD
	v_mov_b32_e32 v1, 0xff800000
	v_mov_b32_e32 v2, 0x7f800000
	v_cndmask_b32_e32 v1, v1, v2, vcc
	v_cmp_eq_u32_e32 vcc, 0, v23
	v_mov_b32_e32 v2, 0x7f800001
	v_cndmask_b32_e32 v2, v2, v1, vcc
; %bb.9678:                             ;   in Loop: Header=BB4_7680 Depth=3
	s_or_b64 exec, exec, s[34:35]
.LBB4_9679:                             ;   in Loop: Header=BB4_7680 Depth=3
	s_or_b64 exec, exec, s[30:31]
.LBB4_9680:                             ;   in Loop: Header=BB4_7680 Depth=3
	s_or_b64 exec, exec, s[28:29]
	v_add_f32_e32 v27, v3, v2
	v_and_b32_e32 v2, 0x7f800000, v27
	v_mov_b32_e32 v3, v17
	v_cmp_ne_u64_e32 vcc, s[76:77], v[2:3]
	v_and_b32_e32 v1, 0x7fffff, v27
	v_mov_b32_e32 v2, v17
                                        ; implicit-def: $vgpr3
	s_and_saveexec_b64 s[28:29], vcc
	s_xor_b64 s[30:31], exec, s[28:29]
	s_cbranch_execz .LBB4_9694
; %bb.9681:                             ;   in Loop: Header=BB4_7680 Depth=3
	v_and_b32_e32 v6, 0x7fffffff, v27
	v_mov_b32_e32 v7, v17
	v_cmp_gt_u64_e32 vcc, s[78:79], v[6:7]
	v_and_b32_sdwa v23, v27, s96 dst_sel:DWORD dst_unused:UNUSED_PAD src0_sel:BYTE_3 src1_sel:DWORD
                                        ; implicit-def: $vgpr3
	s_and_saveexec_b64 s[28:29], vcc
	s_xor_b64 s[34:35], exec, s[28:29]
	s_cbranch_execz .LBB4_9691
; %bb.9682:                             ;   in Loop: Header=BB4_7680 Depth=3
	v_mov_b32_e32 v3, 0
	v_cmp_ne_u32_e32 vcc, 0, v27
	s_and_saveexec_b64 s[36:37], vcc
	s_cbranch_execz .LBB4_9690
; %bb.9683:                             ;   in Loop: Header=BB4_7680 Depth=3
	v_bfe_u32 v27, v27, 23, 8
	v_cmp_gt_u32_e64 s[28:29], s46, v27
	v_sub_u32_e32 v3, 0x71, v27
	v_cmp_eq_u32_e32 vcc, 0, v27
	v_cndmask_b32_e64 v3, 0, v3, s[28:29]
	v_mov_b32_e32 v7, 0x70
	v_cndmask_b32_e32 v33, v3, v7, vcc
	v_or_b32_e32 v6, 0x800000, v1
	v_add_u32_e32 v3, 21, v33
	v_cndmask_b32_e32 v1, v6, v1, vcc
	v_lshlrev_b64 v[6:7], v3, -1
	v_add_u32_e32 v3, 20, v33
	v_bfi_b32 v6, v6, 0, v1
	v_lshlrev_b64 v[48:49], v3, 1
	v_lshrrev_b64 v[1:2], v33, v[1:2]
	v_bfi_b32 v7, v7, 0, 0
	v_cmp_eq_u64_e64 s[28:29], v[6:7], v[48:49]
	v_mov_b32_e32 v3, v2
	v_mov_b32_e32 v2, v1
	s_and_saveexec_b64 s[38:39], s[28:29]
; %bb.9684:                             ;   in Loop: Header=BB4_7680 Depth=3
	v_bfe_u32 v2, v1, 21, 1
	v_add_co_u32_e64 v2, s[28:29], v1, v2
	v_add_co_u32_e64 v2, s[28:29], -1, v2
; %bb.9685:                             ;   in Loop: Header=BB4_7680 Depth=3
	s_or_b64 exec, exec, s[38:39]
	v_add_u32_e32 v3, 0xffffff81, v27
	v_mov_b32_e32 v6, 0xffffff82
	v_cndmask_b32_e32 v3, v3, v6, vcc
	v_lshrrev_b32_e32 v6, 23, v1
	v_add3_u32 v33, v33, v3, v6
	v_add_u32_e32 v27, 14, v33
	v_and_b32_e32 v2, 0x1fffff, v2
	v_add_u32_e32 v1, v2, v1
	v_mov_b32_e32 v2, v17
	v_cmp_ne_u32_e32 vcc, 0, v27
                                        ; implicit-def: $vgpr3
	s_and_saveexec_b64 s[28:29], vcc
	s_xor_b64 s[28:29], exec, s[28:29]
; %bb.9686:                             ;   in Loop: Header=BB4_7680 Depth=3
	v_cmp_lt_u64_e32 vcc, s[88:89], v[1:2]
	v_add_u32_e32 v3, 15, v33
	v_cndmask_b32_e64 v6, 0, 1, vcc
	v_lshrrev_b64 v[1:2], v6, v[1:2]
	v_cndmask_b32_e32 v3, v27, v3, vcc
; %bb.9687:                             ;   in Loop: Header=BB4_7680 Depth=3
	s_andn2_saveexec_b64 s[28:29], s[28:29]
; %bb.9688:                             ;   in Loop: Header=BB4_7680 Depth=3
	v_bfe_u32 v3, v1, 23, 1
; %bb.9689:                             ;   in Loop: Header=BB4_7680 Depth=3
	s_or_b64 exec, exec, s[28:29]
	v_lshrrev_b64 v[1:2], 21, v[1:2]
	v_cmp_gt_i32_e32 vcc, 32, v3
	v_cndmask_b32_e32 v2, 0, v2, vcc
	v_cndmask_b32_e32 v1, 3, v1, vcc
	v_cmp_eq_u64_e64 s[28:29], 0, v[1:2]
	v_min_i32_e32 v2, 31, v3
	v_lshlrev_b32_e32 v2, 2, v2
	v_cmp_eq_u32_e32 vcc, 0, v3
	v_and_b32_e32 v2, 0xfc, v2
	v_and_or_b32 v1, v1, 3, v2
	s_and_b64 s[28:29], vcc, s[28:29]
	v_cndmask_b32_e64 v1, v1, 0, s[28:29]
	v_or_b32_e32 v3, v1, v23
.LBB4_9690:                             ;   in Loop: Header=BB4_7680 Depth=3
	s_or_b64 exec, exec, s[36:37]
                                        ; implicit-def: $vgpr23
.LBB4_9691:                             ;   in Loop: Header=BB4_7680 Depth=3
	s_andn2_saveexec_b64 s[28:29], s[34:35]
; %bb.9692:                             ;   in Loop: Header=BB4_7680 Depth=3
	v_or_b32_e32 v3, 0x7b, v23
; %bb.9693:                             ;   in Loop: Header=BB4_7680 Depth=3
	s_or_b64 exec, exec, s[28:29]
                                        ; implicit-def: $vgpr27
                                        ; implicit-def: $vgpr1_vgpr2
.LBB4_9694:                             ;   in Loop: Header=BB4_7680 Depth=3
	s_andn2_saveexec_b64 s[28:29], s[30:31]
	s_cbranch_execz .LBB4_9700
; %bb.9695:                             ;   in Loop: Header=BB4_7680 Depth=3
	v_cmp_ne_u64_e32 vcc, 0, v[1:2]
                                        ; implicit-def: $vgpr3
	s_and_saveexec_b64 s[30:31], vcc
	s_xor_b64 vcc, exec, s[30:31]
; %bb.9696:                             ;   in Loop: Header=BB4_7680 Depth=3
	v_or_b32_sdwa v3, v27, s47 dst_sel:DWORD dst_unused:UNUSED_PAD src0_sel:BYTE_3 src1_sel:DWORD
                                        ; implicit-def: $vgpr27
; %bb.9697:                             ;   in Loop: Header=BB4_7680 Depth=3
	s_andn2_saveexec_b64 s[30:31], vcc
; %bb.9698:                             ;   in Loop: Header=BB4_7680 Depth=3
	v_cmp_lt_i32_e32 vcc, -1, v27
	v_bfrev_b32_e32 v1, 0.5
	v_cndmask_b32_e32 v3, v1, v52, vcc
; %bb.9699:                             ;   in Loop: Header=BB4_7680 Depth=3
	s_or_b64 exec, exec, s[30:31]
.LBB4_9700:                             ;   in Loop: Header=BB4_7680 Depth=3
	s_or_b64 exec, exec, s[28:29]
	v_cmp_lt_u32_e32 vcc, s57, v0
	v_mov_b32_e32 v2, 0
	v_mov_b32_e32 v23, 0
	s_and_saveexec_b64 s[28:29], vcc
	s_cbranch_execz .LBB4_9708
; %bb.9701:                             ;   in Loop: Header=BB4_7680 Depth=3
	v_lshrrev_b32_e32 v1, 24, v0
	v_cmp_ne_u32_e32 vcc, s96, v1
	v_bfrev_b32_e32 v23, 1
	s_and_saveexec_b64 s[30:31], vcc
	s_cbranch_execz .LBB4_9707
; %bb.9702:                             ;   in Loop: Header=BB4_7680 Depth=3
	v_and_b32_e32 v6, 0x7c000000, v0
	v_bfe_u32 v27, v0, 24, 2
	v_cmp_ne_u32_e32 vcc, s45, v6
                                        ; implicit-def: $vgpr23
	s_and_saveexec_b64 s[34:35], vcc
	s_xor_b64 s[34:35], exec, s[34:35]
	s_cbranch_execz .LBB4_9704
; %bb.9703:                             ;   in Loop: Header=BB4_7680 Depth=3
	v_ffbh_u32_e32 v6, v27
	v_min_u32_e32 v28, 32, v6
	v_subrev_u32_e32 v6, 29, v28
	v_bfe_u32 v23, v0, 26, 5
	v_lshlrev_b64 v[6:7], v6, v[1:2]
	v_sub_u32_e32 v1, 30, v28
	v_cmp_eq_u32_e32 vcc, 0, v23
	v_and_b32_e32 v6, 3, v6
	v_cndmask_b32_e32 v1, v23, v1, vcc
	v_and_b32_e32 v0, 0x80000000, v0
	v_cndmask_b32_e32 v6, v27, v6, vcc
	v_lshl_add_u32 v0, v1, 23, v0
	v_lshl_or_b32 v0, v6, 21, v0
	v_add_u32_e32 v23, 0x38000000, v0
                                        ; implicit-def: $vgpr27
                                        ; implicit-def: $vgpr0_vgpr1
.LBB4_9704:                             ;   in Loop: Header=BB4_7680 Depth=3
	s_andn2_saveexec_b64 s[34:35], s[34:35]
; %bb.9705:                             ;   in Loop: Header=BB4_7680 Depth=3
	v_cmp_lt_i32_e32 vcc, -1, v0
	v_mov_b32_e32 v0, 0xff800000
	v_mov_b32_e32 v1, 0x7f800000
	v_cndmask_b32_e32 v0, v0, v1, vcc
	v_cmp_eq_u32_e32 vcc, 0, v27
	v_mov_b32_e32 v1, 0x7f800001
	v_cndmask_b32_e32 v23, v1, v0, vcc
; %bb.9706:                             ;   in Loop: Header=BB4_7680 Depth=3
	s_or_b64 exec, exec, s[34:35]
.LBB4_9707:                             ;   in Loop: Header=BB4_7680 Depth=3
	s_or_b64 exec, exec, s[30:31]
.LBB4_9708:                             ;   in Loop: Header=BB4_7680 Depth=3
	s_or_b64 exec, exec, s[28:29]
	v_cmp_lt_u64_e32 vcc, s[56:57], v[10:11]
	s_and_saveexec_b64 s[28:29], vcc
	s_cbranch_execz .LBB4_9716
; %bb.9709:                             ;   in Loop: Header=BB4_7680 Depth=3
	v_lshrrev_b32_e32 v0, 24, v11
	v_cmp_ne_u32_e32 vcc, s96, v0
	v_bfrev_b32_e32 v2, 1
	s_and_saveexec_b64 s[30:31], vcc
	s_cbranch_execz .LBB4_9715
; %bb.9710:                             ;   in Loop: Header=BB4_7680 Depth=3
	v_and_b32_e32 v2, 0x7c000000, v11
	v_bfe_u32 v1, v11, 24, 2
	v_cmp_ne_u32_e32 vcc, s45, v2
                                        ; implicit-def: $vgpr2
	s_and_saveexec_b64 s[34:35], vcc
	s_xor_b64 s[34:35], exec, s[34:35]
	s_cbranch_execz .LBB4_9712
; %bb.9711:                             ;   in Loop: Header=BB4_7680 Depth=3
	v_ffbh_u32_e32 v6, v1
	v_min_u32_e32 v10, 32, v6
	v_subrev_u32_e32 v6, 29, v10
	v_bfe_u32 v2, v11, 26, 5
	v_lshlrev_b64 v[6:7], v6, v[0:1]
	v_sub_u32_e32 v0, 30, v10
	v_cmp_eq_u32_e32 vcc, 0, v2
	v_and_b32_e32 v6, 3, v6
	v_cndmask_b32_e32 v0, v2, v0, vcc
	v_and_b32_e32 v2, 0x80000000, v11
	v_cndmask_b32_e32 v1, v1, v6, vcc
	v_lshl_add_u32 v0, v0, 23, v2
	v_lshl_or_b32 v0, v1, 21, v0
	v_add_u32_e32 v2, 0x38000000, v0
                                        ; implicit-def: $vgpr1
                                        ; implicit-def: $vgpr10_vgpr11
.LBB4_9712:                             ;   in Loop: Header=BB4_7680 Depth=3
	s_andn2_saveexec_b64 s[34:35], s[34:35]
; %bb.9713:                             ;   in Loop: Header=BB4_7680 Depth=3
	v_cmp_lt_i64_e32 vcc, -1, v[10:11]
	v_mov_b32_e32 v0, 0xff800000
	v_mov_b32_e32 v2, 0x7f800000
	v_cndmask_b32_e32 v0, v0, v2, vcc
	v_cmp_eq_u32_e32 vcc, 0, v1
	v_mov_b32_e32 v1, 0x7f800001
	v_cndmask_b32_e32 v2, v1, v0, vcc
; %bb.9714:                             ;   in Loop: Header=BB4_7680 Depth=3
	s_or_b64 exec, exec, s[34:35]
.LBB4_9715:                             ;   in Loop: Header=BB4_7680 Depth=3
	s_or_b64 exec, exec, s[30:31]
.LBB4_9716:                             ;   in Loop: Header=BB4_7680 Depth=3
	s_or_b64 exec, exec, s[28:29]
	v_add_f32_e32 v11, v23, v2
	v_and_b32_e32 v1, 0x7f800000, v11
	v_mov_b32_e32 v2, v17
	v_cmp_ne_u64_e32 vcc, s[76:77], v[1:2]
	v_and_b32_e32 v0, 0x7fffff, v11
	v_mov_b32_e32 v1, v17
                                        ; implicit-def: $vgpr2
	s_and_saveexec_b64 s[28:29], vcc
	s_xor_b64 s[30:31], exec, s[28:29]
	s_cbranch_execz .LBB4_9730
; %bb.9717:                             ;   in Loop: Header=BB4_7680 Depth=3
	v_and_b32_e32 v6, 0x7fffffff, v11
	v_mov_b32_e32 v7, v17
	v_cmp_gt_u64_e32 vcc, s[78:79], v[6:7]
	v_and_b32_sdwa v10, v11, s96 dst_sel:DWORD dst_unused:UNUSED_PAD src0_sel:BYTE_3 src1_sel:DWORD
                                        ; implicit-def: $vgpr2
	s_and_saveexec_b64 s[28:29], vcc
	s_xor_b64 s[34:35], exec, s[28:29]
	s_cbranch_execz .LBB4_9727
; %bb.9718:                             ;   in Loop: Header=BB4_7680 Depth=3
	v_mov_b32_e32 v2, 0
	v_cmp_ne_u32_e32 vcc, 0, v11
	s_and_saveexec_b64 s[36:37], vcc
	s_cbranch_execz .LBB4_9726
; %bb.9719:                             ;   in Loop: Header=BB4_7680 Depth=3
	v_bfe_u32 v11, v11, 23, 8
	v_cmp_gt_u32_e64 s[28:29], s46, v11
	v_sub_u32_e32 v2, 0x71, v11
	v_cmp_eq_u32_e32 vcc, 0, v11
	v_cndmask_b32_e64 v2, 0, v2, s[28:29]
	v_mov_b32_e32 v7, 0x70
	v_cndmask_b32_e32 v23, v2, v7, vcc
	v_or_b32_e32 v6, 0x800000, v0
	v_add_u32_e32 v2, 21, v23
	v_cndmask_b32_e32 v0, v6, v0, vcc
	v_lshlrev_b64 v[6:7], v2, -1
	v_add_u32_e32 v2, 20, v23
	v_bfi_b32 v6, v6, 0, v0
	v_lshlrev_b64 v[48:49], v2, 1
	v_lshrrev_b64 v[0:1], v23, v[0:1]
	v_bfi_b32 v7, v7, 0, 0
	v_cmp_eq_u64_e64 s[28:29], v[6:7], v[48:49]
	v_mov_b32_e32 v2, v1
	v_mov_b32_e32 v1, v0
	s_and_saveexec_b64 s[38:39], s[28:29]
; %bb.9720:                             ;   in Loop: Header=BB4_7680 Depth=3
	v_bfe_u32 v1, v0, 21, 1
	v_add_co_u32_e64 v1, s[28:29], v0, v1
	v_add_co_u32_e64 v1, s[28:29], -1, v1
; %bb.9721:                             ;   in Loop: Header=BB4_7680 Depth=3
	s_or_b64 exec, exec, s[38:39]
	v_add_u32_e32 v2, 0xffffff81, v11
	v_mov_b32_e32 v6, 0xffffff82
	v_cndmask_b32_e32 v2, v2, v6, vcc
	v_lshrrev_b32_e32 v6, 23, v0
	v_add3_u32 v23, v23, v2, v6
	v_add_u32_e32 v11, 14, v23
	v_and_b32_e32 v1, 0x1fffff, v1
	v_add_u32_e32 v0, v1, v0
	v_mov_b32_e32 v1, v17
	v_cmp_ne_u32_e32 vcc, 0, v11
                                        ; implicit-def: $vgpr2
	s_and_saveexec_b64 s[28:29], vcc
	s_xor_b64 s[28:29], exec, s[28:29]
; %bb.9722:                             ;   in Loop: Header=BB4_7680 Depth=3
	v_cmp_lt_u64_e32 vcc, s[88:89], v[0:1]
	v_add_u32_e32 v2, 15, v23
	v_cndmask_b32_e64 v6, 0, 1, vcc
	v_lshrrev_b64 v[0:1], v6, v[0:1]
	v_cndmask_b32_e32 v2, v11, v2, vcc
; %bb.9723:                             ;   in Loop: Header=BB4_7680 Depth=3
	s_andn2_saveexec_b64 s[28:29], s[28:29]
; %bb.9724:                             ;   in Loop: Header=BB4_7680 Depth=3
	v_bfe_u32 v2, v0, 23, 1
; %bb.9725:                             ;   in Loop: Header=BB4_7680 Depth=3
	s_or_b64 exec, exec, s[28:29]
	v_lshrrev_b64 v[0:1], 21, v[0:1]
	v_cmp_gt_i32_e32 vcc, 32, v2
	v_cndmask_b32_e32 v1, 0, v1, vcc
	v_cndmask_b32_e32 v0, 3, v0, vcc
	v_cmp_eq_u64_e64 s[28:29], 0, v[0:1]
	v_min_i32_e32 v1, 31, v2
	v_lshlrev_b32_e32 v1, 2, v1
	v_cmp_eq_u32_e32 vcc, 0, v2
	v_and_b32_e32 v1, 0xfc, v1
	v_and_or_b32 v0, v0, 3, v1
	s_and_b64 s[28:29], vcc, s[28:29]
	v_cndmask_b32_e64 v0, v0, 0, s[28:29]
	v_or_b32_e32 v2, v0, v10
.LBB4_9726:                             ;   in Loop: Header=BB4_7680 Depth=3
	s_or_b64 exec, exec, s[36:37]
                                        ; implicit-def: $vgpr10
.LBB4_9727:                             ;   in Loop: Header=BB4_7680 Depth=3
	s_andn2_saveexec_b64 s[28:29], s[34:35]
; %bb.9728:                             ;   in Loop: Header=BB4_7680 Depth=3
	v_or_b32_e32 v2, 0x7b, v10
; %bb.9729:                             ;   in Loop: Header=BB4_7680 Depth=3
	s_or_b64 exec, exec, s[28:29]
                                        ; implicit-def: $vgpr11
                                        ; implicit-def: $vgpr0_vgpr1
.LBB4_9730:                             ;   in Loop: Header=BB4_7680 Depth=3
	s_andn2_saveexec_b64 s[28:29], s[30:31]
	s_cbranch_execz .LBB4_7679
; %bb.9731:                             ;   in Loop: Header=BB4_7680 Depth=3
	v_cmp_ne_u64_e32 vcc, 0, v[0:1]
                                        ; implicit-def: $vgpr2
	s_and_saveexec_b64 s[30:31], vcc
	s_xor_b64 vcc, exec, s[30:31]
; %bb.9732:                             ;   in Loop: Header=BB4_7680 Depth=3
	v_or_b32_sdwa v2, v11, s47 dst_sel:DWORD dst_unused:UNUSED_PAD src0_sel:BYTE_3 src1_sel:DWORD
                                        ; implicit-def: $vgpr11
; %bb.9733:                             ;   in Loop: Header=BB4_7680 Depth=3
	s_andn2_saveexec_b64 s[30:31], vcc
	s_cbranch_execz .LBB4_7678
; %bb.9734:                             ;   in Loop: Header=BB4_7680 Depth=3
	v_cmp_lt_i32_e32 vcc, -1, v11
	v_bfrev_b32_e32 v0, 0.5
	v_cndmask_b32_e32 v2, v0, v52, vcc
	s_branch .LBB4_7678
.LBB4_9735:                             ;   in Loop: Header=BB4_7595 Depth=2
	s_or_b64 exec, exec, s[40:41]
	buffer_load_dword v47, off, s[0:3], s33 offset:236 ; 4-byte Folded Reload
	buffer_load_dword v1, off, s[0:3], s33 offset:260 ; 4-byte Folded Reload
.LBB4_9736:                             ;   in Loop: Header=BB4_7595 Depth=2
	s_or_b64 exec, exec, s[42:43]
	buffer_load_dword v0, off, s[0:3], s33 offset:204 ; 4-byte Folded Reload
	s_waitcnt vmcnt(1)
	v_lshlrev_b32_e32 v5, 11, v1
	s_mov_b64 s[28:29], 0
	v_mov_b32_e32 v7, 0
                                        ; implicit-def: $vgpr23
                                        ; implicit-def: $vgpr3
	s_waitcnt vmcnt(0)
	v_cmp_ne_u32_e32 vcc, v0, v5
	s_and_saveexec_b64 s[30:31], vcc
	s_cbranch_execz .LBB4_10744
; %bb.9737:                             ;   in Loop: Header=BB4_7595 Depth=2
	buffer_load_dword v0, off, s[0:3], s33 offset:204 ; 4-byte Folded Reload
	buffer_load_dword v2, off, s[0:3], s33 offset:340 ; 4-byte Folded Reload
	s_waitcnt vmcnt(1)
	v_sub_u32_e32 v1, v0, v5
	v_lshlrev_b32_e32 v0, 6, v4
	s_waitcnt vmcnt(0)
	v_sub_u32_e32 v0, v2, v0
	v_ashrrev_i32_e32 v2, 31, v0
	v_lshrrev_b32_e32 v2, 26, v2
	v_add_u32_e32 v2, v0, v2
	v_ashrrev_i32_e32 v3, 6, v2
	v_and_b32_e32 v2, 0xffffffc0, v2
	v_sub_u32_e32 v6, v0, v2
	v_ashrrev_i32_e32 v2, 31, v1
	v_lshrrev_b32_e32 v2, 22, v2
	v_add_u32_e32 v2, v1, v2
	v_and_b32_e32 v7, 0xfffffc00, v2
	v_lshlrev_b32_e32 v0, 4, v6
	v_sub_u32_e32 v16, v1, v7
	v_lshl_add_u32 v0, v3, 10, v0
	v_ashrrev_i32_e32 v4, 10, v2
	v_cmp_lt_i32_e64 s[28:29], 15, v16
	v_sub_u32_e32 v19, v1, v0
	v_addc_co_u32_e64 v1, vcc, 0, v4, s[28:29]
	v_sub_u32_e32 v18, v1, v3
	v_cmp_lt_i32_e32 vcc, 15, v19
	s_and_saveexec_b64 s[34:35], vcc
	s_cbranch_execz .LBB4_10743
; %bb.9738:                             ;   in Loop: Header=BB4_7595 Depth=2
	v_add_u32_e32 v2, v0, v5
	buffer_load_dword v0, off, s[0:3], s33 offset:228 ; 4-byte Folded Reload
	buffer_load_dword v1, off, s[0:3], s33 offset:232 ; 4-byte Folded Reload
	v_ashrrev_i32_e32 v3, 31, v2
	s_waitcnt vmcnt(1)
	v_add_co_u32_e32 v20, vcc, v2, v0
	s_waitcnt vmcnt(0)
	v_addc_co_u32_e32 v21, vcc, v3, v1, vcc
	buffer_load_dword v0, off, s[0:3], s33 offset:252 ; 4-byte Folded Reload
	buffer_load_dword v1, off, s[0:3], s33 offset:256 ; 4-byte Folded Reload
	s_trap 2
	s_waitcnt vmcnt(1)
	v_add_co_u32_e32 v22, vcc, v2, v0
	s_waitcnt vmcnt(0)
	v_addc_co_u32_e32 v23, vcc, v3, v1, vcc
	ds_read_b64 v[0:1], v0
	buffer_load_dword v8, off, s[0:3], s33 offset:212 ; 4-byte Folded Reload
	buffer_load_dword v9, off, s[0:3], s33 offset:216 ; 4-byte Folded Reload
	s_waitcnt lgkmcnt(0)
	v_readfirstlane_b32 s42, v0
	s_bfe_i32 s38, s42, 0x80000
	s_and_b32 s43, s42, 3
	s_bfe_u32 s40, s42, 0x50002
	s_and_b32 s41, s42, 0x7c
	s_cmpk_eq_i32 s41, 0x7c
	s_flbit_i32_b32 s41, s43
	s_waitcnt vmcnt(1)
	v_add_co_u32_e32 v12, vcc, v2, v8
	s_waitcnt vmcnt(0)
	v_addc_co_u32_e32 v13, vcc, v3, v9, vcc
	v_add_co_u32_e32 v14, vcc, v0, v2
	v_addc_co_u32_e32 v15, vcc, v1, v3, vcc
	s_cselect_b64 vcc, -1, 0
	s_min_u32 s41, s41, 32
	s_sub_i32 s36, s41, 29
	v_lshlrev_b64 v[0:1], s36, v[0:1]
	s_sub_i32 s41, 30, s41
	s_cmp_eq_u32 s40, 0
	v_and_b32_e32 v0, 3, v0
	s_cselect_b32 s36, s41, s40
	v_mov_b32_e32 v1, s43
	s_cselect_b64 s[40:41], -1, 0
	v_cndmask_b32_e64 v0, v1, v0, s[40:41]
	s_lshl_b32 s40, s42, 24
	s_and_b32 s40, s40, 0x80000000
	s_lshl_b32 s41, s36, 23
	s_add_i32 s41, s41, s40
	v_lshlrev_b32_e32 v0, 21, v0
	s_cmp_eq_u32 s43, 0
	s_sext_i32_i8 s42, s42
	v_or_b32_e32 v0, s41, v0
	s_cselect_b64 s[40:41], -1, 0
	s_cmp_gt_i32 s42, -1
	s_cselect_b64 s[42:43], -1, 0
	v_mov_b32_e32 v1, 0xff800000
	v_mov_b32_e32 v2, 0x7f800000
	v_cndmask_b32_e64 v1, v1, v2, s[42:43]
	v_mov_b32_e32 v2, 0x7f800001
	v_add_u32_e32 v0, 0x38000000, v0
	v_cndmask_b32_e64 v1, v2, v1, s[40:41]
	v_cndmask_b32_e32 v24, v0, v1, vcc
	s_mov_b64 s[36:37], 0
	s_and_b32 s52, s38, 0xff
.LBB4_9739:                             ;   Parent Loop BB4_47 Depth=1
                                        ;     Parent Loop BB4_7595 Depth=2
                                        ; =>    This Loop Header: Depth=3
                                        ;         Child Loop BB4_10720 Depth 4
	s_cmpk_lt_i32 s52, 0x80
	s_cbranch_scc1 .LBB4_9743
; %bb.9740:                             ;   in Loop: Header=BB4_9739 Depth=3
	s_and_b32 s42, 0xffff, s52
	s_mov_b64 s[40:41], -1
	s_cmpk_eq_i32 s42, 0x80
	s_cbranch_scc0 .LBB4_9742
; %bb.9741:                             ;   in Loop: Header=BB4_9739 Depth=3
	s_mov_b64 s[40:41], 0
.LBB4_9742:                             ;   in Loop: Header=BB4_9739 Depth=3
	s_brev_b32 s38, 1
	s_branch .LBB4_9745
.LBB4_9743:                             ;   in Loop: Header=BB4_9739 Depth=3
	s_mov_b64 s[40:41], 0
	s_brev_b32 s38, 1
	s_cbranch_execz .LBB4_9745
; %bb.9744:                             ;   in Loop: Header=BB4_9739 Depth=3
	s_and_b32 s40, 0xffff, s52
	s_cmp_lg_u32 s40, 0
	s_mov_b32 s38, 0
	s_cselect_b64 s[40:41], -1, 0
.LBB4_9745:                             ;   in Loop: Header=BB4_9739 Depth=3
	s_andn2_b64 vcc, exec, s[40:41]
	v_mov_b32_e32 v27, s38
	s_cbranch_vccnz .LBB4_9747
; %bb.9746:                             ;   in Loop: Header=BB4_9739 Depth=3
	v_mov_b32_e32 v27, v24
.LBB4_9747:                             ;   in Loop: Header=BB4_9739 Depth=3
	global_load_dwordx4 v[8:11], v[12:13], off glc slc
	v_mov_b32_e32 v0, 0
	s_waitcnt vmcnt(0)
	v_cmp_ne_u16_sdwa s[42:43], v8, v17 src0_sel:BYTE_0 src1_sel:DWORD
	s_and_saveexec_b64 s[40:41], s[42:43]
	s_cbranch_execz .LBB4_9755
; %bb.9748:                             ;   in Loop: Header=BB4_9739 Depth=3
	v_cmp_ne_u16_sdwa vcc, sext(v8), s97 src0_sel:BYTE_0 src1_sel:DWORD
	v_bfrev_b32_e32 v0, 1
	s_and_saveexec_b64 s[42:43], vcc
	s_cbranch_execz .LBB4_9754
; %bb.9749:                             ;   in Loop: Header=BB4_9739 Depth=3
	v_and_b32_e32 v0, 0x7c, v8
	v_and_b32_e32 v1, 3, v8
	v_cmp_ne_u32_e32 vcc, s85, v0
                                        ; implicit-def: $vgpr0
	s_and_saveexec_b64 s[38:39], vcc
	s_xor_b64 s[38:39], exec, s[38:39]
	s_cbranch_execz .LBB4_9751
; %bb.9750:                             ;   in Loop: Header=BB4_9739 Depth=3
	v_ffbh_u32_e32 v2, v1
	v_min_u32_e32 v4, 32, v2
	v_subrev_u32_e32 v2, 29, v4
	v_lshlrev_b64 v[2:3], v2, v[8:9]
	v_bfe_u32 v0, v8, 2, 5
	v_and_b32_e32 v2, 3, v2
	v_cmp_eq_u32_e32 vcc, 0, v0
	v_sub_u32_e32 v3, 30, v4
	v_cndmask_b32_e32 v1, v1, v2, vcc
	v_lshlrev_b32_e32 v2, 24, v8
	v_cndmask_b32_e32 v0, v0, v3, vcc
	v_and_b32_e32 v2, 0x80000000, v2
	v_lshl_add_u32 v0, v0, 23, v2
	v_lshl_or_b32 v0, v1, 21, v0
	v_add_u32_e32 v0, 0x38000000, v0
                                        ; implicit-def: $vgpr1
.LBB4_9751:                             ;   in Loop: Header=BB4_9739 Depth=3
	s_andn2_saveexec_b64 s[38:39], s[38:39]
; %bb.9752:                             ;   in Loop: Header=BB4_9739 Depth=3
	v_mov_b32_e32 v0, -1
	v_cmp_gt_i16_sdwa vcc, sext(v8), v0 src0_sel:BYTE_0 src1_sel:DWORD
	v_mov_b32_e32 v0, 0xff800000
	v_mov_b32_e32 v2, 0x7f800000
	v_cndmask_b32_e32 v0, v0, v2, vcc
	v_cmp_eq_u32_e32 vcc, 0, v1
	v_mov_b32_e32 v1, 0x7f800001
	v_cndmask_b32_e32 v0, v1, v0, vcc
; %bb.9753:                             ;   in Loop: Header=BB4_9739 Depth=3
	s_or_b64 exec, exec, s[38:39]
.LBB4_9754:                             ;   in Loop: Header=BB4_9739 Depth=3
	s_or_b64 exec, exec, s[42:43]
.LBB4_9755:                             ;   in Loop: Header=BB4_9739 Depth=3
	s_or_b64 exec, exec, s[40:41]
	v_mul_f32_e32 v2, v27, v0
	v_and_b32_e32 v3, 0x7f800000, v2
	v_mov_b32_e32 v4, v17
	v_cmp_ne_u64_e32 vcc, s[76:77], v[3:4]
	v_and_b32_e32 v0, 0x7fffff, v2
	v_mov_b32_e32 v1, v17
                                        ; implicit-def: $vgpr25
	s_and_saveexec_b64 s[40:41], vcc
	s_xor_b64 s[42:43], exec, s[40:41]
	s_cbranch_execz .LBB4_9769
; %bb.9756:                             ;   in Loop: Header=BB4_9739 Depth=3
	v_and_b32_e32 v3, 0x7fffffff, v2
	v_mov_b32_e32 v4, v17
	v_cmp_gt_u64_e32 vcc, s[78:79], v[3:4]
	v_and_b32_sdwa v3, v2, s96 dst_sel:DWORD dst_unused:UNUSED_PAD src0_sel:BYTE_3 src1_sel:DWORD
                                        ; implicit-def: $vgpr25
	s_and_saveexec_b64 s[40:41], vcc
	s_xor_b64 s[38:39], exec, s[40:41]
	s_cbranch_execz .LBB4_9766
; %bb.9757:                             ;   in Loop: Header=BB4_9739 Depth=3
	v_mov_b32_e32 v25, 0
	v_cmp_ne_u32_e32 vcc, 0, v2
	s_and_saveexec_b64 s[48:49], vcc
	s_cbranch_execz .LBB4_9765
; %bb.9758:                             ;   in Loop: Header=BB4_9739 Depth=3
	v_bfe_u32 v4, v2, 23, 8
	v_cmp_gt_u32_e64 s[40:41], s46, v4
	v_sub_u32_e32 v2, 0x71, v4
	v_cmp_eq_u32_e32 vcc, 0, v4
	v_cndmask_b32_e64 v2, 0, v2, s[40:41]
	v_mov_b32_e32 v25, 0x70
	v_cndmask_b32_e32 v25, v2, v25, vcc
	v_add_u32_e32 v2, 21, v25
	v_or_b32_e32 v26, 0x800000, v0
	v_lshlrev_b64 v[30:31], v2, -1
	v_cndmask_b32_e32 v0, v26, v0, vcc
	v_add_u32_e32 v2, 20, v25
	v_bfi_b32 v30, v30, 0, v0
	v_lshlrev_b64 v[32:33], v2, 1
	v_lshrrev_b64 v[0:1], v25, v[0:1]
	v_bfi_b32 v31, v31, 0, 0
	v_cmp_eq_u64_e64 s[40:41], v[30:31], v[32:33]
	v_mov_b32_e32 v2, v1
	v_mov_b32_e32 v1, v0
	s_and_saveexec_b64 s[50:51], s[40:41]
; %bb.9759:                             ;   in Loop: Header=BB4_9739 Depth=3
	v_bfe_u32 v1, v0, 21, 1
	v_add_co_u32_e64 v1, s[40:41], v0, v1
	v_add_co_u32_e64 v1, s[40:41], -1, v1
; %bb.9760:                             ;   in Loop: Header=BB4_9739 Depth=3
	s_or_b64 exec, exec, s[50:51]
	v_add_u32_e32 v2, 0xffffff81, v4
	v_mov_b32_e32 v4, 0xffffff82
	v_cndmask_b32_e32 v2, v2, v4, vcc
	v_lshrrev_b32_e32 v4, 23, v0
	v_add3_u32 v25, v25, v2, v4
	v_add_u32_e32 v4, 14, v25
	v_and_b32_e32 v1, 0x1fffff, v1
	v_add_u32_e32 v0, v1, v0
	v_mov_b32_e32 v1, v17
	v_cmp_ne_u32_e32 vcc, 0, v4
                                        ; implicit-def: $vgpr2
	s_and_saveexec_b64 s[40:41], vcc
	s_xor_b64 s[40:41], exec, s[40:41]
; %bb.9761:                             ;   in Loop: Header=BB4_9739 Depth=3
	v_cmp_lt_u64_e32 vcc, s[88:89], v[0:1]
	v_add_u32_e32 v2, 15, v25
	v_cndmask_b32_e32 v2, v4, v2, vcc
	v_cndmask_b32_e64 v4, 0, 1, vcc
	v_lshrrev_b64 v[0:1], v4, v[0:1]
; %bb.9762:                             ;   in Loop: Header=BB4_9739 Depth=3
	s_andn2_saveexec_b64 s[40:41], s[40:41]
; %bb.9763:                             ;   in Loop: Header=BB4_9739 Depth=3
	v_bfe_u32 v2, v0, 23, 1
; %bb.9764:                             ;   in Loop: Header=BB4_9739 Depth=3
	s_or_b64 exec, exec, s[40:41]
	v_lshrrev_b64 v[0:1], 21, v[0:1]
	v_cmp_gt_i32_e32 vcc, 32, v2
	v_cndmask_b32_e32 v1, 0, v1, vcc
	v_cndmask_b32_e32 v0, 3, v0, vcc
	v_cmp_eq_u64_e64 s[40:41], 0, v[0:1]
	v_min_i32_e32 v1, 31, v2
	v_lshlrev_b32_e32 v1, 2, v1
	v_cmp_eq_u32_e32 vcc, 0, v2
	v_and_b32_e32 v1, 0xfc, v1
	v_and_or_b32 v0, v0, 3, v1
	s_and_b64 s[40:41], vcc, s[40:41]
	v_cndmask_b32_e64 v0, v0, 0, s[40:41]
	v_or_b32_e32 v25, v0, v3
.LBB4_9765:                             ;   in Loop: Header=BB4_9739 Depth=3
	s_or_b64 exec, exec, s[48:49]
                                        ; implicit-def: $vgpr3
.LBB4_9766:                             ;   in Loop: Header=BB4_9739 Depth=3
	s_andn2_saveexec_b64 s[40:41], s[38:39]
; %bb.9767:                             ;   in Loop: Header=BB4_9739 Depth=3
	v_or_b32_e32 v25, 0x7b, v3
; %bb.9768:                             ;   in Loop: Header=BB4_9739 Depth=3
	s_or_b64 exec, exec, s[40:41]
                                        ; implicit-def: $vgpr2
                                        ; implicit-def: $vgpr0_vgpr1
.LBB4_9769:                             ;   in Loop: Header=BB4_9739 Depth=3
	s_andn2_saveexec_b64 s[40:41], s[42:43]
	s_cbranch_execz .LBB4_9775
; %bb.9770:                             ;   in Loop: Header=BB4_9739 Depth=3
	v_cmp_ne_u64_e32 vcc, 0, v[0:1]
                                        ; implicit-def: $vgpr25
	s_and_saveexec_b64 s[42:43], vcc
	s_xor_b64 s[42:43], exec, s[42:43]
; %bb.9771:                             ;   in Loop: Header=BB4_9739 Depth=3
	v_or_b32_sdwa v25, v2, s47 dst_sel:DWORD dst_unused:UNUSED_PAD src0_sel:BYTE_3 src1_sel:DWORD
                                        ; implicit-def: $vgpr2
; %bb.9772:                             ;   in Loop: Header=BB4_9739 Depth=3
	s_andn2_saveexec_b64 s[42:43], s[42:43]
; %bb.9773:                             ;   in Loop: Header=BB4_9739 Depth=3
	v_cmp_lt_i32_e32 vcc, -1, v2
	v_bfrev_b32_e32 v0, 0.5
	v_cndmask_b32_e32 v25, v0, v52, vcc
; %bb.9774:                             ;   in Loop: Header=BB4_9739 Depth=3
	s_or_b64 exec, exec, s[42:43]
.LBB4_9775:                             ;   in Loop: Header=BB4_9739 Depth=3
	s_or_b64 exec, exec, s[40:41]
	v_lshrrev_b16_e32 v0, 8, v8
	v_cmp_ne_u16_e32 vcc, 0, v0
	v_mov_b32_e32 v1, 0
	s_and_saveexec_b64 s[40:41], vcc
	s_cbranch_execz .LBB4_9783
; %bb.9776:                             ;   in Loop: Header=BB4_9739 Depth=3
	v_cmp_ne_u16_e32 vcc, s96, v0
	v_bfrev_b32_e32 v1, 1
	s_and_saveexec_b64 s[42:43], vcc
	s_cbranch_execz .LBB4_9782
; %bb.9777:                             ;   in Loop: Header=BB4_9739 Depth=3
	v_and_b32_e32 v1, 0x7c, v0
	v_and_b32_e32 v2, 3, v0
	v_cmp_ne_u32_e32 vcc, s85, v1
                                        ; implicit-def: $vgpr1
	s_and_saveexec_b64 s[38:39], vcc
	s_xor_b64 s[38:39], exec, s[38:39]
	s_cbranch_execz .LBB4_9779
; %bb.9778:                             ;   in Loop: Header=BB4_9739 Depth=3
	v_ffbh_u32_e32 v4, v2
	v_min_u32_e32 v4, 32, v4
	v_mov_b32_e32 v1, v17
	v_subrev_u32_e32 v26, 29, v4
	v_bfe_u32 v3, v0, 2, 5
	v_lshlrev_b64 v[0:1], v26, v[0:1]
	v_cmp_eq_u32_e32 vcc, 0, v3
	v_and_b32_e32 v0, 3, v0
	v_sub_u32_e32 v1, 30, v4
	v_cndmask_b32_e32 v0, v2, v0, vcc
	v_lshlrev_b32_e32 v2, 16, v8
	v_cndmask_b32_e32 v1, v3, v1, vcc
	v_and_b32_e32 v2, 0x80000000, v2
	v_lshl_add_u32 v1, v1, 23, v2
	v_lshl_or_b32 v0, v0, 21, v1
	v_add_u32_e32 v1, 0x38000000, v0
                                        ; implicit-def: $vgpr2
.LBB4_9779:                             ;   in Loop: Header=BB4_9739 Depth=3
	s_andn2_saveexec_b64 s[38:39], s[38:39]
; %bb.9780:                             ;   in Loop: Header=BB4_9739 Depth=3
	v_cmp_lt_i16_e32 vcc, -1, v8
	v_mov_b32_e32 v0, 0xff800000
	v_mov_b32_e32 v1, 0x7f800000
	v_cndmask_b32_e32 v0, v0, v1, vcc
	v_cmp_eq_u32_e32 vcc, 0, v2
	v_mov_b32_e32 v1, 0x7f800001
	v_cndmask_b32_e32 v1, v1, v0, vcc
; %bb.9781:                             ;   in Loop: Header=BB4_9739 Depth=3
	s_or_b64 exec, exec, s[38:39]
.LBB4_9782:                             ;   in Loop: Header=BB4_9739 Depth=3
	s_or_b64 exec, exec, s[42:43]
.LBB4_9783:                             ;   in Loop: Header=BB4_9739 Depth=3
	s_or_b64 exec, exec, s[40:41]
	v_mul_f32_e32 v2, v27, v1
	v_and_b32_e32 v3, 0x7f800000, v2
	v_mov_b32_e32 v4, v17
	v_cmp_ne_u64_e32 vcc, s[76:77], v[3:4]
	v_and_b32_e32 v0, 0x7fffff, v2
	v_mov_b32_e32 v1, v17
                                        ; implicit-def: $vgpr32
	s_and_saveexec_b64 s[40:41], vcc
	s_xor_b64 s[42:43], exec, s[40:41]
	s_cbranch_execz .LBB4_9797
; %bb.9784:                             ;   in Loop: Header=BB4_9739 Depth=3
	v_and_b32_e32 v3, 0x7fffffff, v2
	v_mov_b32_e32 v4, v17
	v_cmp_gt_u64_e32 vcc, s[78:79], v[3:4]
	v_and_b32_sdwa v3, v2, s96 dst_sel:DWORD dst_unused:UNUSED_PAD src0_sel:BYTE_3 src1_sel:DWORD
                                        ; implicit-def: $vgpr32
	s_and_saveexec_b64 s[40:41], vcc
	s_xor_b64 s[38:39], exec, s[40:41]
	s_cbranch_execz .LBB4_9794
; %bb.9785:                             ;   in Loop: Header=BB4_9739 Depth=3
	v_mov_b32_e32 v32, 0
	v_cmp_ne_u32_e32 vcc, 0, v2
	s_and_saveexec_b64 s[48:49], vcc
	s_cbranch_execz .LBB4_9793
; %bb.9786:                             ;   in Loop: Header=BB4_9739 Depth=3
	v_bfe_u32 v4, v2, 23, 8
	v_cmp_gt_u32_e64 s[40:41], s46, v4
	v_sub_u32_e32 v2, 0x71, v4
	v_cmp_eq_u32_e32 vcc, 0, v4
	v_cndmask_b32_e64 v2, 0, v2, s[40:41]
	v_mov_b32_e32 v26, 0x70
	v_cndmask_b32_e32 v26, v2, v26, vcc
	v_add_u32_e32 v2, 21, v26
	v_or_b32_e32 v28, 0x800000, v0
	v_lshlrev_b64 v[30:31], v2, -1
	v_cndmask_b32_e32 v0, v28, v0, vcc
	v_add_u32_e32 v2, 20, v26
	v_bfi_b32 v30, v30, 0, v0
	v_lshlrev_b64 v[32:33], v2, 1
	v_lshrrev_b64 v[0:1], v26, v[0:1]
	v_bfi_b32 v31, v31, 0, 0
	v_cmp_eq_u64_e64 s[40:41], v[30:31], v[32:33]
	v_mov_b32_e32 v2, v1
	v_mov_b32_e32 v1, v0
	s_and_saveexec_b64 s[50:51], s[40:41]
; %bb.9787:                             ;   in Loop: Header=BB4_9739 Depth=3
	v_bfe_u32 v1, v0, 21, 1
	v_add_co_u32_e64 v1, s[40:41], v0, v1
	v_add_co_u32_e64 v1, s[40:41], -1, v1
; %bb.9788:                             ;   in Loop: Header=BB4_9739 Depth=3
	s_or_b64 exec, exec, s[50:51]
	v_add_u32_e32 v2, 0xffffff81, v4
	v_mov_b32_e32 v4, 0xffffff82
	v_cndmask_b32_e32 v2, v2, v4, vcc
	v_lshrrev_b32_e32 v4, 23, v0
	v_add3_u32 v26, v26, v2, v4
	v_add_u32_e32 v4, 14, v26
	v_and_b32_e32 v1, 0x1fffff, v1
	v_add_u32_e32 v0, v1, v0
	v_mov_b32_e32 v1, v17
	v_cmp_ne_u32_e32 vcc, 0, v4
                                        ; implicit-def: $vgpr2
	s_and_saveexec_b64 s[40:41], vcc
	s_xor_b64 s[40:41], exec, s[40:41]
; %bb.9789:                             ;   in Loop: Header=BB4_9739 Depth=3
	v_cmp_lt_u64_e32 vcc, s[88:89], v[0:1]
	v_add_u32_e32 v2, 15, v26
	v_cndmask_b32_e32 v2, v4, v2, vcc
	v_cndmask_b32_e64 v4, 0, 1, vcc
	v_lshrrev_b64 v[0:1], v4, v[0:1]
; %bb.9790:                             ;   in Loop: Header=BB4_9739 Depth=3
	s_andn2_saveexec_b64 s[40:41], s[40:41]
; %bb.9791:                             ;   in Loop: Header=BB4_9739 Depth=3
	v_bfe_u32 v2, v0, 23, 1
; %bb.9792:                             ;   in Loop: Header=BB4_9739 Depth=3
	s_or_b64 exec, exec, s[40:41]
	v_lshrrev_b64 v[0:1], 21, v[0:1]
	v_cmp_gt_i32_e32 vcc, 32, v2
	v_cndmask_b32_e32 v1, 0, v1, vcc
	v_cndmask_b32_e32 v0, 3, v0, vcc
	v_cmp_eq_u64_e64 s[40:41], 0, v[0:1]
	v_min_i32_e32 v1, 31, v2
	v_lshlrev_b32_e32 v1, 2, v1
	v_cmp_eq_u32_e32 vcc, 0, v2
	v_and_b32_e32 v1, 0xfc, v1
	v_and_or_b32 v0, v0, 3, v1
	s_and_b64 s[40:41], vcc, s[40:41]
	v_cndmask_b32_e64 v0, v0, 0, s[40:41]
	v_or_b32_e32 v32, v0, v3
.LBB4_9793:                             ;   in Loop: Header=BB4_9739 Depth=3
	s_or_b64 exec, exec, s[48:49]
                                        ; implicit-def: $vgpr3
.LBB4_9794:                             ;   in Loop: Header=BB4_9739 Depth=3
	s_andn2_saveexec_b64 s[40:41], s[38:39]
; %bb.9795:                             ;   in Loop: Header=BB4_9739 Depth=3
	v_or_b32_e32 v32, 0x7b, v3
; %bb.9796:                             ;   in Loop: Header=BB4_9739 Depth=3
	s_or_b64 exec, exec, s[40:41]
                                        ; implicit-def: $vgpr2
                                        ; implicit-def: $vgpr0_vgpr1
.LBB4_9797:                             ;   in Loop: Header=BB4_9739 Depth=3
	s_andn2_saveexec_b64 s[40:41], s[42:43]
	s_cbranch_execz .LBB4_9803
; %bb.9798:                             ;   in Loop: Header=BB4_9739 Depth=3
	v_cmp_ne_u64_e32 vcc, 0, v[0:1]
                                        ; implicit-def: $vgpr32
	s_and_saveexec_b64 s[42:43], vcc
	s_xor_b64 s[42:43], exec, s[42:43]
; %bb.9799:                             ;   in Loop: Header=BB4_9739 Depth=3
	v_or_b32_sdwa v32, v2, s47 dst_sel:DWORD dst_unused:UNUSED_PAD src0_sel:BYTE_3 src1_sel:DWORD
                                        ; implicit-def: $vgpr2
; %bb.9800:                             ;   in Loop: Header=BB4_9739 Depth=3
	s_andn2_saveexec_b64 s[42:43], s[42:43]
; %bb.9801:                             ;   in Loop: Header=BB4_9739 Depth=3
	v_cmp_lt_i32_e32 vcc, -1, v2
	v_bfrev_b32_e32 v0, 0.5
	v_cndmask_b32_e32 v32, v0, v52, vcc
; %bb.9802:                             ;   in Loop: Header=BB4_9739 Depth=3
	s_or_b64 exec, exec, s[42:43]
.LBB4_9803:                             ;   in Loop: Header=BB4_9739 Depth=3
	s_or_b64 exec, exec, s[40:41]
	v_lshrrev_b32_e32 v0, 16, v8
	v_cmp_ne_u16_sdwa s[42:43], v0, v17 src0_sel:BYTE_0 src1_sel:DWORD
	v_mov_b32_e32 v1, 0
	s_and_saveexec_b64 s[40:41], s[42:43]
	s_cbranch_execz .LBB4_9811
; %bb.9804:                             ;   in Loop: Header=BB4_9739 Depth=3
	v_cmp_ne_u16_sdwa vcc, v0, s96 src0_sel:BYTE_0 src1_sel:DWORD
	v_bfrev_b32_e32 v1, 1
	s_and_saveexec_b64 s[42:43], vcc
	s_cbranch_execz .LBB4_9810
; %bb.9805:                             ;   in Loop: Header=BB4_9739 Depth=3
	v_and_b32_e32 v1, 0x7c0000, v8
	v_bfe_u32 v2, v8, 16, 2
	v_cmp_ne_u32_e32 vcc, s44, v1
                                        ; implicit-def: $vgpr1
	s_and_saveexec_b64 s[38:39], vcc
	s_xor_b64 s[38:39], exec, s[38:39]
	s_cbranch_execz .LBB4_9807
; %bb.9806:                             ;   in Loop: Header=BB4_9739 Depth=3
	v_ffbh_u32_e32 v1, v2
	v_min_u32_e32 v4, 32, v1
	v_subrev_u32_e32 v1, 29, v4
	v_lshlrev_b64 v[0:1], v1, v[0:1]
	v_bfe_u32 v3, v8, 18, 5
	v_and_b32_e32 v0, 3, v0
	v_cmp_eq_u32_e32 vcc, 0, v3
	v_sub_u32_e32 v1, 30, v4
	v_cndmask_b32_e32 v0, v2, v0, vcc
	v_lshlrev_b32_e32 v2, 8, v8
	v_cndmask_b32_e32 v1, v3, v1, vcc
	v_and_b32_e32 v2, 0x80000000, v2
	v_lshl_add_u32 v1, v1, 23, v2
	v_lshl_or_b32 v0, v0, 21, v1
	v_add_u32_e32 v1, 0x38000000, v0
                                        ; implicit-def: $vgpr2
                                        ; implicit-def: $vgpr0
.LBB4_9807:                             ;   in Loop: Header=BB4_9739 Depth=3
	s_andn2_saveexec_b64 s[38:39], s[38:39]
; %bb.9808:                             ;   in Loop: Header=BB4_9739 Depth=3
	v_mov_b32_e32 v1, -1
	v_cmp_gt_i16_sdwa vcc, sext(v0), v1 src0_sel:BYTE_0 src1_sel:DWORD
	v_mov_b32_e32 v0, 0xff800000
	v_mov_b32_e32 v1, 0x7f800000
	v_cndmask_b32_e32 v0, v0, v1, vcc
	v_cmp_eq_u32_e32 vcc, 0, v2
	v_mov_b32_e32 v1, 0x7f800001
	v_cndmask_b32_e32 v1, v1, v0, vcc
; %bb.9809:                             ;   in Loop: Header=BB4_9739 Depth=3
	s_or_b64 exec, exec, s[38:39]
.LBB4_9810:                             ;   in Loop: Header=BB4_9739 Depth=3
	s_or_b64 exec, exec, s[42:43]
.LBB4_9811:                             ;   in Loop: Header=BB4_9739 Depth=3
	s_or_b64 exec, exec, s[40:41]
	v_mul_f32_e32 v2, v27, v1
	v_and_b32_e32 v3, 0x7f800000, v2
	v_mov_b32_e32 v4, v17
	v_cmp_ne_u64_e32 vcc, s[76:77], v[3:4]
	v_and_b32_e32 v0, 0x7fffff, v2
	v_mov_b32_e32 v1, v17
                                        ; implicit-def: $vgpr35
	s_and_saveexec_b64 s[40:41], vcc
	s_xor_b64 s[42:43], exec, s[40:41]
	s_cbranch_execz .LBB4_9825
; %bb.9812:                             ;   in Loop: Header=BB4_9739 Depth=3
	v_and_b32_e32 v3, 0x7fffffff, v2
	v_mov_b32_e32 v4, v17
	v_cmp_gt_u64_e32 vcc, s[78:79], v[3:4]
	v_and_b32_sdwa v3, v2, s96 dst_sel:DWORD dst_unused:UNUSED_PAD src0_sel:BYTE_3 src1_sel:DWORD
                                        ; implicit-def: $vgpr35
	s_and_saveexec_b64 s[40:41], vcc
	s_xor_b64 s[38:39], exec, s[40:41]
	s_cbranch_execz .LBB4_9822
; %bb.9813:                             ;   in Loop: Header=BB4_9739 Depth=3
	v_mov_b32_e32 v35, 0
	v_cmp_ne_u32_e32 vcc, 0, v2
	s_and_saveexec_b64 s[48:49], vcc
	s_cbranch_execz .LBB4_9821
; %bb.9814:                             ;   in Loop: Header=BB4_9739 Depth=3
	v_bfe_u32 v4, v2, 23, 8
	v_cmp_gt_u32_e64 s[40:41], s46, v4
	v_sub_u32_e32 v2, 0x71, v4
	v_cmp_eq_u32_e32 vcc, 0, v4
	v_cndmask_b32_e64 v2, 0, v2, s[40:41]
	v_mov_b32_e32 v26, 0x70
	v_cndmask_b32_e32 v26, v2, v26, vcc
	v_add_u32_e32 v2, 21, v26
	v_or_b32_e32 v28, 0x800000, v0
	v_lshlrev_b64 v[30:31], v2, -1
	v_cndmask_b32_e32 v0, v28, v0, vcc
	v_add_u32_e32 v2, 20, v26
	v_bfi_b32 v30, v30, 0, v0
	v_lshlrev_b64 v[33:34], v2, 1
	v_lshrrev_b64 v[0:1], v26, v[0:1]
	v_bfi_b32 v31, v31, 0, 0
	v_cmp_eq_u64_e64 s[40:41], v[30:31], v[33:34]
	v_mov_b32_e32 v2, v1
	v_mov_b32_e32 v1, v0
	s_and_saveexec_b64 s[50:51], s[40:41]
; %bb.9815:                             ;   in Loop: Header=BB4_9739 Depth=3
	v_bfe_u32 v1, v0, 21, 1
	v_add_co_u32_e64 v1, s[40:41], v0, v1
	v_add_co_u32_e64 v1, s[40:41], -1, v1
; %bb.9816:                             ;   in Loop: Header=BB4_9739 Depth=3
	s_or_b64 exec, exec, s[50:51]
	v_add_u32_e32 v2, 0xffffff81, v4
	v_mov_b32_e32 v4, 0xffffff82
	v_cndmask_b32_e32 v2, v2, v4, vcc
	v_lshrrev_b32_e32 v4, 23, v0
	v_add3_u32 v26, v26, v2, v4
	v_add_u32_e32 v4, 14, v26
	v_and_b32_e32 v1, 0x1fffff, v1
	v_add_u32_e32 v0, v1, v0
	v_mov_b32_e32 v1, v17
	v_cmp_ne_u32_e32 vcc, 0, v4
                                        ; implicit-def: $vgpr2
	s_and_saveexec_b64 s[40:41], vcc
	s_xor_b64 s[40:41], exec, s[40:41]
; %bb.9817:                             ;   in Loop: Header=BB4_9739 Depth=3
	v_cmp_lt_u64_e32 vcc, s[88:89], v[0:1]
	v_add_u32_e32 v2, 15, v26
	v_cndmask_b32_e32 v2, v4, v2, vcc
	v_cndmask_b32_e64 v4, 0, 1, vcc
	v_lshrrev_b64 v[0:1], v4, v[0:1]
; %bb.9818:                             ;   in Loop: Header=BB4_9739 Depth=3
	s_andn2_saveexec_b64 s[40:41], s[40:41]
; %bb.9819:                             ;   in Loop: Header=BB4_9739 Depth=3
	v_bfe_u32 v2, v0, 23, 1
; %bb.9820:                             ;   in Loop: Header=BB4_9739 Depth=3
	s_or_b64 exec, exec, s[40:41]
	v_lshrrev_b64 v[0:1], 21, v[0:1]
	v_cmp_gt_i32_e32 vcc, 32, v2
	v_cndmask_b32_e32 v1, 0, v1, vcc
	v_cndmask_b32_e32 v0, 3, v0, vcc
	v_cmp_eq_u64_e64 s[40:41], 0, v[0:1]
	v_min_i32_e32 v1, 31, v2
	v_lshlrev_b32_e32 v1, 2, v1
	v_cmp_eq_u32_e32 vcc, 0, v2
	v_and_b32_e32 v1, 0xfc, v1
	v_and_or_b32 v0, v0, 3, v1
	s_and_b64 s[40:41], vcc, s[40:41]
	v_cndmask_b32_e64 v0, v0, 0, s[40:41]
	v_or_b32_e32 v35, v0, v3
.LBB4_9821:                             ;   in Loop: Header=BB4_9739 Depth=3
	s_or_b64 exec, exec, s[48:49]
                                        ; implicit-def: $vgpr3
.LBB4_9822:                             ;   in Loop: Header=BB4_9739 Depth=3
	s_andn2_saveexec_b64 s[40:41], s[38:39]
; %bb.9823:                             ;   in Loop: Header=BB4_9739 Depth=3
	v_or_b32_e32 v35, 0x7b, v3
; %bb.9824:                             ;   in Loop: Header=BB4_9739 Depth=3
	s_or_b64 exec, exec, s[40:41]
                                        ; implicit-def: $vgpr2
                                        ; implicit-def: $vgpr0_vgpr1
.LBB4_9825:                             ;   in Loop: Header=BB4_9739 Depth=3
	s_andn2_saveexec_b64 s[40:41], s[42:43]
	s_cbranch_execz .LBB4_9831
; %bb.9826:                             ;   in Loop: Header=BB4_9739 Depth=3
	v_cmp_ne_u64_e32 vcc, 0, v[0:1]
                                        ; implicit-def: $vgpr35
	s_and_saveexec_b64 s[42:43], vcc
	s_xor_b64 s[42:43], exec, s[42:43]
; %bb.9827:                             ;   in Loop: Header=BB4_9739 Depth=3
	v_or_b32_sdwa v35, v2, s47 dst_sel:DWORD dst_unused:UNUSED_PAD src0_sel:BYTE_3 src1_sel:DWORD
                                        ; implicit-def: $vgpr2
; %bb.9828:                             ;   in Loop: Header=BB4_9739 Depth=3
	s_andn2_saveexec_b64 s[42:43], s[42:43]
; %bb.9829:                             ;   in Loop: Header=BB4_9739 Depth=3
	v_cmp_lt_i32_e32 vcc, -1, v2
	v_bfrev_b32_e32 v0, 0.5
	v_cndmask_b32_e32 v35, v0, v52, vcc
; %bb.9830:                             ;   in Loop: Header=BB4_9739 Depth=3
	s_or_b64 exec, exec, s[42:43]
.LBB4_9831:                             ;   in Loop: Header=BB4_9739 Depth=3
	s_or_b64 exec, exec, s[40:41]
	v_cmp_lt_u32_e32 vcc, s57, v8
	v_mov_b32_e32 v1, 0
	s_and_saveexec_b64 s[40:41], vcc
	s_cbranch_execz .LBB4_9839
; %bb.9832:                             ;   in Loop: Header=BB4_9739 Depth=3
	v_lshrrev_b32_e32 v0, 24, v8
	v_cmp_ne_u32_e32 vcc, s96, v0
	v_bfrev_b32_e32 v1, 1
	s_and_saveexec_b64 s[42:43], vcc
	s_cbranch_execz .LBB4_9838
; %bb.9833:                             ;   in Loop: Header=BB4_9739 Depth=3
	v_and_b32_e32 v1, 0x7c000000, v8
	v_bfe_u32 v2, v8, 24, 2
	v_cmp_ne_u32_e32 vcc, s45, v1
                                        ; implicit-def: $vgpr1
	s_and_saveexec_b64 s[38:39], vcc
	s_xor_b64 s[38:39], exec, s[38:39]
	s_cbranch_execz .LBB4_9835
; %bb.9834:                             ;   in Loop: Header=BB4_9739 Depth=3
	v_ffbh_u32_e32 v1, v2
	v_min_u32_e32 v4, 32, v1
	v_subrev_u32_e32 v1, 29, v4
	v_lshlrev_b64 v[0:1], v1, v[0:1]
	v_bfe_u32 v3, v8, 26, 5
	v_sub_u32_e32 v1, 30, v4
	v_and_b32_e32 v0, 3, v0
	v_cmp_eq_u32_e32 vcc, 0, v3
	v_cndmask_b32_e32 v1, v3, v1, vcc
	v_cndmask_b32_e32 v0, v2, v0, vcc
	v_and_b32_e32 v2, 0x80000000, v8
	v_lshl_add_u32 v1, v1, 23, v2
	v_lshl_or_b32 v0, v0, 21, v1
	v_add_u32_e32 v1, 0x38000000, v0
                                        ; implicit-def: $vgpr2
.LBB4_9835:                             ;   in Loop: Header=BB4_9739 Depth=3
	s_andn2_saveexec_b64 s[38:39], s[38:39]
; %bb.9836:                             ;   in Loop: Header=BB4_9739 Depth=3
	v_cmp_lt_i32_e32 vcc, -1, v8
	v_mov_b32_e32 v0, 0xff800000
	v_mov_b32_e32 v1, 0x7f800000
	v_cndmask_b32_e32 v0, v0, v1, vcc
	v_cmp_eq_u32_e32 vcc, 0, v2
	v_mov_b32_e32 v1, 0x7f800001
	v_cndmask_b32_e32 v1, v1, v0, vcc
; %bb.9837:                             ;   in Loop: Header=BB4_9739 Depth=3
	s_or_b64 exec, exec, s[38:39]
.LBB4_9838:                             ;   in Loop: Header=BB4_9739 Depth=3
	s_or_b64 exec, exec, s[42:43]
.LBB4_9839:                             ;   in Loop: Header=BB4_9739 Depth=3
	s_or_b64 exec, exec, s[40:41]
	v_mul_f32_e32 v2, v27, v1
	v_and_b32_e32 v3, 0x7f800000, v2
	v_mov_b32_e32 v4, v17
	v_cmp_ne_u64_e32 vcc, s[76:77], v[3:4]
	v_and_b32_e32 v0, 0x7fffff, v2
	v_mov_b32_e32 v1, v17
                                        ; implicit-def: $vgpr53
	s_and_saveexec_b64 s[40:41], vcc
	s_xor_b64 s[42:43], exec, s[40:41]
	s_cbranch_execz .LBB4_9853
; %bb.9840:                             ;   in Loop: Header=BB4_9739 Depth=3
	v_and_b32_e32 v3, 0x7fffffff, v2
	v_mov_b32_e32 v4, v17
	v_cmp_gt_u64_e32 vcc, s[78:79], v[3:4]
	v_and_b32_sdwa v3, v2, s96 dst_sel:DWORD dst_unused:UNUSED_PAD src0_sel:BYTE_3 src1_sel:DWORD
                                        ; implicit-def: $vgpr53
	s_and_saveexec_b64 s[40:41], vcc
	s_xor_b64 s[38:39], exec, s[40:41]
	s_cbranch_execz .LBB4_9850
; %bb.9841:                             ;   in Loop: Header=BB4_9739 Depth=3
	v_mov_b32_e32 v53, 0
	v_cmp_ne_u32_e32 vcc, 0, v2
	s_and_saveexec_b64 s[48:49], vcc
	s_cbranch_execz .LBB4_9849
; %bb.9842:                             ;   in Loop: Header=BB4_9739 Depth=3
	v_bfe_u32 v4, v2, 23, 8
	v_cmp_gt_u32_e64 s[40:41], s46, v4
	v_sub_u32_e32 v2, 0x71, v4
	v_cmp_eq_u32_e32 vcc, 0, v4
	v_cndmask_b32_e64 v2, 0, v2, s[40:41]
	v_mov_b32_e32 v26, 0x70
	v_cndmask_b32_e32 v26, v2, v26, vcc
	v_add_u32_e32 v2, 21, v26
	v_or_b32_e32 v28, 0x800000, v0
	v_lshlrev_b64 v[30:31], v2, -1
	v_cndmask_b32_e32 v0, v28, v0, vcc
	v_add_u32_e32 v2, 20, v26
	v_bfi_b32 v30, v30, 0, v0
	v_lshlrev_b64 v[33:34], v2, 1
	v_lshrrev_b64 v[0:1], v26, v[0:1]
	v_bfi_b32 v31, v31, 0, 0
	v_cmp_eq_u64_e64 s[40:41], v[30:31], v[33:34]
	v_mov_b32_e32 v2, v1
	v_mov_b32_e32 v1, v0
	s_and_saveexec_b64 s[50:51], s[40:41]
; %bb.9843:                             ;   in Loop: Header=BB4_9739 Depth=3
	v_bfe_u32 v1, v0, 21, 1
	v_add_co_u32_e64 v1, s[40:41], v0, v1
	v_add_co_u32_e64 v1, s[40:41], -1, v1
; %bb.9844:                             ;   in Loop: Header=BB4_9739 Depth=3
	s_or_b64 exec, exec, s[50:51]
	v_add_u32_e32 v2, 0xffffff81, v4
	v_mov_b32_e32 v4, 0xffffff82
	v_cndmask_b32_e32 v2, v2, v4, vcc
	v_lshrrev_b32_e32 v4, 23, v0
	v_add3_u32 v26, v26, v2, v4
	v_add_u32_e32 v4, 14, v26
	v_and_b32_e32 v1, 0x1fffff, v1
	v_add_u32_e32 v0, v1, v0
	v_mov_b32_e32 v1, v17
	v_cmp_ne_u32_e32 vcc, 0, v4
                                        ; implicit-def: $vgpr2
	s_and_saveexec_b64 s[40:41], vcc
	s_xor_b64 s[40:41], exec, s[40:41]
; %bb.9845:                             ;   in Loop: Header=BB4_9739 Depth=3
	v_cmp_lt_u64_e32 vcc, s[88:89], v[0:1]
	v_add_u32_e32 v2, 15, v26
	v_cndmask_b32_e32 v2, v4, v2, vcc
	v_cndmask_b32_e64 v4, 0, 1, vcc
	v_lshrrev_b64 v[0:1], v4, v[0:1]
; %bb.9846:                             ;   in Loop: Header=BB4_9739 Depth=3
	s_andn2_saveexec_b64 s[40:41], s[40:41]
; %bb.9847:                             ;   in Loop: Header=BB4_9739 Depth=3
	v_bfe_u32 v2, v0, 23, 1
; %bb.9848:                             ;   in Loop: Header=BB4_9739 Depth=3
	s_or_b64 exec, exec, s[40:41]
	v_lshrrev_b64 v[0:1], 21, v[0:1]
	v_cmp_gt_i32_e32 vcc, 32, v2
	v_cndmask_b32_e32 v1, 0, v1, vcc
	v_cndmask_b32_e32 v0, 3, v0, vcc
	v_cmp_eq_u64_e64 s[40:41], 0, v[0:1]
	v_min_i32_e32 v1, 31, v2
	v_lshlrev_b32_e32 v1, 2, v1
	v_cmp_eq_u32_e32 vcc, 0, v2
	v_and_b32_e32 v1, 0xfc, v1
	v_and_or_b32 v0, v0, 3, v1
	s_and_b64 s[40:41], vcc, s[40:41]
	v_cndmask_b32_e64 v0, v0, 0, s[40:41]
	v_or_b32_e32 v53, v0, v3
.LBB4_9849:                             ;   in Loop: Header=BB4_9739 Depth=3
	s_or_b64 exec, exec, s[48:49]
                                        ; implicit-def: $vgpr3
.LBB4_9850:                             ;   in Loop: Header=BB4_9739 Depth=3
	s_andn2_saveexec_b64 s[40:41], s[38:39]
; %bb.9851:                             ;   in Loop: Header=BB4_9739 Depth=3
	v_or_b32_e32 v53, 0x7b, v3
; %bb.9852:                             ;   in Loop: Header=BB4_9739 Depth=3
	s_or_b64 exec, exec, s[40:41]
                                        ; implicit-def: $vgpr2
                                        ; implicit-def: $vgpr0_vgpr1
.LBB4_9853:                             ;   in Loop: Header=BB4_9739 Depth=3
	s_andn2_saveexec_b64 s[40:41], s[42:43]
	s_cbranch_execz .LBB4_9859
; %bb.9854:                             ;   in Loop: Header=BB4_9739 Depth=3
	v_cmp_ne_u64_e32 vcc, 0, v[0:1]
                                        ; implicit-def: $vgpr53
	s_and_saveexec_b64 s[42:43], vcc
	s_xor_b64 s[42:43], exec, s[42:43]
; %bb.9855:                             ;   in Loop: Header=BB4_9739 Depth=3
	v_or_b32_sdwa v53, v2, s47 dst_sel:DWORD dst_unused:UNUSED_PAD src0_sel:BYTE_3 src1_sel:DWORD
                                        ; implicit-def: $vgpr2
; %bb.9856:                             ;   in Loop: Header=BB4_9739 Depth=3
	s_andn2_saveexec_b64 s[42:43], s[42:43]
; %bb.9857:                             ;   in Loop: Header=BB4_9739 Depth=3
	v_cmp_lt_i32_e32 vcc, -1, v2
	v_bfrev_b32_e32 v0, 0.5
	v_cndmask_b32_e32 v53, v0, v52, vcc
; %bb.9858:                             ;   in Loop: Header=BB4_9739 Depth=3
	s_or_b64 exec, exec, s[42:43]
.LBB4_9859:                             ;   in Loop: Header=BB4_9739 Depth=3
	s_or_b64 exec, exec, s[40:41]
	v_mov_b32_e32 v0, v9
	v_mov_b32_e32 v1, v17
	v_cmp_ne_u16_sdwa s[42:43], v9, v17 src0_sel:BYTE_0 src1_sel:DWORD
	v_mov_b32_e32 v2, 0
	s_and_saveexec_b64 s[40:41], s[42:43]
	s_cbranch_execz .LBB4_9867
; %bb.9860:                             ;   in Loop: Header=BB4_9739 Depth=3
	v_cmp_ne_u16_sdwa vcc, v9, s96 src0_sel:BYTE_0 src1_sel:DWORD
	v_bfrev_b32_e32 v2, 1
	s_and_saveexec_b64 s[42:43], vcc
	s_cbranch_execz .LBB4_9866
; %bb.9861:                             ;   in Loop: Header=BB4_9739 Depth=3
	v_and_b32_e32 v2, 0x7c, v9
	v_and_b32_e32 v3, 3, v9
	v_cmp_ne_u32_e32 vcc, s85, v2
                                        ; implicit-def: $vgpr2
	s_and_saveexec_b64 s[38:39], vcc
	s_xor_b64 s[38:39], exec, s[38:39]
	s_cbranch_execz .LBB4_9863
; %bb.9862:                             ;   in Loop: Header=BB4_9739 Depth=3
	v_ffbh_u32_e32 v2, v3
	v_min_u32_e32 v26, 32, v2
	v_subrev_u32_e32 v2, 29, v26
	v_lshlrev_b64 v[1:2], v2, v[0:1]
	v_bfe_u32 v4, v9, 2, 5
	v_and_b32_e32 v1, 3, v1
	v_cmp_eq_u32_e32 vcc, 0, v4
	v_sub_u32_e32 v2, 30, v26
	v_cndmask_b32_e32 v1, v3, v1, vcc
	v_lshlrev_b32_e32 v3, 24, v9
	v_cndmask_b32_e32 v2, v4, v2, vcc
	v_and_b32_e32 v3, 0x80000000, v3
	v_lshl_add_u32 v2, v2, 23, v3
	v_lshl_or_b32 v1, v1, 21, v2
	v_add_u32_e32 v2, 0x38000000, v1
                                        ; implicit-def: $vgpr3
.LBB4_9863:                             ;   in Loop: Header=BB4_9739 Depth=3
	s_andn2_saveexec_b64 s[38:39], s[38:39]
; %bb.9864:                             ;   in Loop: Header=BB4_9739 Depth=3
	v_mov_b32_e32 v1, -1
	v_cmp_gt_i16_sdwa vcc, sext(v9), v1 src0_sel:BYTE_0 src1_sel:DWORD
	v_mov_b32_e32 v1, 0xff800000
	v_mov_b32_e32 v2, 0x7f800000
	v_cndmask_b32_e32 v1, v1, v2, vcc
	v_cmp_eq_u32_e32 vcc, 0, v3
	v_mov_b32_e32 v2, 0x7f800001
	v_cndmask_b32_e32 v2, v2, v1, vcc
; %bb.9865:                             ;   in Loop: Header=BB4_9739 Depth=3
	s_or_b64 exec, exec, s[38:39]
.LBB4_9866:                             ;   in Loop: Header=BB4_9739 Depth=3
	s_or_b64 exec, exec, s[42:43]
.LBB4_9867:                             ;   in Loop: Header=BB4_9739 Depth=3
	s_or_b64 exec, exec, s[40:41]
	v_mul_f32_e32 v3, v27, v2
	v_and_b32_e32 v30, 0x7f800000, v3
	v_mov_b32_e32 v31, v17
	v_cmp_ne_u64_e32 vcc, s[76:77], v[30:31]
	v_and_b32_e32 v1, 0x7fffff, v3
	v_mov_b32_e32 v2, v17
                                        ; implicit-def: $vgpr4
	s_and_saveexec_b64 s[40:41], vcc
	s_xor_b64 s[42:43], exec, s[40:41]
	s_cbranch_execz .LBB4_9881
; %bb.9868:                             ;   in Loop: Header=BB4_9739 Depth=3
	v_and_b32_e32 v30, 0x7fffffff, v3
	v_mov_b32_e32 v31, v17
	v_cmp_gt_u64_e32 vcc, s[78:79], v[30:31]
	v_and_b32_sdwa v26, v3, s96 dst_sel:DWORD dst_unused:UNUSED_PAD src0_sel:BYTE_3 src1_sel:DWORD
                                        ; implicit-def: $vgpr4
	s_and_saveexec_b64 s[40:41], vcc
	s_xor_b64 s[38:39], exec, s[40:41]
	s_cbranch_execz .LBB4_9878
; %bb.9869:                             ;   in Loop: Header=BB4_9739 Depth=3
	v_mov_b32_e32 v4, 0
	v_cmp_ne_u32_e32 vcc, 0, v3
	s_and_saveexec_b64 s[48:49], vcc
	s_cbranch_execz .LBB4_9877
; %bb.9870:                             ;   in Loop: Header=BB4_9739 Depth=3
	v_bfe_u32 v4, v3, 23, 8
	v_cmp_gt_u32_e64 s[40:41], s46, v4
	v_sub_u32_e32 v3, 0x71, v4
	v_cmp_eq_u32_e32 vcc, 0, v4
	v_cndmask_b32_e64 v3, 0, v3, s[40:41]
	v_mov_b32_e32 v29, 0x70
	v_cndmask_b32_e32 v30, v3, v29, vcc
	v_add_u32_e32 v3, 21, v30
	v_or_b32_e32 v28, 0x800000, v1
	v_lshlrev_b64 v[33:34], v3, -1
	v_cndmask_b32_e32 v1, v28, v1, vcc
	v_add_u32_e32 v3, 20, v30
	v_bfi_b32 v33, v33, 0, v1
	v_lshlrev_b64 v[36:37], v3, 1
	v_lshrrev_b64 v[1:2], v30, v[1:2]
	v_bfi_b32 v34, v34, 0, 0
	v_cmp_eq_u64_e64 s[40:41], v[33:34], v[36:37]
	v_mov_b32_e32 v3, v2
	v_mov_b32_e32 v2, v1
	s_and_saveexec_b64 s[50:51], s[40:41]
; %bb.9871:                             ;   in Loop: Header=BB4_9739 Depth=3
	v_bfe_u32 v2, v1, 21, 1
	v_add_co_u32_e64 v2, s[40:41], v1, v2
	v_add_co_u32_e64 v2, s[40:41], -1, v2
; %bb.9872:                             ;   in Loop: Header=BB4_9739 Depth=3
	s_or_b64 exec, exec, s[50:51]
	v_add_u32_e32 v3, 0xffffff81, v4
	v_mov_b32_e32 v4, 0xffffff82
	v_cndmask_b32_e32 v3, v3, v4, vcc
	v_lshrrev_b32_e32 v4, 23, v1
	v_add3_u32 v30, v30, v3, v4
	v_add_u32_e32 v4, 14, v30
	v_and_b32_e32 v2, 0x1fffff, v2
	v_add_u32_e32 v1, v2, v1
	v_mov_b32_e32 v2, v17
	v_cmp_ne_u32_e32 vcc, 0, v4
                                        ; implicit-def: $vgpr3
	s_and_saveexec_b64 s[40:41], vcc
	s_xor_b64 s[40:41], exec, s[40:41]
; %bb.9873:                             ;   in Loop: Header=BB4_9739 Depth=3
	v_cmp_lt_u64_e32 vcc, s[88:89], v[1:2]
	v_add_u32_e32 v3, 15, v30
	v_cndmask_b32_e32 v3, v4, v3, vcc
	v_cndmask_b32_e64 v4, 0, 1, vcc
	v_lshrrev_b64 v[1:2], v4, v[1:2]
; %bb.9874:                             ;   in Loop: Header=BB4_9739 Depth=3
	s_andn2_saveexec_b64 s[40:41], s[40:41]
; %bb.9875:                             ;   in Loop: Header=BB4_9739 Depth=3
	v_bfe_u32 v3, v1, 23, 1
; %bb.9876:                             ;   in Loop: Header=BB4_9739 Depth=3
	s_or_b64 exec, exec, s[40:41]
	v_lshrrev_b64 v[1:2], 21, v[1:2]
	v_cmp_gt_i32_e32 vcc, 32, v3
	v_cndmask_b32_e32 v2, 0, v2, vcc
	v_cndmask_b32_e32 v1, 3, v1, vcc
	v_cmp_eq_u64_e64 s[40:41], 0, v[1:2]
	v_min_i32_e32 v2, 31, v3
	v_lshlrev_b32_e32 v2, 2, v2
	v_cmp_eq_u32_e32 vcc, 0, v3
	v_and_b32_e32 v2, 0xfc, v2
	v_and_or_b32 v1, v1, 3, v2
	s_and_b64 s[40:41], vcc, s[40:41]
	v_cndmask_b32_e64 v1, v1, 0, s[40:41]
	v_or_b32_e32 v4, v1, v26
.LBB4_9877:                             ;   in Loop: Header=BB4_9739 Depth=3
	s_or_b64 exec, exec, s[48:49]
                                        ; implicit-def: $vgpr26
.LBB4_9878:                             ;   in Loop: Header=BB4_9739 Depth=3
	s_andn2_saveexec_b64 s[40:41], s[38:39]
; %bb.9879:                             ;   in Loop: Header=BB4_9739 Depth=3
	v_or_b32_e32 v4, 0x7b, v26
; %bb.9880:                             ;   in Loop: Header=BB4_9739 Depth=3
	s_or_b64 exec, exec, s[40:41]
                                        ; implicit-def: $vgpr3
                                        ; implicit-def: $vgpr1_vgpr2
.LBB4_9881:                             ;   in Loop: Header=BB4_9739 Depth=3
	s_andn2_saveexec_b64 s[40:41], s[42:43]
	s_cbranch_execz .LBB4_9887
; %bb.9882:                             ;   in Loop: Header=BB4_9739 Depth=3
	v_cmp_ne_u64_e32 vcc, 0, v[1:2]
                                        ; implicit-def: $vgpr4
	s_and_saveexec_b64 s[42:43], vcc
	s_xor_b64 s[42:43], exec, s[42:43]
; %bb.9883:                             ;   in Loop: Header=BB4_9739 Depth=3
	v_or_b32_sdwa v4, v3, s47 dst_sel:DWORD dst_unused:UNUSED_PAD src0_sel:BYTE_3 src1_sel:DWORD
                                        ; implicit-def: $vgpr3
; %bb.9884:                             ;   in Loop: Header=BB4_9739 Depth=3
	s_andn2_saveexec_b64 s[42:43], s[42:43]
; %bb.9885:                             ;   in Loop: Header=BB4_9739 Depth=3
	v_cmp_lt_i32_e32 vcc, -1, v3
	v_bfrev_b32_e32 v1, 0.5
	v_cndmask_b32_e32 v4, v1, v52, vcc
; %bb.9886:                             ;   in Loop: Header=BB4_9739 Depth=3
	s_or_b64 exec, exec, s[42:43]
.LBB4_9887:                             ;   in Loop: Header=BB4_9739 Depth=3
	s_or_b64 exec, exec, s[40:41]
	v_lshrrev_b16_e32 v1, 8, v0
	v_cmp_ne_u16_e32 vcc, 0, v1
	v_mov_b32_e32 v2, 0
	s_and_saveexec_b64 s[40:41], vcc
	s_cbranch_execz .LBB4_9895
; %bb.9888:                             ;   in Loop: Header=BB4_9739 Depth=3
	v_cmp_ne_u16_e32 vcc, s96, v1
	v_bfrev_b32_e32 v2, 1
	s_and_saveexec_b64 s[42:43], vcc
	s_cbranch_execz .LBB4_9894
; %bb.9889:                             ;   in Loop: Header=BB4_9739 Depth=3
	v_and_b32_e32 v2, 0x7c, v1
	v_and_b32_e32 v3, 3, v1
	v_cmp_ne_u32_e32 vcc, s85, v2
                                        ; implicit-def: $vgpr2
	s_and_saveexec_b64 s[38:39], vcc
	s_xor_b64 s[38:39], exec, s[38:39]
	s_cbranch_execz .LBB4_9891
; %bb.9890:                             ;   in Loop: Header=BB4_9739 Depth=3
	v_ffbh_u32_e32 v28, v3
	v_min_u32_e32 v28, 32, v28
	v_mov_b32_e32 v2, v17
	v_subrev_u32_e32 v29, 29, v28
	v_bfe_u32 v26, v1, 2, 5
	v_lshlrev_b64 v[1:2], v29, v[1:2]
	v_sub_u32_e32 v2, 30, v28
	v_cmp_eq_u32_e32 vcc, 0, v26
	v_lshlrev_b32_e32 v0, 16, v0
	v_and_b32_e32 v1, 3, v1
	v_cndmask_b32_e32 v2, v26, v2, vcc
	v_and_b32_e32 v0, 0x80000000, v0
	v_cndmask_b32_e32 v1, v3, v1, vcc
	v_lshl_add_u32 v0, v2, 23, v0
	v_lshl_or_b32 v0, v1, 21, v0
	v_add_u32_e32 v2, 0x38000000, v0
                                        ; implicit-def: $vgpr3
                                        ; implicit-def: $vgpr0_vgpr1
.LBB4_9891:                             ;   in Loop: Header=BB4_9739 Depth=3
	s_andn2_saveexec_b64 s[38:39], s[38:39]
; %bb.9892:                             ;   in Loop: Header=BB4_9739 Depth=3
	v_cmp_lt_i16_e32 vcc, -1, v0
	v_mov_b32_e32 v0, 0xff800000
	v_mov_b32_e32 v1, 0x7f800000
	v_cndmask_b32_e32 v0, v0, v1, vcc
	v_cmp_eq_u32_e32 vcc, 0, v3
	v_mov_b32_e32 v1, 0x7f800001
	v_cndmask_b32_e32 v2, v1, v0, vcc
; %bb.9893:                             ;   in Loop: Header=BB4_9739 Depth=3
	s_or_b64 exec, exec, s[38:39]
.LBB4_9894:                             ;   in Loop: Header=BB4_9739 Depth=3
	s_or_b64 exec, exec, s[42:43]
.LBB4_9895:                             ;   in Loop: Header=BB4_9739 Depth=3
	s_or_b64 exec, exec, s[40:41]
	v_mul_f32_e32 v2, v27, v2
	v_and_b32_e32 v30, 0x7f800000, v2
	v_mov_b32_e32 v31, v17
	v_cmp_ne_u64_e32 vcc, s[76:77], v[30:31]
	v_and_b32_e32 v0, 0x7fffff, v2
	v_mov_b32_e32 v1, v17
                                        ; implicit-def: $vgpr38
	s_and_saveexec_b64 s[40:41], vcc
	s_xor_b64 s[42:43], exec, s[40:41]
	s_cbranch_execz .LBB4_9909
; %bb.9896:                             ;   in Loop: Header=BB4_9739 Depth=3
	v_and_b32_e32 v30, 0x7fffffff, v2
	v_mov_b32_e32 v31, v17
	v_cmp_gt_u64_e32 vcc, s[78:79], v[30:31]
	v_and_b32_sdwa v3, v2, s96 dst_sel:DWORD dst_unused:UNUSED_PAD src0_sel:BYTE_3 src1_sel:DWORD
                                        ; implicit-def: $vgpr38
	s_and_saveexec_b64 s[40:41], vcc
	s_xor_b64 s[38:39], exec, s[40:41]
	s_cbranch_execz .LBB4_9906
; %bb.9897:                             ;   in Loop: Header=BB4_9739 Depth=3
	v_mov_b32_e32 v38, 0
	v_cmp_ne_u32_e32 vcc, 0, v2
	s_and_saveexec_b64 s[48:49], vcc
	s_cbranch_execz .LBB4_9905
; %bb.9898:                             ;   in Loop: Header=BB4_9739 Depth=3
	v_bfe_u32 v26, v2, 23, 8
	v_cmp_gt_u32_e64 s[40:41], s46, v26
	v_sub_u32_e32 v2, 0x71, v26
	v_cmp_eq_u32_e32 vcc, 0, v26
	v_cndmask_b32_e64 v2, 0, v2, s[40:41]
	v_mov_b32_e32 v29, 0x70
	v_cndmask_b32_e32 v30, v2, v29, vcc
	v_add_u32_e32 v2, 21, v30
	v_or_b32_e32 v28, 0x800000, v0
	v_lshlrev_b64 v[33:34], v2, -1
	v_cndmask_b32_e32 v0, v28, v0, vcc
	v_add_u32_e32 v2, 20, v30
	v_bfi_b32 v33, v33, 0, v0
	v_lshlrev_b64 v[36:37], v2, 1
	v_lshrrev_b64 v[0:1], v30, v[0:1]
	v_bfi_b32 v34, v34, 0, 0
	v_cmp_eq_u64_e64 s[40:41], v[33:34], v[36:37]
	v_mov_b32_e32 v2, v1
	v_mov_b32_e32 v1, v0
	s_and_saveexec_b64 s[50:51], s[40:41]
; %bb.9899:                             ;   in Loop: Header=BB4_9739 Depth=3
	v_bfe_u32 v1, v0, 21, 1
	v_add_co_u32_e64 v1, s[40:41], v0, v1
	v_add_co_u32_e64 v1, s[40:41], -1, v1
; %bb.9900:                             ;   in Loop: Header=BB4_9739 Depth=3
	s_or_b64 exec, exec, s[50:51]
	v_add_u32_e32 v2, 0xffffff81, v26
	v_mov_b32_e32 v26, 0xffffff82
	v_cndmask_b32_e32 v2, v2, v26, vcc
	v_lshrrev_b32_e32 v26, 23, v0
	v_add3_u32 v30, v30, v2, v26
	v_add_u32_e32 v26, 14, v30
	v_and_b32_e32 v1, 0x1fffff, v1
	v_add_u32_e32 v0, v1, v0
	v_mov_b32_e32 v1, v17
	v_cmp_ne_u32_e32 vcc, 0, v26
                                        ; implicit-def: $vgpr2
	s_and_saveexec_b64 s[40:41], vcc
	s_xor_b64 s[40:41], exec, s[40:41]
; %bb.9901:                             ;   in Loop: Header=BB4_9739 Depth=3
	v_cmp_lt_u64_e32 vcc, s[88:89], v[0:1]
	v_add_u32_e32 v2, 15, v30
	v_cndmask_b32_e32 v2, v26, v2, vcc
	v_cndmask_b32_e64 v26, 0, 1, vcc
	v_lshrrev_b64 v[0:1], v26, v[0:1]
; %bb.9902:                             ;   in Loop: Header=BB4_9739 Depth=3
	s_andn2_saveexec_b64 s[40:41], s[40:41]
; %bb.9903:                             ;   in Loop: Header=BB4_9739 Depth=3
	v_bfe_u32 v2, v0, 23, 1
; %bb.9904:                             ;   in Loop: Header=BB4_9739 Depth=3
	s_or_b64 exec, exec, s[40:41]
	v_lshrrev_b64 v[0:1], 21, v[0:1]
	v_cmp_gt_i32_e32 vcc, 32, v2
	v_cndmask_b32_e32 v1, 0, v1, vcc
	v_cndmask_b32_e32 v0, 3, v0, vcc
	v_cmp_eq_u64_e64 s[40:41], 0, v[0:1]
	v_min_i32_e32 v1, 31, v2
	v_lshlrev_b32_e32 v1, 2, v1
	v_cmp_eq_u32_e32 vcc, 0, v2
	v_and_b32_e32 v1, 0xfc, v1
	v_and_or_b32 v0, v0, 3, v1
	s_and_b64 s[40:41], vcc, s[40:41]
	v_cndmask_b32_e64 v0, v0, 0, s[40:41]
	v_or_b32_e32 v38, v0, v3
.LBB4_9905:                             ;   in Loop: Header=BB4_9739 Depth=3
	s_or_b64 exec, exec, s[48:49]
                                        ; implicit-def: $vgpr3
.LBB4_9906:                             ;   in Loop: Header=BB4_9739 Depth=3
	s_andn2_saveexec_b64 s[40:41], s[38:39]
; %bb.9907:                             ;   in Loop: Header=BB4_9739 Depth=3
	v_or_b32_e32 v38, 0x7b, v3
; %bb.9908:                             ;   in Loop: Header=BB4_9739 Depth=3
	s_or_b64 exec, exec, s[40:41]
                                        ; implicit-def: $vgpr2
                                        ; implicit-def: $vgpr0_vgpr1
.LBB4_9909:                             ;   in Loop: Header=BB4_9739 Depth=3
	s_andn2_saveexec_b64 s[40:41], s[42:43]
	s_cbranch_execz .LBB4_9915
; %bb.9910:                             ;   in Loop: Header=BB4_9739 Depth=3
	v_cmp_ne_u64_e32 vcc, 0, v[0:1]
                                        ; implicit-def: $vgpr38
	s_and_saveexec_b64 s[42:43], vcc
	s_xor_b64 s[42:43], exec, s[42:43]
; %bb.9911:                             ;   in Loop: Header=BB4_9739 Depth=3
	v_or_b32_sdwa v38, v2, s47 dst_sel:DWORD dst_unused:UNUSED_PAD src0_sel:BYTE_3 src1_sel:DWORD
                                        ; implicit-def: $vgpr2
; %bb.9912:                             ;   in Loop: Header=BB4_9739 Depth=3
	s_andn2_saveexec_b64 s[42:43], s[42:43]
; %bb.9913:                             ;   in Loop: Header=BB4_9739 Depth=3
	v_cmp_lt_i32_e32 vcc, -1, v2
	v_bfrev_b32_e32 v0, 0.5
	v_cndmask_b32_e32 v38, v0, v52, vcc
; %bb.9914:                             ;   in Loop: Header=BB4_9739 Depth=3
	s_or_b64 exec, exec, s[42:43]
.LBB4_9915:                             ;   in Loop: Header=BB4_9739 Depth=3
	s_or_b64 exec, exec, s[40:41]
	v_lshrrev_b32_e32 v0, 16, v9
	v_cmp_ne_u16_sdwa s[42:43], v0, v17 src0_sel:BYTE_0 src1_sel:DWORD
	v_mov_b32_e32 v1, 0
	s_and_saveexec_b64 s[40:41], s[42:43]
	s_cbranch_execz .LBB4_9923
; %bb.9916:                             ;   in Loop: Header=BB4_9739 Depth=3
	v_cmp_ne_u16_sdwa vcc, v0, s96 src0_sel:BYTE_0 src1_sel:DWORD
	v_bfrev_b32_e32 v1, 1
	s_and_saveexec_b64 s[42:43], vcc
	s_cbranch_execz .LBB4_9922
; %bb.9917:                             ;   in Loop: Header=BB4_9739 Depth=3
	v_and_b32_e32 v1, 0x7c0000, v9
	v_bfe_u32 v2, v9, 16, 2
	v_cmp_ne_u32_e32 vcc, s44, v1
                                        ; implicit-def: $vgpr1
	s_and_saveexec_b64 s[38:39], vcc
	s_xor_b64 s[38:39], exec, s[38:39]
	s_cbranch_execz .LBB4_9919
; %bb.9918:                             ;   in Loop: Header=BB4_9739 Depth=3
	v_ffbh_u32_e32 v1, v2
	v_min_u32_e32 v26, 32, v1
	v_subrev_u32_e32 v1, 29, v26
	v_lshlrev_b64 v[0:1], v1, v[0:1]
	v_bfe_u32 v3, v9, 18, 5
	v_and_b32_e32 v0, 3, v0
	v_cmp_eq_u32_e32 vcc, 0, v3
	v_sub_u32_e32 v1, 30, v26
	v_cndmask_b32_e32 v0, v2, v0, vcc
	v_lshlrev_b32_e32 v2, 8, v9
	v_cndmask_b32_e32 v1, v3, v1, vcc
	v_and_b32_e32 v2, 0x80000000, v2
	v_lshl_add_u32 v1, v1, 23, v2
	v_lshl_or_b32 v0, v0, 21, v1
	v_add_u32_e32 v1, 0x38000000, v0
                                        ; implicit-def: $vgpr2
                                        ; implicit-def: $vgpr0
.LBB4_9919:                             ;   in Loop: Header=BB4_9739 Depth=3
	s_andn2_saveexec_b64 s[38:39], s[38:39]
; %bb.9920:                             ;   in Loop: Header=BB4_9739 Depth=3
	v_mov_b32_e32 v1, -1
	v_cmp_gt_i16_sdwa vcc, sext(v0), v1 src0_sel:BYTE_0 src1_sel:DWORD
	v_mov_b32_e32 v0, 0xff800000
	v_mov_b32_e32 v1, 0x7f800000
	v_cndmask_b32_e32 v0, v0, v1, vcc
	v_cmp_eq_u32_e32 vcc, 0, v2
	v_mov_b32_e32 v1, 0x7f800001
	v_cndmask_b32_e32 v1, v1, v0, vcc
; %bb.9921:                             ;   in Loop: Header=BB4_9739 Depth=3
	s_or_b64 exec, exec, s[38:39]
.LBB4_9922:                             ;   in Loop: Header=BB4_9739 Depth=3
	s_or_b64 exec, exec, s[42:43]
.LBB4_9923:                             ;   in Loop: Header=BB4_9739 Depth=3
	s_or_b64 exec, exec, s[40:41]
	v_mul_f32_e32 v2, v27, v1
	v_and_b32_e32 v30, 0x7f800000, v2
	v_mov_b32_e32 v31, v17
	v_cmp_ne_u64_e32 vcc, s[76:77], v[30:31]
	v_and_b32_e32 v0, 0x7fffff, v2
	v_mov_b32_e32 v1, v17
                                        ; implicit-def: $vgpr50
	s_and_saveexec_b64 s[40:41], vcc
	s_xor_b64 s[42:43], exec, s[40:41]
	s_cbranch_execz .LBB4_9937
; %bb.9924:                             ;   in Loop: Header=BB4_9739 Depth=3
	v_and_b32_e32 v30, 0x7fffffff, v2
	v_mov_b32_e32 v31, v17
	v_cmp_gt_u64_e32 vcc, s[78:79], v[30:31]
	v_and_b32_sdwa v3, v2, s96 dst_sel:DWORD dst_unused:UNUSED_PAD src0_sel:BYTE_3 src1_sel:DWORD
                                        ; implicit-def: $vgpr50
	s_and_saveexec_b64 s[40:41], vcc
	s_xor_b64 s[38:39], exec, s[40:41]
	s_cbranch_execz .LBB4_9934
; %bb.9925:                             ;   in Loop: Header=BB4_9739 Depth=3
	v_mov_b32_e32 v50, 0
	v_cmp_ne_u32_e32 vcc, 0, v2
	s_and_saveexec_b64 s[48:49], vcc
	s_cbranch_execz .LBB4_9933
; %bb.9926:                             ;   in Loop: Header=BB4_9739 Depth=3
	v_bfe_u32 v26, v2, 23, 8
	v_cmp_gt_u32_e64 s[40:41], s46, v26
	v_sub_u32_e32 v2, 0x71, v26
	v_cmp_eq_u32_e32 vcc, 0, v26
	v_cndmask_b32_e64 v2, 0, v2, s[40:41]
	v_mov_b32_e32 v29, 0x70
	v_cndmask_b32_e32 v30, v2, v29, vcc
	v_add_u32_e32 v2, 21, v30
	v_or_b32_e32 v28, 0x800000, v0
	v_lshlrev_b64 v[33:34], v2, -1
	v_cndmask_b32_e32 v0, v28, v0, vcc
	v_add_u32_e32 v2, 20, v30
	v_bfi_b32 v33, v33, 0, v0
	v_lshlrev_b64 v[36:37], v2, 1
	v_lshrrev_b64 v[0:1], v30, v[0:1]
	v_bfi_b32 v34, v34, 0, 0
	v_cmp_eq_u64_e64 s[40:41], v[33:34], v[36:37]
	v_mov_b32_e32 v2, v1
	v_mov_b32_e32 v1, v0
	s_and_saveexec_b64 s[50:51], s[40:41]
; %bb.9927:                             ;   in Loop: Header=BB4_9739 Depth=3
	v_bfe_u32 v1, v0, 21, 1
	v_add_co_u32_e64 v1, s[40:41], v0, v1
	v_add_co_u32_e64 v1, s[40:41], -1, v1
; %bb.9928:                             ;   in Loop: Header=BB4_9739 Depth=3
	s_or_b64 exec, exec, s[50:51]
	v_add_u32_e32 v2, 0xffffff81, v26
	v_mov_b32_e32 v26, 0xffffff82
	v_cndmask_b32_e32 v2, v2, v26, vcc
	v_lshrrev_b32_e32 v26, 23, v0
	v_add3_u32 v30, v30, v2, v26
	v_add_u32_e32 v26, 14, v30
	v_and_b32_e32 v1, 0x1fffff, v1
	v_add_u32_e32 v0, v1, v0
	v_mov_b32_e32 v1, v17
	v_cmp_ne_u32_e32 vcc, 0, v26
                                        ; implicit-def: $vgpr2
	s_and_saveexec_b64 s[40:41], vcc
	s_xor_b64 s[40:41], exec, s[40:41]
; %bb.9929:                             ;   in Loop: Header=BB4_9739 Depth=3
	v_cmp_lt_u64_e32 vcc, s[88:89], v[0:1]
	v_add_u32_e32 v2, 15, v30
	v_cndmask_b32_e32 v2, v26, v2, vcc
	v_cndmask_b32_e64 v26, 0, 1, vcc
	v_lshrrev_b64 v[0:1], v26, v[0:1]
; %bb.9930:                             ;   in Loop: Header=BB4_9739 Depth=3
	s_andn2_saveexec_b64 s[40:41], s[40:41]
; %bb.9931:                             ;   in Loop: Header=BB4_9739 Depth=3
	v_bfe_u32 v2, v0, 23, 1
; %bb.9932:                             ;   in Loop: Header=BB4_9739 Depth=3
	s_or_b64 exec, exec, s[40:41]
	v_lshrrev_b64 v[0:1], 21, v[0:1]
	v_cmp_gt_i32_e32 vcc, 32, v2
	v_cndmask_b32_e32 v1, 0, v1, vcc
	v_cndmask_b32_e32 v0, 3, v0, vcc
	v_cmp_eq_u64_e64 s[40:41], 0, v[0:1]
	v_min_i32_e32 v1, 31, v2
	v_lshlrev_b32_e32 v1, 2, v1
	v_cmp_eq_u32_e32 vcc, 0, v2
	v_and_b32_e32 v1, 0xfc, v1
	v_and_or_b32 v0, v0, 3, v1
	s_and_b64 s[40:41], vcc, s[40:41]
	v_cndmask_b32_e64 v0, v0, 0, s[40:41]
	v_or_b32_e32 v50, v0, v3
.LBB4_9933:                             ;   in Loop: Header=BB4_9739 Depth=3
	s_or_b64 exec, exec, s[48:49]
                                        ; implicit-def: $vgpr3
.LBB4_9934:                             ;   in Loop: Header=BB4_9739 Depth=3
	s_andn2_saveexec_b64 s[40:41], s[38:39]
; %bb.9935:                             ;   in Loop: Header=BB4_9739 Depth=3
	v_or_b32_e32 v50, 0x7b, v3
; %bb.9936:                             ;   in Loop: Header=BB4_9739 Depth=3
	s_or_b64 exec, exec, s[40:41]
                                        ; implicit-def: $vgpr2
                                        ; implicit-def: $vgpr0_vgpr1
.LBB4_9937:                             ;   in Loop: Header=BB4_9739 Depth=3
	s_andn2_saveexec_b64 s[40:41], s[42:43]
	s_cbranch_execz .LBB4_9943
; %bb.9938:                             ;   in Loop: Header=BB4_9739 Depth=3
	v_cmp_ne_u64_e32 vcc, 0, v[0:1]
                                        ; implicit-def: $vgpr50
	s_and_saveexec_b64 s[42:43], vcc
	s_xor_b64 s[42:43], exec, s[42:43]
; %bb.9939:                             ;   in Loop: Header=BB4_9739 Depth=3
	v_or_b32_sdwa v50, v2, s47 dst_sel:DWORD dst_unused:UNUSED_PAD src0_sel:BYTE_3 src1_sel:DWORD
                                        ; implicit-def: $vgpr2
; %bb.9940:                             ;   in Loop: Header=BB4_9739 Depth=3
	s_andn2_saveexec_b64 s[42:43], s[42:43]
; %bb.9941:                             ;   in Loop: Header=BB4_9739 Depth=3
	v_cmp_lt_i32_e32 vcc, -1, v2
	v_bfrev_b32_e32 v0, 0.5
	v_cndmask_b32_e32 v50, v0, v52, vcc
; %bb.9942:                             ;   in Loop: Header=BB4_9739 Depth=3
	s_or_b64 exec, exec, s[42:43]
.LBB4_9943:                             ;   in Loop: Header=BB4_9739 Depth=3
	s_or_b64 exec, exec, s[40:41]
	v_cmp_lt_u64_e32 vcc, s[56:57], v[8:9]
	v_mov_b32_e32 v1, 0
	s_and_saveexec_b64 s[40:41], vcc
	s_cbranch_execz .LBB4_9951
; %bb.9944:                             ;   in Loop: Header=BB4_9739 Depth=3
	v_lshrrev_b32_e32 v0, 24, v9
	v_cmp_ne_u32_e32 vcc, s96, v0
	v_bfrev_b32_e32 v1, 1
	s_and_saveexec_b64 s[42:43], vcc
	s_cbranch_execz .LBB4_9950
; %bb.9945:                             ;   in Loop: Header=BB4_9739 Depth=3
	v_and_b32_e32 v1, 0x7c000000, v9
	v_bfe_u32 v2, v9, 24, 2
	v_cmp_ne_u32_e32 vcc, s45, v1
                                        ; implicit-def: $vgpr1
	s_and_saveexec_b64 s[38:39], vcc
	s_xor_b64 s[38:39], exec, s[38:39]
	s_cbranch_execz .LBB4_9947
; %bb.9946:                             ;   in Loop: Header=BB4_9739 Depth=3
	v_ffbh_u32_e32 v1, v2
	v_min_u32_e32 v26, 32, v1
	v_subrev_u32_e32 v1, 29, v26
	v_lshlrev_b64 v[0:1], v1, v[0:1]
	v_bfe_u32 v3, v9, 26, 5
	v_sub_u32_e32 v1, 30, v26
	v_and_b32_e32 v0, 3, v0
	v_cmp_eq_u32_e32 vcc, 0, v3
	v_cndmask_b32_e32 v1, v3, v1, vcc
	v_cndmask_b32_e32 v0, v2, v0, vcc
	v_and_b32_e32 v2, 0x80000000, v9
	v_lshl_add_u32 v1, v1, 23, v2
	v_lshl_or_b32 v0, v0, 21, v1
	v_add_u32_e32 v1, 0x38000000, v0
                                        ; implicit-def: $vgpr2
.LBB4_9947:                             ;   in Loop: Header=BB4_9739 Depth=3
	s_andn2_saveexec_b64 s[38:39], s[38:39]
; %bb.9948:                             ;   in Loop: Header=BB4_9739 Depth=3
	v_cmp_lt_i64_e32 vcc, -1, v[8:9]
	v_mov_b32_e32 v0, 0xff800000
	v_mov_b32_e32 v1, 0x7f800000
	v_cndmask_b32_e32 v0, v0, v1, vcc
	v_cmp_eq_u32_e32 vcc, 0, v2
	v_mov_b32_e32 v1, 0x7f800001
	v_cndmask_b32_e32 v1, v1, v0, vcc
; %bb.9949:                             ;   in Loop: Header=BB4_9739 Depth=3
	s_or_b64 exec, exec, s[38:39]
.LBB4_9950:                             ;   in Loop: Header=BB4_9739 Depth=3
	s_or_b64 exec, exec, s[42:43]
.LBB4_9951:                             ;   in Loop: Header=BB4_9739 Depth=3
	s_or_b64 exec, exec, s[40:41]
	v_mul_f32_e32 v2, v27, v1
	v_and_b32_e32 v8, 0x7f800000, v2
	v_mov_b32_e32 v9, v17
	v_cmp_ne_u64_e32 vcc, s[76:77], v[8:9]
	v_and_b32_e32 v0, 0x7fffff, v2
	v_mov_b32_e32 v1, v17
                                        ; implicit-def: $vgpr51
	s_and_saveexec_b64 s[40:41], vcc
	s_xor_b64 s[42:43], exec, s[40:41]
	s_cbranch_execz .LBB4_9965
; %bb.9952:                             ;   in Loop: Header=BB4_9739 Depth=3
	v_and_b32_e32 v8, 0x7fffffff, v2
	v_mov_b32_e32 v9, v17
	v_cmp_gt_u64_e32 vcc, s[78:79], v[8:9]
	v_and_b32_sdwa v3, v2, s96 dst_sel:DWORD dst_unused:UNUSED_PAD src0_sel:BYTE_3 src1_sel:DWORD
                                        ; implicit-def: $vgpr51
	s_and_saveexec_b64 s[40:41], vcc
	s_xor_b64 s[38:39], exec, s[40:41]
	s_cbranch_execz .LBB4_9962
; %bb.9953:                             ;   in Loop: Header=BB4_9739 Depth=3
	v_mov_b32_e32 v51, 0
	v_cmp_ne_u32_e32 vcc, 0, v2
	s_and_saveexec_b64 s[48:49], vcc
	s_cbranch_execz .LBB4_9961
; %bb.9954:                             ;   in Loop: Header=BB4_9739 Depth=3
	v_bfe_u32 v8, v2, 23, 8
	v_cmp_gt_u32_e64 s[40:41], s46, v8
	v_sub_u32_e32 v2, 0x71, v8
	v_cmp_eq_u32_e32 vcc, 0, v8
	v_cndmask_b32_e64 v2, 0, v2, s[40:41]
	v_mov_b32_e32 v9, 0x70
	v_cndmask_b32_e32 v9, v2, v9, vcc
	v_add_u32_e32 v2, 21, v9
	v_or_b32_e32 v26, 0x800000, v0
	v_lshlrev_b64 v[30:31], v2, -1
	v_cndmask_b32_e32 v0, v26, v0, vcc
	v_add_u32_e32 v2, 20, v9
	v_bfi_b32 v30, v30, 0, v0
	v_lshlrev_b64 v[33:34], v2, 1
	v_lshrrev_b64 v[0:1], v9, v[0:1]
	v_bfi_b32 v31, v31, 0, 0
	v_cmp_eq_u64_e64 s[40:41], v[30:31], v[33:34]
	v_mov_b32_e32 v2, v1
	v_mov_b32_e32 v1, v0
	s_and_saveexec_b64 s[50:51], s[40:41]
; %bb.9955:                             ;   in Loop: Header=BB4_9739 Depth=3
	v_bfe_u32 v1, v0, 21, 1
	v_add_co_u32_e64 v1, s[40:41], v0, v1
	v_add_co_u32_e64 v1, s[40:41], -1, v1
; %bb.9956:                             ;   in Loop: Header=BB4_9739 Depth=3
	s_or_b64 exec, exec, s[50:51]
	v_add_u32_e32 v2, 0xffffff81, v8
	v_mov_b32_e32 v8, 0xffffff82
	v_cndmask_b32_e32 v2, v2, v8, vcc
	v_lshrrev_b32_e32 v8, 23, v0
	v_add3_u32 v9, v9, v2, v8
	v_add_u32_e32 v8, 14, v9
	v_and_b32_e32 v1, 0x1fffff, v1
	v_add_u32_e32 v0, v1, v0
	v_mov_b32_e32 v1, v17
	v_cmp_ne_u32_e32 vcc, 0, v8
                                        ; implicit-def: $vgpr2
	s_and_saveexec_b64 s[40:41], vcc
	s_xor_b64 s[40:41], exec, s[40:41]
; %bb.9957:                             ;   in Loop: Header=BB4_9739 Depth=3
	v_cmp_lt_u64_e32 vcc, s[88:89], v[0:1]
	v_add_u32_e32 v2, 15, v9
	v_cndmask_b32_e32 v2, v8, v2, vcc
	v_cndmask_b32_e64 v8, 0, 1, vcc
	v_lshrrev_b64 v[0:1], v8, v[0:1]
; %bb.9958:                             ;   in Loop: Header=BB4_9739 Depth=3
	s_andn2_saveexec_b64 s[40:41], s[40:41]
; %bb.9959:                             ;   in Loop: Header=BB4_9739 Depth=3
	v_bfe_u32 v2, v0, 23, 1
; %bb.9960:                             ;   in Loop: Header=BB4_9739 Depth=3
	s_or_b64 exec, exec, s[40:41]
	v_lshrrev_b64 v[0:1], 21, v[0:1]
	v_cmp_gt_i32_e32 vcc, 32, v2
	v_cndmask_b32_e32 v1, 0, v1, vcc
	v_cndmask_b32_e32 v0, 3, v0, vcc
	v_cmp_eq_u64_e64 s[40:41], 0, v[0:1]
	v_min_i32_e32 v1, 31, v2
	v_lshlrev_b32_e32 v1, 2, v1
	v_cmp_eq_u32_e32 vcc, 0, v2
	v_and_b32_e32 v1, 0xfc, v1
	v_and_or_b32 v0, v0, 3, v1
	s_and_b64 s[40:41], vcc, s[40:41]
	v_cndmask_b32_e64 v0, v0, 0, s[40:41]
	v_or_b32_e32 v51, v0, v3
.LBB4_9961:                             ;   in Loop: Header=BB4_9739 Depth=3
	s_or_b64 exec, exec, s[48:49]
                                        ; implicit-def: $vgpr3
.LBB4_9962:                             ;   in Loop: Header=BB4_9739 Depth=3
	s_andn2_saveexec_b64 s[40:41], s[38:39]
; %bb.9963:                             ;   in Loop: Header=BB4_9739 Depth=3
	v_or_b32_e32 v51, 0x7b, v3
; %bb.9964:                             ;   in Loop: Header=BB4_9739 Depth=3
	s_or_b64 exec, exec, s[40:41]
                                        ; implicit-def: $vgpr2
                                        ; implicit-def: $vgpr0_vgpr1
.LBB4_9965:                             ;   in Loop: Header=BB4_9739 Depth=3
	s_andn2_saveexec_b64 s[40:41], s[42:43]
	s_cbranch_execz .LBB4_9971
; %bb.9966:                             ;   in Loop: Header=BB4_9739 Depth=3
	v_cmp_ne_u64_e32 vcc, 0, v[0:1]
                                        ; implicit-def: $vgpr51
	s_and_saveexec_b64 s[42:43], vcc
	s_xor_b64 s[42:43], exec, s[42:43]
; %bb.9967:                             ;   in Loop: Header=BB4_9739 Depth=3
	v_or_b32_sdwa v51, v2, s47 dst_sel:DWORD dst_unused:UNUSED_PAD src0_sel:BYTE_3 src1_sel:DWORD
                                        ; implicit-def: $vgpr2
; %bb.9968:                             ;   in Loop: Header=BB4_9739 Depth=3
	s_andn2_saveexec_b64 s[42:43], s[42:43]
; %bb.9969:                             ;   in Loop: Header=BB4_9739 Depth=3
	v_cmp_lt_i32_e32 vcc, -1, v2
	v_bfrev_b32_e32 v0, 0.5
	v_cndmask_b32_e32 v51, v0, v52, vcc
; %bb.9970:                             ;   in Loop: Header=BB4_9739 Depth=3
	s_or_b64 exec, exec, s[42:43]
.LBB4_9971:                             ;   in Loop: Header=BB4_9739 Depth=3
	s_or_b64 exec, exec, s[40:41]
	v_cmp_ne_u16_sdwa s[42:43], v10, v17 src0_sel:BYTE_0 src1_sel:DWORD
	v_mov_b32_e32 v0, 0
	s_and_saveexec_b64 s[40:41], s[42:43]
	s_cbranch_execz .LBB4_9979
; %bb.9972:                             ;   in Loop: Header=BB4_9739 Depth=3
	v_cmp_ne_u16_sdwa vcc, sext(v10), s97 src0_sel:BYTE_0 src1_sel:DWORD
	v_bfrev_b32_e32 v0, 1
	s_and_saveexec_b64 s[42:43], vcc
	s_cbranch_execz .LBB4_9978
; %bb.9973:                             ;   in Loop: Header=BB4_9739 Depth=3
	v_and_b32_e32 v0, 0x7c, v10
	v_and_b32_e32 v1, 3, v10
	v_cmp_ne_u32_e32 vcc, s85, v0
                                        ; implicit-def: $vgpr0
	s_and_saveexec_b64 s[38:39], vcc
	s_xor_b64 s[38:39], exec, s[38:39]
	s_cbranch_execz .LBB4_9975
; %bb.9974:                             ;   in Loop: Header=BB4_9739 Depth=3
	v_ffbh_u32_e32 v2, v1
	v_min_u32_e32 v8, 32, v2
	v_subrev_u32_e32 v2, 29, v8
	v_lshlrev_b64 v[2:3], v2, v[10:11]
	v_bfe_u32 v0, v10, 2, 5
	v_and_b32_e32 v2, 3, v2
	v_cmp_eq_u32_e32 vcc, 0, v0
	v_sub_u32_e32 v3, 30, v8
	v_cndmask_b32_e32 v1, v1, v2, vcc
	v_lshlrev_b32_e32 v2, 24, v10
	v_cndmask_b32_e32 v0, v0, v3, vcc
	v_and_b32_e32 v2, 0x80000000, v2
	v_lshl_add_u32 v0, v0, 23, v2
	v_lshl_or_b32 v0, v1, 21, v0
	v_add_u32_e32 v0, 0x38000000, v0
                                        ; implicit-def: $vgpr1
.LBB4_9975:                             ;   in Loop: Header=BB4_9739 Depth=3
	s_andn2_saveexec_b64 s[38:39], s[38:39]
; %bb.9976:                             ;   in Loop: Header=BB4_9739 Depth=3
	v_mov_b32_e32 v0, -1
	v_cmp_gt_i16_sdwa vcc, sext(v10), v0 src0_sel:BYTE_0 src1_sel:DWORD
	v_mov_b32_e32 v0, 0xff800000
	v_mov_b32_e32 v2, 0x7f800000
	v_cndmask_b32_e32 v0, v0, v2, vcc
	v_cmp_eq_u32_e32 vcc, 0, v1
	v_mov_b32_e32 v1, 0x7f800001
	v_cndmask_b32_e32 v0, v1, v0, vcc
; %bb.9977:                             ;   in Loop: Header=BB4_9739 Depth=3
	s_or_b64 exec, exec, s[38:39]
.LBB4_9978:                             ;   in Loop: Header=BB4_9739 Depth=3
	s_or_b64 exec, exec, s[42:43]
.LBB4_9979:                             ;   in Loop: Header=BB4_9739 Depth=3
	s_or_b64 exec, exec, s[40:41]
	v_mul_f32_e32 v2, v27, v0
	v_and_b32_e32 v8, 0x7f800000, v2
	v_mov_b32_e32 v9, v17
	v_cmp_ne_u64_e32 vcc, s[76:77], v[8:9]
	v_and_b32_e32 v0, 0x7fffff, v2
	v_mov_b32_e32 v1, v17
                                        ; implicit-def: $vgpr30
	s_and_saveexec_b64 s[40:41], vcc
	s_xor_b64 s[42:43], exec, s[40:41]
	s_cbranch_execz .LBB4_9993
; %bb.9980:                             ;   in Loop: Header=BB4_9739 Depth=3
	v_and_b32_e32 v8, 0x7fffffff, v2
	v_mov_b32_e32 v9, v17
	v_cmp_gt_u64_e32 vcc, s[78:79], v[8:9]
	v_and_b32_sdwa v3, v2, s96 dst_sel:DWORD dst_unused:UNUSED_PAD src0_sel:BYTE_3 src1_sel:DWORD
                                        ; implicit-def: $vgpr30
	s_and_saveexec_b64 s[40:41], vcc
	s_xor_b64 s[38:39], exec, s[40:41]
	s_cbranch_execz .LBB4_9990
; %bb.9981:                             ;   in Loop: Header=BB4_9739 Depth=3
	v_mov_b32_e32 v30, 0
	v_cmp_ne_u32_e32 vcc, 0, v2
	s_and_saveexec_b64 s[48:49], vcc
	s_cbranch_execz .LBB4_9989
; %bb.9982:                             ;   in Loop: Header=BB4_9739 Depth=3
	v_bfe_u32 v8, v2, 23, 8
	v_cmp_gt_u32_e64 s[40:41], s46, v8
	v_sub_u32_e32 v2, 0x71, v8
	v_cmp_eq_u32_e32 vcc, 0, v8
	v_cndmask_b32_e64 v2, 0, v2, s[40:41]
	v_mov_b32_e32 v9, 0x70
	v_cndmask_b32_e32 v9, v2, v9, vcc
	v_add_u32_e32 v2, 21, v9
	v_or_b32_e32 v26, 0x800000, v0
	v_lshlrev_b64 v[30:31], v2, -1
	v_cndmask_b32_e32 v0, v26, v0, vcc
	v_add_u32_e32 v2, 20, v9
	v_bfi_b32 v30, v30, 0, v0
	v_lshlrev_b64 v[33:34], v2, 1
	v_lshrrev_b64 v[0:1], v9, v[0:1]
	v_bfi_b32 v31, v31, 0, 0
	v_cmp_eq_u64_e64 s[40:41], v[30:31], v[33:34]
	v_mov_b32_e32 v2, v1
	v_mov_b32_e32 v1, v0
	s_and_saveexec_b64 s[50:51], s[40:41]
; %bb.9983:                             ;   in Loop: Header=BB4_9739 Depth=3
	v_bfe_u32 v1, v0, 21, 1
	v_add_co_u32_e64 v1, s[40:41], v0, v1
	v_add_co_u32_e64 v1, s[40:41], -1, v1
; %bb.9984:                             ;   in Loop: Header=BB4_9739 Depth=3
	s_or_b64 exec, exec, s[50:51]
	v_add_u32_e32 v2, 0xffffff81, v8
	v_mov_b32_e32 v8, 0xffffff82
	v_cndmask_b32_e32 v2, v2, v8, vcc
	v_lshrrev_b32_e32 v8, 23, v0
	v_add3_u32 v9, v9, v2, v8
	v_add_u32_e32 v8, 14, v9
	v_and_b32_e32 v1, 0x1fffff, v1
	v_add_u32_e32 v0, v1, v0
	v_mov_b32_e32 v1, v17
	v_cmp_ne_u32_e32 vcc, 0, v8
                                        ; implicit-def: $vgpr2
	s_and_saveexec_b64 s[40:41], vcc
	s_xor_b64 s[40:41], exec, s[40:41]
; %bb.9985:                             ;   in Loop: Header=BB4_9739 Depth=3
	v_cmp_lt_u64_e32 vcc, s[88:89], v[0:1]
	v_add_u32_e32 v2, 15, v9
	v_cndmask_b32_e32 v2, v8, v2, vcc
	v_cndmask_b32_e64 v8, 0, 1, vcc
	v_lshrrev_b64 v[0:1], v8, v[0:1]
; %bb.9986:                             ;   in Loop: Header=BB4_9739 Depth=3
	s_andn2_saveexec_b64 s[40:41], s[40:41]
; %bb.9987:                             ;   in Loop: Header=BB4_9739 Depth=3
	v_bfe_u32 v2, v0, 23, 1
; %bb.9988:                             ;   in Loop: Header=BB4_9739 Depth=3
	s_or_b64 exec, exec, s[40:41]
	v_lshrrev_b64 v[0:1], 21, v[0:1]
	v_cmp_gt_i32_e32 vcc, 32, v2
	v_cndmask_b32_e32 v1, 0, v1, vcc
	v_cndmask_b32_e32 v0, 3, v0, vcc
	v_cmp_eq_u64_e64 s[40:41], 0, v[0:1]
	v_min_i32_e32 v1, 31, v2
	v_lshlrev_b32_e32 v1, 2, v1
	v_cmp_eq_u32_e32 vcc, 0, v2
	v_and_b32_e32 v1, 0xfc, v1
	v_and_or_b32 v0, v0, 3, v1
	s_and_b64 s[40:41], vcc, s[40:41]
	v_cndmask_b32_e64 v0, v0, 0, s[40:41]
	v_or_b32_e32 v30, v0, v3
.LBB4_9989:                             ;   in Loop: Header=BB4_9739 Depth=3
	s_or_b64 exec, exec, s[48:49]
                                        ; implicit-def: $vgpr3
.LBB4_9990:                             ;   in Loop: Header=BB4_9739 Depth=3
	s_andn2_saveexec_b64 s[40:41], s[38:39]
; %bb.9991:                             ;   in Loop: Header=BB4_9739 Depth=3
	v_or_b32_e32 v30, 0x7b, v3
; %bb.9992:                             ;   in Loop: Header=BB4_9739 Depth=3
	s_or_b64 exec, exec, s[40:41]
                                        ; implicit-def: $vgpr2
                                        ; implicit-def: $vgpr0_vgpr1
.LBB4_9993:                             ;   in Loop: Header=BB4_9739 Depth=3
	s_andn2_saveexec_b64 s[40:41], s[42:43]
	s_cbranch_execz .LBB4_9999
; %bb.9994:                             ;   in Loop: Header=BB4_9739 Depth=3
	v_cmp_ne_u64_e32 vcc, 0, v[0:1]
                                        ; implicit-def: $vgpr30
	s_and_saveexec_b64 s[42:43], vcc
	s_xor_b64 s[42:43], exec, s[42:43]
; %bb.9995:                             ;   in Loop: Header=BB4_9739 Depth=3
	v_or_b32_sdwa v30, v2, s47 dst_sel:DWORD dst_unused:UNUSED_PAD src0_sel:BYTE_3 src1_sel:DWORD
                                        ; implicit-def: $vgpr2
; %bb.9996:                             ;   in Loop: Header=BB4_9739 Depth=3
	s_andn2_saveexec_b64 s[42:43], s[42:43]
; %bb.9997:                             ;   in Loop: Header=BB4_9739 Depth=3
	v_cmp_lt_i32_e32 vcc, -1, v2
	v_bfrev_b32_e32 v0, 0.5
	v_cndmask_b32_e32 v30, v0, v52, vcc
; %bb.9998:                             ;   in Loop: Header=BB4_9739 Depth=3
	s_or_b64 exec, exec, s[42:43]
.LBB4_9999:                             ;   in Loop: Header=BB4_9739 Depth=3
	s_or_b64 exec, exec, s[40:41]
	v_lshrrev_b16_e32 v0, 8, v10
	v_cmp_ne_u16_e32 vcc, 0, v0
	v_mov_b32_e32 v1, 0
	s_and_saveexec_b64 s[40:41], vcc
	s_cbranch_execz .LBB4_10007
; %bb.10000:                            ;   in Loop: Header=BB4_9739 Depth=3
	v_cmp_ne_u16_e32 vcc, s96, v0
	v_bfrev_b32_e32 v1, 1
	s_and_saveexec_b64 s[42:43], vcc
	s_cbranch_execz .LBB4_10006
; %bb.10001:                            ;   in Loop: Header=BB4_9739 Depth=3
	v_and_b32_e32 v1, 0x7c, v0
	v_and_b32_e32 v2, 3, v0
	v_cmp_ne_u32_e32 vcc, s85, v1
                                        ; implicit-def: $vgpr1
	s_and_saveexec_b64 s[38:39], vcc
	s_xor_b64 s[38:39], exec, s[38:39]
	s_cbranch_execz .LBB4_10003
; %bb.10002:                            ;   in Loop: Header=BB4_9739 Depth=3
	v_ffbh_u32_e32 v8, v2
	v_min_u32_e32 v8, 32, v8
	v_mov_b32_e32 v1, v17
	v_subrev_u32_e32 v9, 29, v8
	v_bfe_u32 v3, v0, 2, 5
	v_lshlrev_b64 v[0:1], v9, v[0:1]
	v_cmp_eq_u32_e32 vcc, 0, v3
	v_and_b32_e32 v0, 3, v0
	v_sub_u32_e32 v1, 30, v8
	v_cndmask_b32_e32 v0, v2, v0, vcc
	v_lshlrev_b32_e32 v2, 16, v10
	v_cndmask_b32_e32 v1, v3, v1, vcc
	v_and_b32_e32 v2, 0x80000000, v2
	v_lshl_add_u32 v1, v1, 23, v2
	v_lshl_or_b32 v0, v0, 21, v1
	v_add_u32_e32 v1, 0x38000000, v0
                                        ; implicit-def: $vgpr2
.LBB4_10003:                            ;   in Loop: Header=BB4_9739 Depth=3
	s_andn2_saveexec_b64 s[38:39], s[38:39]
; %bb.10004:                            ;   in Loop: Header=BB4_9739 Depth=3
	v_cmp_lt_i16_e32 vcc, -1, v10
	v_mov_b32_e32 v0, 0xff800000
	v_mov_b32_e32 v1, 0x7f800000
	v_cndmask_b32_e32 v0, v0, v1, vcc
	v_cmp_eq_u32_e32 vcc, 0, v2
	v_mov_b32_e32 v1, 0x7f800001
	v_cndmask_b32_e32 v1, v1, v0, vcc
; %bb.10005:                            ;   in Loop: Header=BB4_9739 Depth=3
	s_or_b64 exec, exec, s[38:39]
.LBB4_10006:                            ;   in Loop: Header=BB4_9739 Depth=3
	s_or_b64 exec, exec, s[42:43]
.LBB4_10007:                            ;   in Loop: Header=BB4_9739 Depth=3
	s_or_b64 exec, exec, s[40:41]
	v_mul_f32_e32 v2, v27, v1
	v_and_b32_e32 v8, 0x7f800000, v2
	v_mov_b32_e32 v9, v17
	v_cmp_ne_u64_e32 vcc, s[76:77], v[8:9]
	v_and_b32_e32 v0, 0x7fffff, v2
	v_mov_b32_e32 v1, v17
                                        ; implicit-def: $vgpr34
	s_and_saveexec_b64 s[40:41], vcc
	s_xor_b64 s[42:43], exec, s[40:41]
	s_cbranch_execz .LBB4_10021
; %bb.10008:                            ;   in Loop: Header=BB4_9739 Depth=3
	v_and_b32_e32 v8, 0x7fffffff, v2
	v_mov_b32_e32 v9, v17
	v_cmp_gt_u64_e32 vcc, s[78:79], v[8:9]
	v_and_b32_sdwa v3, v2, s96 dst_sel:DWORD dst_unused:UNUSED_PAD src0_sel:BYTE_3 src1_sel:DWORD
                                        ; implicit-def: $vgpr34
	s_and_saveexec_b64 s[40:41], vcc
	s_xor_b64 s[38:39], exec, s[40:41]
	s_cbranch_execz .LBB4_10018
; %bb.10009:                            ;   in Loop: Header=BB4_9739 Depth=3
	v_mov_b32_e32 v34, 0
	v_cmp_ne_u32_e32 vcc, 0, v2
	s_and_saveexec_b64 s[48:49], vcc
	s_cbranch_execz .LBB4_10017
; %bb.10010:                            ;   in Loop: Header=BB4_9739 Depth=3
	v_bfe_u32 v8, v2, 23, 8
	v_cmp_gt_u32_e64 s[40:41], s46, v8
	v_sub_u32_e32 v2, 0x71, v8
	v_cmp_eq_u32_e32 vcc, 0, v8
	v_cndmask_b32_e64 v2, 0, v2, s[40:41]
	v_mov_b32_e32 v9, 0x70
	v_cndmask_b32_e32 v9, v2, v9, vcc
	v_add_u32_e32 v2, 21, v9
	v_or_b32_e32 v26, 0x800000, v0
	v_lshlrev_b64 v[33:34], v2, -1
	v_cndmask_b32_e32 v0, v26, v0, vcc
	v_add_u32_e32 v2, 20, v9
	v_bfi_b32 v33, v33, 0, v0
	v_lshlrev_b64 v[36:37], v2, 1
	v_lshrrev_b64 v[0:1], v9, v[0:1]
	v_bfi_b32 v34, v34, 0, 0
	v_cmp_eq_u64_e64 s[40:41], v[33:34], v[36:37]
	v_mov_b32_e32 v2, v1
	v_mov_b32_e32 v1, v0
	s_and_saveexec_b64 s[50:51], s[40:41]
; %bb.10011:                            ;   in Loop: Header=BB4_9739 Depth=3
	v_bfe_u32 v1, v0, 21, 1
	v_add_co_u32_e64 v1, s[40:41], v0, v1
	v_add_co_u32_e64 v1, s[40:41], -1, v1
; %bb.10012:                            ;   in Loop: Header=BB4_9739 Depth=3
	s_or_b64 exec, exec, s[50:51]
	v_add_u32_e32 v2, 0xffffff81, v8
	v_mov_b32_e32 v8, 0xffffff82
	v_cndmask_b32_e32 v2, v2, v8, vcc
	v_lshrrev_b32_e32 v8, 23, v0
	v_add3_u32 v9, v9, v2, v8
	v_add_u32_e32 v8, 14, v9
	v_and_b32_e32 v1, 0x1fffff, v1
	v_add_u32_e32 v0, v1, v0
	v_mov_b32_e32 v1, v17
	v_cmp_ne_u32_e32 vcc, 0, v8
                                        ; implicit-def: $vgpr2
	s_and_saveexec_b64 s[40:41], vcc
	s_xor_b64 s[40:41], exec, s[40:41]
; %bb.10013:                            ;   in Loop: Header=BB4_9739 Depth=3
	v_cmp_lt_u64_e32 vcc, s[88:89], v[0:1]
	v_add_u32_e32 v2, 15, v9
	v_cndmask_b32_e32 v2, v8, v2, vcc
	v_cndmask_b32_e64 v8, 0, 1, vcc
	v_lshrrev_b64 v[0:1], v8, v[0:1]
; %bb.10014:                            ;   in Loop: Header=BB4_9739 Depth=3
	s_andn2_saveexec_b64 s[40:41], s[40:41]
; %bb.10015:                            ;   in Loop: Header=BB4_9739 Depth=3
	v_bfe_u32 v2, v0, 23, 1
; %bb.10016:                            ;   in Loop: Header=BB4_9739 Depth=3
	s_or_b64 exec, exec, s[40:41]
	v_lshrrev_b64 v[0:1], 21, v[0:1]
	v_cmp_gt_i32_e32 vcc, 32, v2
	v_cndmask_b32_e32 v1, 0, v1, vcc
	v_cndmask_b32_e32 v0, 3, v0, vcc
	v_cmp_eq_u64_e64 s[40:41], 0, v[0:1]
	v_min_i32_e32 v1, 31, v2
	v_lshlrev_b32_e32 v1, 2, v1
	v_cmp_eq_u32_e32 vcc, 0, v2
	v_and_b32_e32 v1, 0xfc, v1
	v_and_or_b32 v0, v0, 3, v1
	s_and_b64 s[40:41], vcc, s[40:41]
	v_cndmask_b32_e64 v0, v0, 0, s[40:41]
	v_or_b32_e32 v34, v0, v3
.LBB4_10017:                            ;   in Loop: Header=BB4_9739 Depth=3
	s_or_b64 exec, exec, s[48:49]
                                        ; implicit-def: $vgpr3
.LBB4_10018:                            ;   in Loop: Header=BB4_9739 Depth=3
	s_andn2_saveexec_b64 s[40:41], s[38:39]
; %bb.10019:                            ;   in Loop: Header=BB4_9739 Depth=3
	v_or_b32_e32 v34, 0x7b, v3
; %bb.10020:                            ;   in Loop: Header=BB4_9739 Depth=3
	s_or_b64 exec, exec, s[40:41]
                                        ; implicit-def: $vgpr2
                                        ; implicit-def: $vgpr0_vgpr1
.LBB4_10021:                            ;   in Loop: Header=BB4_9739 Depth=3
	s_andn2_saveexec_b64 s[40:41], s[42:43]
	s_cbranch_execz .LBB4_10027
; %bb.10022:                            ;   in Loop: Header=BB4_9739 Depth=3
	v_cmp_ne_u64_e32 vcc, 0, v[0:1]
                                        ; implicit-def: $vgpr34
	s_and_saveexec_b64 s[42:43], vcc
	s_xor_b64 s[42:43], exec, s[42:43]
; %bb.10023:                            ;   in Loop: Header=BB4_9739 Depth=3
	v_or_b32_sdwa v34, v2, s47 dst_sel:DWORD dst_unused:UNUSED_PAD src0_sel:BYTE_3 src1_sel:DWORD
                                        ; implicit-def: $vgpr2
; %bb.10024:                            ;   in Loop: Header=BB4_9739 Depth=3
	s_andn2_saveexec_b64 s[42:43], s[42:43]
; %bb.10025:                            ;   in Loop: Header=BB4_9739 Depth=3
	v_cmp_lt_i32_e32 vcc, -1, v2
	v_bfrev_b32_e32 v0, 0.5
	v_cndmask_b32_e32 v34, v0, v52, vcc
; %bb.10026:                            ;   in Loop: Header=BB4_9739 Depth=3
	s_or_b64 exec, exec, s[42:43]
.LBB4_10027:                            ;   in Loop: Header=BB4_9739 Depth=3
	s_or_b64 exec, exec, s[40:41]
	v_lshrrev_b32_e32 v0, 16, v10
	v_cmp_ne_u16_sdwa s[42:43], v0, v17 src0_sel:BYTE_0 src1_sel:DWORD
	v_mov_b32_e32 v1, 0
	s_and_saveexec_b64 s[40:41], s[42:43]
	s_cbranch_execz .LBB4_10035
; %bb.10028:                            ;   in Loop: Header=BB4_9739 Depth=3
	v_cmp_ne_u16_sdwa vcc, v0, s96 src0_sel:BYTE_0 src1_sel:DWORD
	v_bfrev_b32_e32 v1, 1
	s_and_saveexec_b64 s[42:43], vcc
	s_cbranch_execz .LBB4_10034
; %bb.10029:                            ;   in Loop: Header=BB4_9739 Depth=3
	v_and_b32_e32 v1, 0x7c0000, v10
	v_bfe_u32 v2, v10, 16, 2
	v_cmp_ne_u32_e32 vcc, s44, v1
                                        ; implicit-def: $vgpr1
	s_and_saveexec_b64 s[38:39], vcc
	s_xor_b64 s[38:39], exec, s[38:39]
	s_cbranch_execz .LBB4_10031
; %bb.10030:                            ;   in Loop: Header=BB4_9739 Depth=3
	v_ffbh_u32_e32 v1, v2
	v_min_u32_e32 v8, 32, v1
	v_subrev_u32_e32 v1, 29, v8
	v_lshlrev_b64 v[0:1], v1, v[0:1]
	v_bfe_u32 v3, v10, 18, 5
	v_and_b32_e32 v0, 3, v0
	v_cmp_eq_u32_e32 vcc, 0, v3
	v_sub_u32_e32 v1, 30, v8
	v_cndmask_b32_e32 v0, v2, v0, vcc
	v_lshlrev_b32_e32 v2, 8, v10
	v_cndmask_b32_e32 v1, v3, v1, vcc
	v_and_b32_e32 v2, 0x80000000, v2
	v_lshl_add_u32 v1, v1, 23, v2
	v_lshl_or_b32 v0, v0, 21, v1
	v_add_u32_e32 v1, 0x38000000, v0
                                        ; implicit-def: $vgpr2
                                        ; implicit-def: $vgpr0
.LBB4_10031:                            ;   in Loop: Header=BB4_9739 Depth=3
	s_andn2_saveexec_b64 s[38:39], s[38:39]
; %bb.10032:                            ;   in Loop: Header=BB4_9739 Depth=3
	v_mov_b32_e32 v1, -1
	v_cmp_gt_i16_sdwa vcc, sext(v0), v1 src0_sel:BYTE_0 src1_sel:DWORD
	v_mov_b32_e32 v0, 0xff800000
	v_mov_b32_e32 v1, 0x7f800000
	v_cndmask_b32_e32 v0, v0, v1, vcc
	v_cmp_eq_u32_e32 vcc, 0, v2
	v_mov_b32_e32 v1, 0x7f800001
	v_cndmask_b32_e32 v1, v1, v0, vcc
; %bb.10033:                            ;   in Loop: Header=BB4_9739 Depth=3
	s_or_b64 exec, exec, s[38:39]
.LBB4_10034:                            ;   in Loop: Header=BB4_9739 Depth=3
	s_or_b64 exec, exec, s[42:43]
.LBB4_10035:                            ;   in Loop: Header=BB4_9739 Depth=3
	s_or_b64 exec, exec, s[40:41]
	v_mul_f32_e32 v2, v27, v1
	v_and_b32_e32 v8, 0x7f800000, v2
	v_mov_b32_e32 v9, v17
	v_cmp_ne_u64_e32 vcc, s[76:77], v[8:9]
	v_and_b32_e32 v0, 0x7fffff, v2
	v_mov_b32_e32 v1, v17
                                        ; implicit-def: $vgpr37
	s_and_saveexec_b64 s[40:41], vcc
	s_xor_b64 s[42:43], exec, s[40:41]
	s_cbranch_execz .LBB4_10049
; %bb.10036:                            ;   in Loop: Header=BB4_9739 Depth=3
	v_and_b32_e32 v8, 0x7fffffff, v2
	v_mov_b32_e32 v9, v17
	v_cmp_gt_u64_e32 vcc, s[78:79], v[8:9]
	v_and_b32_sdwa v3, v2, s96 dst_sel:DWORD dst_unused:UNUSED_PAD src0_sel:BYTE_3 src1_sel:DWORD
                                        ; implicit-def: $vgpr37
	s_and_saveexec_b64 s[40:41], vcc
	s_xor_b64 s[38:39], exec, s[40:41]
	s_cbranch_execz .LBB4_10046
; %bb.10037:                            ;   in Loop: Header=BB4_9739 Depth=3
	v_mov_b32_e32 v37, 0
	v_cmp_ne_u32_e32 vcc, 0, v2
	s_and_saveexec_b64 s[48:49], vcc
	s_cbranch_execz .LBB4_10045
; %bb.10038:                            ;   in Loop: Header=BB4_9739 Depth=3
	v_bfe_u32 v8, v2, 23, 8
	v_cmp_gt_u32_e64 s[40:41], s46, v8
	v_sub_u32_e32 v2, 0x71, v8
	v_cmp_eq_u32_e32 vcc, 0, v8
	v_cndmask_b32_e64 v2, 0, v2, s[40:41]
	v_mov_b32_e32 v9, 0x70
	v_cndmask_b32_e32 v9, v2, v9, vcc
	v_add_u32_e32 v2, 21, v9
	v_or_b32_e32 v26, 0x800000, v0
	v_lshlrev_b64 v[36:37], v2, -1
	v_cndmask_b32_e32 v0, v26, v0, vcc
	v_add_u32_e32 v2, 20, v9
	v_bfi_b32 v36, v36, 0, v0
	v_lshlrev_b64 v[48:49], v2, 1
	v_lshrrev_b64 v[0:1], v9, v[0:1]
	v_bfi_b32 v37, v37, 0, 0
	v_cmp_eq_u64_e64 s[40:41], v[36:37], v[48:49]
	v_mov_b32_e32 v2, v1
	v_mov_b32_e32 v1, v0
	s_and_saveexec_b64 s[50:51], s[40:41]
; %bb.10039:                            ;   in Loop: Header=BB4_9739 Depth=3
	v_bfe_u32 v1, v0, 21, 1
	v_add_co_u32_e64 v1, s[40:41], v0, v1
	v_add_co_u32_e64 v1, s[40:41], -1, v1
; %bb.10040:                            ;   in Loop: Header=BB4_9739 Depth=3
	s_or_b64 exec, exec, s[50:51]
	v_add_u32_e32 v2, 0xffffff81, v8
	v_mov_b32_e32 v8, 0xffffff82
	v_cndmask_b32_e32 v2, v2, v8, vcc
	v_lshrrev_b32_e32 v8, 23, v0
	v_add3_u32 v9, v9, v2, v8
	v_add_u32_e32 v8, 14, v9
	v_and_b32_e32 v1, 0x1fffff, v1
	v_add_u32_e32 v0, v1, v0
	v_mov_b32_e32 v1, v17
	v_cmp_ne_u32_e32 vcc, 0, v8
                                        ; implicit-def: $vgpr2
	s_and_saveexec_b64 s[40:41], vcc
	s_xor_b64 s[40:41], exec, s[40:41]
; %bb.10041:                            ;   in Loop: Header=BB4_9739 Depth=3
	v_cmp_lt_u64_e32 vcc, s[88:89], v[0:1]
	v_add_u32_e32 v2, 15, v9
	v_cndmask_b32_e32 v2, v8, v2, vcc
	v_cndmask_b32_e64 v8, 0, 1, vcc
	v_lshrrev_b64 v[0:1], v8, v[0:1]
; %bb.10042:                            ;   in Loop: Header=BB4_9739 Depth=3
	s_andn2_saveexec_b64 s[40:41], s[40:41]
; %bb.10043:                            ;   in Loop: Header=BB4_9739 Depth=3
	v_bfe_u32 v2, v0, 23, 1
; %bb.10044:                            ;   in Loop: Header=BB4_9739 Depth=3
	s_or_b64 exec, exec, s[40:41]
	v_lshrrev_b64 v[0:1], 21, v[0:1]
	v_cmp_gt_i32_e32 vcc, 32, v2
	v_cndmask_b32_e32 v1, 0, v1, vcc
	v_cndmask_b32_e32 v0, 3, v0, vcc
	v_cmp_eq_u64_e64 s[40:41], 0, v[0:1]
	v_min_i32_e32 v1, 31, v2
	v_lshlrev_b32_e32 v1, 2, v1
	v_cmp_eq_u32_e32 vcc, 0, v2
	v_and_b32_e32 v1, 0xfc, v1
	v_and_or_b32 v0, v0, 3, v1
	s_and_b64 s[40:41], vcc, s[40:41]
	v_cndmask_b32_e64 v0, v0, 0, s[40:41]
	v_or_b32_e32 v37, v0, v3
.LBB4_10045:                            ;   in Loop: Header=BB4_9739 Depth=3
	s_or_b64 exec, exec, s[48:49]
                                        ; implicit-def: $vgpr3
.LBB4_10046:                            ;   in Loop: Header=BB4_9739 Depth=3
	s_andn2_saveexec_b64 s[40:41], s[38:39]
; %bb.10047:                            ;   in Loop: Header=BB4_9739 Depth=3
	v_or_b32_e32 v37, 0x7b, v3
; %bb.10048:                            ;   in Loop: Header=BB4_9739 Depth=3
	s_or_b64 exec, exec, s[40:41]
                                        ; implicit-def: $vgpr2
                                        ; implicit-def: $vgpr0_vgpr1
.LBB4_10049:                            ;   in Loop: Header=BB4_9739 Depth=3
	s_andn2_saveexec_b64 s[40:41], s[42:43]
	s_cbranch_execz .LBB4_10055
; %bb.10050:                            ;   in Loop: Header=BB4_9739 Depth=3
	v_cmp_ne_u64_e32 vcc, 0, v[0:1]
                                        ; implicit-def: $vgpr37
	s_and_saveexec_b64 s[42:43], vcc
	s_xor_b64 s[42:43], exec, s[42:43]
; %bb.10051:                            ;   in Loop: Header=BB4_9739 Depth=3
	v_or_b32_sdwa v37, v2, s47 dst_sel:DWORD dst_unused:UNUSED_PAD src0_sel:BYTE_3 src1_sel:DWORD
                                        ; implicit-def: $vgpr2
; %bb.10052:                            ;   in Loop: Header=BB4_9739 Depth=3
	s_andn2_saveexec_b64 s[42:43], s[42:43]
; %bb.10053:                            ;   in Loop: Header=BB4_9739 Depth=3
	v_cmp_lt_i32_e32 vcc, -1, v2
	v_bfrev_b32_e32 v0, 0.5
	v_cndmask_b32_e32 v37, v0, v52, vcc
; %bb.10054:                            ;   in Loop: Header=BB4_9739 Depth=3
	s_or_b64 exec, exec, s[42:43]
.LBB4_10055:                            ;   in Loop: Header=BB4_9739 Depth=3
	s_or_b64 exec, exec, s[40:41]
	v_cmp_lt_u32_e32 vcc, s57, v10
	v_mov_b32_e32 v1, 0
	s_and_saveexec_b64 s[40:41], vcc
	s_cbranch_execz .LBB4_10063
; %bb.10056:                            ;   in Loop: Header=BB4_9739 Depth=3
	v_lshrrev_b32_e32 v0, 24, v10
	v_cmp_ne_u32_e32 vcc, s96, v0
	v_bfrev_b32_e32 v1, 1
	s_and_saveexec_b64 s[42:43], vcc
	s_cbranch_execz .LBB4_10062
; %bb.10057:                            ;   in Loop: Header=BB4_9739 Depth=3
	v_and_b32_e32 v1, 0x7c000000, v10
	v_bfe_u32 v2, v10, 24, 2
	v_cmp_ne_u32_e32 vcc, s45, v1
                                        ; implicit-def: $vgpr1
	s_and_saveexec_b64 s[38:39], vcc
	s_xor_b64 s[38:39], exec, s[38:39]
	s_cbranch_execz .LBB4_10059
; %bb.10058:                            ;   in Loop: Header=BB4_9739 Depth=3
	v_ffbh_u32_e32 v1, v2
	v_min_u32_e32 v8, 32, v1
	v_subrev_u32_e32 v1, 29, v8
	v_lshlrev_b64 v[0:1], v1, v[0:1]
	v_bfe_u32 v3, v10, 26, 5
	v_sub_u32_e32 v1, 30, v8
	v_and_b32_e32 v0, 3, v0
	v_cmp_eq_u32_e32 vcc, 0, v3
	v_cndmask_b32_e32 v1, v3, v1, vcc
	v_cndmask_b32_e32 v0, v2, v0, vcc
	v_and_b32_e32 v2, 0x80000000, v10
	v_lshl_add_u32 v1, v1, 23, v2
	v_lshl_or_b32 v0, v0, 21, v1
	v_add_u32_e32 v1, 0x38000000, v0
                                        ; implicit-def: $vgpr2
.LBB4_10059:                            ;   in Loop: Header=BB4_9739 Depth=3
	s_andn2_saveexec_b64 s[38:39], s[38:39]
; %bb.10060:                            ;   in Loop: Header=BB4_9739 Depth=3
	v_cmp_lt_i32_e32 vcc, -1, v10
	v_mov_b32_e32 v0, 0xff800000
	v_mov_b32_e32 v1, 0x7f800000
	v_cndmask_b32_e32 v0, v0, v1, vcc
	v_cmp_eq_u32_e32 vcc, 0, v2
	v_mov_b32_e32 v1, 0x7f800001
	v_cndmask_b32_e32 v1, v1, v0, vcc
; %bb.10061:                            ;   in Loop: Header=BB4_9739 Depth=3
	s_or_b64 exec, exec, s[38:39]
.LBB4_10062:                            ;   in Loop: Header=BB4_9739 Depth=3
	s_or_b64 exec, exec, s[42:43]
.LBB4_10063:                            ;   in Loop: Header=BB4_9739 Depth=3
	s_or_b64 exec, exec, s[40:41]
	v_mul_f32_e32 v2, v27, v1
	v_and_b32_e32 v8, 0x7f800000, v2
	v_mov_b32_e32 v9, v17
	v_cmp_ne_u64_e32 vcc, s[76:77], v[8:9]
	v_and_b32_e32 v0, 0x7fffff, v2
	v_mov_b32_e32 v1, v17
                                        ; implicit-def: $vgpr39
	s_and_saveexec_b64 s[40:41], vcc
	s_xor_b64 s[42:43], exec, s[40:41]
	s_cbranch_execz .LBB4_10077
; %bb.10064:                            ;   in Loop: Header=BB4_9739 Depth=3
	v_and_b32_e32 v8, 0x7fffffff, v2
	v_mov_b32_e32 v9, v17
	v_cmp_gt_u64_e32 vcc, s[78:79], v[8:9]
	v_and_b32_sdwa v3, v2, s96 dst_sel:DWORD dst_unused:UNUSED_PAD src0_sel:BYTE_3 src1_sel:DWORD
                                        ; implicit-def: $vgpr39
	s_and_saveexec_b64 s[40:41], vcc
	s_xor_b64 s[38:39], exec, s[40:41]
	s_cbranch_execz .LBB4_10074
; %bb.10065:                            ;   in Loop: Header=BB4_9739 Depth=3
	v_mov_b32_e32 v39, 0
	v_cmp_ne_u32_e32 vcc, 0, v2
	s_and_saveexec_b64 s[48:49], vcc
	s_cbranch_execz .LBB4_10073
; %bb.10066:                            ;   in Loop: Header=BB4_9739 Depth=3
	v_bfe_u32 v8, v2, 23, 8
	v_cmp_gt_u32_e64 s[40:41], s46, v8
	v_sub_u32_e32 v2, 0x71, v8
	v_cmp_eq_u32_e32 vcc, 0, v8
	v_cndmask_b32_e64 v2, 0, v2, s[40:41]
	v_mov_b32_e32 v9, 0x70
	v_cndmask_b32_e32 v9, v2, v9, vcc
	v_add_u32_e32 v2, 21, v9
	v_or_b32_e32 v26, 0x800000, v0
	v_lshlrev_b64 v[48:49], v2, -1
	v_cndmask_b32_e32 v0, v26, v0, vcc
	v_add_u32_e32 v2, 20, v9
	v_bfi_b32 v48, v48, 0, v0
	v_lshlrev_b64 v[54:55], v2, 1
	v_lshrrev_b64 v[0:1], v9, v[0:1]
	v_bfi_b32 v49, v49, 0, 0
	v_cmp_eq_u64_e64 s[40:41], v[48:49], v[54:55]
	v_mov_b32_e32 v2, v1
	v_mov_b32_e32 v1, v0
	s_and_saveexec_b64 s[50:51], s[40:41]
; %bb.10067:                            ;   in Loop: Header=BB4_9739 Depth=3
	v_bfe_u32 v1, v0, 21, 1
	v_add_co_u32_e64 v1, s[40:41], v0, v1
	v_add_co_u32_e64 v1, s[40:41], -1, v1
; %bb.10068:                            ;   in Loop: Header=BB4_9739 Depth=3
	s_or_b64 exec, exec, s[50:51]
	v_add_u32_e32 v2, 0xffffff81, v8
	v_mov_b32_e32 v8, 0xffffff82
	v_cndmask_b32_e32 v2, v2, v8, vcc
	v_lshrrev_b32_e32 v8, 23, v0
	v_add3_u32 v9, v9, v2, v8
	v_add_u32_e32 v8, 14, v9
	v_and_b32_e32 v1, 0x1fffff, v1
	v_add_u32_e32 v0, v1, v0
	v_mov_b32_e32 v1, v17
	v_cmp_ne_u32_e32 vcc, 0, v8
                                        ; implicit-def: $vgpr2
	s_and_saveexec_b64 s[40:41], vcc
	s_xor_b64 s[40:41], exec, s[40:41]
; %bb.10069:                            ;   in Loop: Header=BB4_9739 Depth=3
	v_cmp_lt_u64_e32 vcc, s[88:89], v[0:1]
	v_add_u32_e32 v2, 15, v9
	v_cndmask_b32_e32 v2, v8, v2, vcc
	v_cndmask_b32_e64 v8, 0, 1, vcc
	v_lshrrev_b64 v[0:1], v8, v[0:1]
; %bb.10070:                            ;   in Loop: Header=BB4_9739 Depth=3
	s_andn2_saveexec_b64 s[40:41], s[40:41]
; %bb.10071:                            ;   in Loop: Header=BB4_9739 Depth=3
	v_bfe_u32 v2, v0, 23, 1
; %bb.10072:                            ;   in Loop: Header=BB4_9739 Depth=3
	s_or_b64 exec, exec, s[40:41]
	v_lshrrev_b64 v[0:1], 21, v[0:1]
	v_cmp_gt_i32_e32 vcc, 32, v2
	v_cndmask_b32_e32 v1, 0, v1, vcc
	v_cndmask_b32_e32 v0, 3, v0, vcc
	v_cmp_eq_u64_e64 s[40:41], 0, v[0:1]
	v_min_i32_e32 v1, 31, v2
	v_lshlrev_b32_e32 v1, 2, v1
	v_cmp_eq_u32_e32 vcc, 0, v2
	v_and_b32_e32 v1, 0xfc, v1
	v_and_or_b32 v0, v0, 3, v1
	s_and_b64 s[40:41], vcc, s[40:41]
	v_cndmask_b32_e64 v0, v0, 0, s[40:41]
	v_or_b32_e32 v39, v0, v3
.LBB4_10073:                            ;   in Loop: Header=BB4_9739 Depth=3
	s_or_b64 exec, exec, s[48:49]
                                        ; implicit-def: $vgpr3
.LBB4_10074:                            ;   in Loop: Header=BB4_9739 Depth=3
	s_andn2_saveexec_b64 s[40:41], s[38:39]
; %bb.10075:                            ;   in Loop: Header=BB4_9739 Depth=3
	v_or_b32_e32 v39, 0x7b, v3
; %bb.10076:                            ;   in Loop: Header=BB4_9739 Depth=3
	s_or_b64 exec, exec, s[40:41]
                                        ; implicit-def: $vgpr2
                                        ; implicit-def: $vgpr0_vgpr1
.LBB4_10077:                            ;   in Loop: Header=BB4_9739 Depth=3
	s_andn2_saveexec_b64 s[40:41], s[42:43]
	s_cbranch_execz .LBB4_10083
; %bb.10078:                            ;   in Loop: Header=BB4_9739 Depth=3
	v_cmp_ne_u64_e32 vcc, 0, v[0:1]
                                        ; implicit-def: $vgpr39
	s_and_saveexec_b64 s[42:43], vcc
	s_xor_b64 s[42:43], exec, s[42:43]
; %bb.10079:                            ;   in Loop: Header=BB4_9739 Depth=3
	v_or_b32_sdwa v39, v2, s47 dst_sel:DWORD dst_unused:UNUSED_PAD src0_sel:BYTE_3 src1_sel:DWORD
                                        ; implicit-def: $vgpr2
; %bb.10080:                            ;   in Loop: Header=BB4_9739 Depth=3
	s_andn2_saveexec_b64 s[42:43], s[42:43]
; %bb.10081:                            ;   in Loop: Header=BB4_9739 Depth=3
	v_cmp_lt_i32_e32 vcc, -1, v2
	v_bfrev_b32_e32 v0, 0.5
	v_cndmask_b32_e32 v39, v0, v52, vcc
; %bb.10082:                            ;   in Loop: Header=BB4_9739 Depth=3
	s_or_b64 exec, exec, s[42:43]
.LBB4_10083:                            ;   in Loop: Header=BB4_9739 Depth=3
	s_or_b64 exec, exec, s[40:41]
	v_mov_b32_e32 v0, v11
	v_mov_b32_e32 v1, v17
	v_cmp_ne_u16_sdwa s[42:43], v11, v17 src0_sel:BYTE_0 src1_sel:DWORD
	v_mov_b32_e32 v2, 0
	s_and_saveexec_b64 s[40:41], s[42:43]
	s_cbranch_execz .LBB4_10091
; %bb.10084:                            ;   in Loop: Header=BB4_9739 Depth=3
	v_cmp_ne_u16_sdwa vcc, v11, s96 src0_sel:BYTE_0 src1_sel:DWORD
	v_bfrev_b32_e32 v2, 1
	s_and_saveexec_b64 s[42:43], vcc
	s_cbranch_execz .LBB4_10090
; %bb.10085:                            ;   in Loop: Header=BB4_9739 Depth=3
	v_and_b32_e32 v2, 0x7c, v11
	v_and_b32_e32 v3, 3, v11
	v_cmp_ne_u32_e32 vcc, s85, v2
                                        ; implicit-def: $vgpr2
	s_and_saveexec_b64 s[38:39], vcc
	s_xor_b64 s[38:39], exec, s[38:39]
	s_cbranch_execz .LBB4_10087
; %bb.10086:                            ;   in Loop: Header=BB4_9739 Depth=3
	v_ffbh_u32_e32 v2, v3
	v_min_u32_e32 v9, 32, v2
	v_subrev_u32_e32 v2, 29, v9
	v_lshlrev_b64 v[1:2], v2, v[0:1]
	v_bfe_u32 v8, v11, 2, 5
	v_and_b32_e32 v1, 3, v1
	v_cmp_eq_u32_e32 vcc, 0, v8
	v_sub_u32_e32 v2, 30, v9
	v_cndmask_b32_e32 v1, v3, v1, vcc
	v_lshlrev_b32_e32 v3, 24, v11
	v_cndmask_b32_e32 v2, v8, v2, vcc
	v_and_b32_e32 v3, 0x80000000, v3
	v_lshl_add_u32 v2, v2, 23, v3
	v_lshl_or_b32 v1, v1, 21, v2
	v_add_u32_e32 v2, 0x38000000, v1
                                        ; implicit-def: $vgpr3
.LBB4_10087:                            ;   in Loop: Header=BB4_9739 Depth=3
	s_andn2_saveexec_b64 s[38:39], s[38:39]
; %bb.10088:                            ;   in Loop: Header=BB4_9739 Depth=3
	v_mov_b32_e32 v1, -1
	v_cmp_gt_i16_sdwa vcc, sext(v11), v1 src0_sel:BYTE_0 src1_sel:DWORD
	v_mov_b32_e32 v1, 0xff800000
	v_mov_b32_e32 v2, 0x7f800000
	v_cndmask_b32_e32 v1, v1, v2, vcc
	v_cmp_eq_u32_e32 vcc, 0, v3
	v_mov_b32_e32 v2, 0x7f800001
	v_cndmask_b32_e32 v2, v2, v1, vcc
; %bb.10089:                            ;   in Loop: Header=BB4_9739 Depth=3
	s_or_b64 exec, exec, s[38:39]
.LBB4_10090:                            ;   in Loop: Header=BB4_9739 Depth=3
	s_or_b64 exec, exec, s[42:43]
.LBB4_10091:                            ;   in Loop: Header=BB4_9739 Depth=3
	s_or_b64 exec, exec, s[40:41]
	v_mul_f32_e32 v3, v27, v2
	v_and_b32_e32 v8, 0x7f800000, v3
	v_mov_b32_e32 v9, v17
	v_cmp_ne_u64_e32 vcc, s[76:77], v[8:9]
	v_and_b32_e32 v1, 0x7fffff, v3
	v_mov_b32_e32 v2, v17
                                        ; implicit-def: $vgpr26
	s_and_saveexec_b64 s[40:41], vcc
	s_xor_b64 s[42:43], exec, s[40:41]
	s_cbranch_execz .LBB4_10105
; %bb.10092:                            ;   in Loop: Header=BB4_9739 Depth=3
	v_and_b32_e32 v8, 0x7fffffff, v3
	v_mov_b32_e32 v9, v17
	v_cmp_gt_u64_e32 vcc, s[78:79], v[8:9]
	v_and_b32_sdwa v8, v3, s96 dst_sel:DWORD dst_unused:UNUSED_PAD src0_sel:BYTE_3 src1_sel:DWORD
                                        ; implicit-def: $vgpr26
	s_and_saveexec_b64 s[40:41], vcc
	s_xor_b64 s[38:39], exec, s[40:41]
	s_cbranch_execz .LBB4_10102
; %bb.10093:                            ;   in Loop: Header=BB4_9739 Depth=3
	v_mov_b32_e32 v26, 0
	v_cmp_ne_u32_e32 vcc, 0, v3
	s_and_saveexec_b64 s[48:49], vcc
	s_cbranch_execz .LBB4_10101
; %bb.10094:                            ;   in Loop: Header=BB4_9739 Depth=3
	v_bfe_u32 v9, v3, 23, 8
	v_cmp_gt_u32_e64 s[40:41], s46, v9
	v_sub_u32_e32 v3, 0x71, v9
	v_cmp_eq_u32_e32 vcc, 0, v9
	v_cndmask_b32_e64 v3, 0, v3, s[40:41]
	v_mov_b32_e32 v26, 0x70
	v_cndmask_b32_e32 v26, v3, v26, vcc
	v_add_u32_e32 v3, 21, v26
	v_or_b32_e32 v28, 0x800000, v1
	v_lshlrev_b64 v[48:49], v3, -1
	v_cndmask_b32_e32 v1, v28, v1, vcc
	v_add_u32_e32 v3, 20, v26
	v_bfi_b32 v48, v48, 0, v1
	v_lshlrev_b64 v[54:55], v3, 1
	v_lshrrev_b64 v[1:2], v26, v[1:2]
	v_bfi_b32 v49, v49, 0, 0
	v_cmp_eq_u64_e64 s[40:41], v[48:49], v[54:55]
	v_mov_b32_e32 v3, v2
	v_mov_b32_e32 v2, v1
	s_and_saveexec_b64 s[50:51], s[40:41]
; %bb.10095:                            ;   in Loop: Header=BB4_9739 Depth=3
	v_bfe_u32 v2, v1, 21, 1
	v_add_co_u32_e64 v2, s[40:41], v1, v2
	v_add_co_u32_e64 v2, s[40:41], -1, v2
; %bb.10096:                            ;   in Loop: Header=BB4_9739 Depth=3
	s_or_b64 exec, exec, s[50:51]
	v_add_u32_e32 v3, 0xffffff81, v9
	v_mov_b32_e32 v9, 0xffffff82
	v_cndmask_b32_e32 v3, v3, v9, vcc
	v_lshrrev_b32_e32 v9, 23, v1
	v_add3_u32 v26, v26, v3, v9
	v_add_u32_e32 v9, 14, v26
	v_and_b32_e32 v2, 0x1fffff, v2
	v_add_u32_e32 v1, v2, v1
	v_mov_b32_e32 v2, v17
	v_cmp_ne_u32_e32 vcc, 0, v9
                                        ; implicit-def: $vgpr3
	s_and_saveexec_b64 s[40:41], vcc
	s_xor_b64 s[40:41], exec, s[40:41]
; %bb.10097:                            ;   in Loop: Header=BB4_9739 Depth=3
	v_cmp_lt_u64_e32 vcc, s[88:89], v[1:2]
	v_add_u32_e32 v3, 15, v26
	v_cndmask_b32_e32 v3, v9, v3, vcc
	v_cndmask_b32_e64 v9, 0, 1, vcc
	v_lshrrev_b64 v[1:2], v9, v[1:2]
; %bb.10098:                            ;   in Loop: Header=BB4_9739 Depth=3
	s_andn2_saveexec_b64 s[40:41], s[40:41]
; %bb.10099:                            ;   in Loop: Header=BB4_9739 Depth=3
	v_bfe_u32 v3, v1, 23, 1
; %bb.10100:                            ;   in Loop: Header=BB4_9739 Depth=3
	s_or_b64 exec, exec, s[40:41]
	v_lshrrev_b64 v[1:2], 21, v[1:2]
	v_cmp_gt_i32_e32 vcc, 32, v3
	v_cndmask_b32_e32 v2, 0, v2, vcc
	v_cndmask_b32_e32 v1, 3, v1, vcc
	v_cmp_eq_u64_e64 s[40:41], 0, v[1:2]
	v_min_i32_e32 v2, 31, v3
	v_lshlrev_b32_e32 v2, 2, v2
	v_cmp_eq_u32_e32 vcc, 0, v3
	v_and_b32_e32 v2, 0xfc, v2
	v_and_or_b32 v1, v1, 3, v2
	s_and_b64 s[40:41], vcc, s[40:41]
	v_cndmask_b32_e64 v1, v1, 0, s[40:41]
	v_or_b32_e32 v26, v1, v8
.LBB4_10101:                            ;   in Loop: Header=BB4_9739 Depth=3
	s_or_b64 exec, exec, s[48:49]
                                        ; implicit-def: $vgpr8
.LBB4_10102:                            ;   in Loop: Header=BB4_9739 Depth=3
	s_andn2_saveexec_b64 s[40:41], s[38:39]
; %bb.10103:                            ;   in Loop: Header=BB4_9739 Depth=3
	v_or_b32_e32 v26, 0x7b, v8
; %bb.10104:                            ;   in Loop: Header=BB4_9739 Depth=3
	s_or_b64 exec, exec, s[40:41]
                                        ; implicit-def: $vgpr3
                                        ; implicit-def: $vgpr1_vgpr2
.LBB4_10105:                            ;   in Loop: Header=BB4_9739 Depth=3
	s_andn2_saveexec_b64 s[40:41], s[42:43]
	s_cbranch_execz .LBB4_10111
; %bb.10106:                            ;   in Loop: Header=BB4_9739 Depth=3
	v_cmp_ne_u64_e32 vcc, 0, v[1:2]
                                        ; implicit-def: $vgpr26
	s_and_saveexec_b64 s[42:43], vcc
	s_xor_b64 s[42:43], exec, s[42:43]
; %bb.10107:                            ;   in Loop: Header=BB4_9739 Depth=3
	v_or_b32_sdwa v26, v3, s47 dst_sel:DWORD dst_unused:UNUSED_PAD src0_sel:BYTE_3 src1_sel:DWORD
                                        ; implicit-def: $vgpr3
; %bb.10108:                            ;   in Loop: Header=BB4_9739 Depth=3
	s_andn2_saveexec_b64 s[42:43], s[42:43]
; %bb.10109:                            ;   in Loop: Header=BB4_9739 Depth=3
	v_cmp_lt_i32_e32 vcc, -1, v3
	v_bfrev_b32_e32 v1, 0.5
	v_cndmask_b32_e32 v26, v1, v52, vcc
; %bb.10110:                            ;   in Loop: Header=BB4_9739 Depth=3
	s_or_b64 exec, exec, s[42:43]
.LBB4_10111:                            ;   in Loop: Header=BB4_9739 Depth=3
	s_or_b64 exec, exec, s[40:41]
	v_lshrrev_b16_e32 v1, 8, v0
	v_cmp_ne_u16_e32 vcc, 0, v1
	v_mov_b32_e32 v2, 0
	s_and_saveexec_b64 s[40:41], vcc
	s_cbranch_execz .LBB4_10119
; %bb.10112:                            ;   in Loop: Header=BB4_9739 Depth=3
	v_cmp_ne_u16_e32 vcc, s96, v1
	v_bfrev_b32_e32 v2, 1
	s_and_saveexec_b64 s[42:43], vcc
	s_cbranch_execz .LBB4_10118
; %bb.10113:                            ;   in Loop: Header=BB4_9739 Depth=3
	v_and_b32_e32 v2, 0x7c, v1
	v_and_b32_e32 v3, 3, v1
	v_cmp_ne_u32_e32 vcc, s85, v2
                                        ; implicit-def: $vgpr2
	s_and_saveexec_b64 s[38:39], vcc
	s_xor_b64 s[38:39], exec, s[38:39]
	s_cbranch_execz .LBB4_10115
; %bb.10114:                            ;   in Loop: Header=BB4_9739 Depth=3
	v_ffbh_u32_e32 v9, v3
	v_min_u32_e32 v9, 32, v9
	v_mov_b32_e32 v2, v17
	v_subrev_u32_e32 v28, 29, v9
	v_bfe_u32 v8, v1, 2, 5
	v_lshlrev_b64 v[1:2], v28, v[1:2]
	v_sub_u32_e32 v2, 30, v9
	v_cmp_eq_u32_e32 vcc, 0, v8
	v_lshlrev_b32_e32 v0, 16, v0
	v_and_b32_e32 v1, 3, v1
	v_cndmask_b32_e32 v2, v8, v2, vcc
	v_and_b32_e32 v0, 0x80000000, v0
	v_cndmask_b32_e32 v1, v3, v1, vcc
	v_lshl_add_u32 v0, v2, 23, v0
	v_lshl_or_b32 v0, v1, 21, v0
	v_add_u32_e32 v2, 0x38000000, v0
                                        ; implicit-def: $vgpr3
                                        ; implicit-def: $vgpr0_vgpr1
.LBB4_10115:                            ;   in Loop: Header=BB4_9739 Depth=3
	s_andn2_saveexec_b64 s[38:39], s[38:39]
; %bb.10116:                            ;   in Loop: Header=BB4_9739 Depth=3
	v_cmp_lt_i16_e32 vcc, -1, v0
	v_mov_b32_e32 v0, 0xff800000
	v_mov_b32_e32 v1, 0x7f800000
	v_cndmask_b32_e32 v0, v0, v1, vcc
	v_cmp_eq_u32_e32 vcc, 0, v3
	v_mov_b32_e32 v1, 0x7f800001
	v_cndmask_b32_e32 v2, v1, v0, vcc
; %bb.10117:                            ;   in Loop: Header=BB4_9739 Depth=3
	s_or_b64 exec, exec, s[38:39]
.LBB4_10118:                            ;   in Loop: Header=BB4_9739 Depth=3
	s_or_b64 exec, exec, s[42:43]
.LBB4_10119:                            ;   in Loop: Header=BB4_9739 Depth=3
	s_or_b64 exec, exec, s[40:41]
	v_mul_f32_e32 v2, v27, v2
	v_and_b32_e32 v8, 0x7f800000, v2
	v_mov_b32_e32 v9, v17
	v_cmp_ne_u64_e32 vcc, s[76:77], v[8:9]
	v_and_b32_e32 v0, 0x7fffff, v2
	v_mov_b32_e32 v1, v17
                                        ; implicit-def: $vgpr31
	s_and_saveexec_b64 s[40:41], vcc
	s_xor_b64 s[42:43], exec, s[40:41]
	s_cbranch_execz .LBB4_10133
; %bb.10120:                            ;   in Loop: Header=BB4_9739 Depth=3
	v_and_b32_e32 v8, 0x7fffffff, v2
	v_mov_b32_e32 v9, v17
	v_cmp_gt_u64_e32 vcc, s[78:79], v[8:9]
	v_and_b32_sdwa v3, v2, s96 dst_sel:DWORD dst_unused:UNUSED_PAD src0_sel:BYTE_3 src1_sel:DWORD
                                        ; implicit-def: $vgpr31
	s_and_saveexec_b64 s[40:41], vcc
	s_xor_b64 s[38:39], exec, s[40:41]
	s_cbranch_execz .LBB4_10130
; %bb.10121:                            ;   in Loop: Header=BB4_9739 Depth=3
	v_mov_b32_e32 v31, 0
	v_cmp_ne_u32_e32 vcc, 0, v2
	s_and_saveexec_b64 s[48:49], vcc
	s_cbranch_execz .LBB4_10129
; %bb.10122:                            ;   in Loop: Header=BB4_9739 Depth=3
	v_bfe_u32 v8, v2, 23, 8
	v_cmp_gt_u32_e64 s[40:41], s46, v8
	v_sub_u32_e32 v2, 0x71, v8
	v_cmp_eq_u32_e32 vcc, 0, v8
	v_cndmask_b32_e64 v2, 0, v2, s[40:41]
	v_mov_b32_e32 v9, 0x70
	v_cndmask_b32_e32 v9, v2, v9, vcc
	v_add_u32_e32 v2, 21, v9
	v_or_b32_e32 v28, 0x800000, v0
	v_lshlrev_b64 v[48:49], v2, -1
	v_cndmask_b32_e32 v0, v28, v0, vcc
	v_add_u32_e32 v2, 20, v9
	v_bfi_b32 v48, v48, 0, v0
	v_lshlrev_b64 v[54:55], v2, 1
	v_lshrrev_b64 v[0:1], v9, v[0:1]
	v_bfi_b32 v49, v49, 0, 0
	v_cmp_eq_u64_e64 s[40:41], v[48:49], v[54:55]
	v_mov_b32_e32 v2, v1
	v_mov_b32_e32 v1, v0
	s_and_saveexec_b64 s[50:51], s[40:41]
; %bb.10123:                            ;   in Loop: Header=BB4_9739 Depth=3
	v_bfe_u32 v1, v0, 21, 1
	v_add_co_u32_e64 v1, s[40:41], v0, v1
	v_add_co_u32_e64 v1, s[40:41], -1, v1
; %bb.10124:                            ;   in Loop: Header=BB4_9739 Depth=3
	s_or_b64 exec, exec, s[50:51]
	v_add_u32_e32 v2, 0xffffff81, v8
	v_mov_b32_e32 v8, 0xffffff82
	v_cndmask_b32_e32 v2, v2, v8, vcc
	v_lshrrev_b32_e32 v8, 23, v0
	v_add3_u32 v9, v9, v2, v8
	v_add_u32_e32 v8, 14, v9
	v_and_b32_e32 v1, 0x1fffff, v1
	v_add_u32_e32 v0, v1, v0
	v_mov_b32_e32 v1, v17
	v_cmp_ne_u32_e32 vcc, 0, v8
                                        ; implicit-def: $vgpr2
	s_and_saveexec_b64 s[40:41], vcc
	s_xor_b64 s[40:41], exec, s[40:41]
; %bb.10125:                            ;   in Loop: Header=BB4_9739 Depth=3
	v_cmp_lt_u64_e32 vcc, s[88:89], v[0:1]
	v_add_u32_e32 v2, 15, v9
	v_cndmask_b32_e32 v2, v8, v2, vcc
	v_cndmask_b32_e64 v8, 0, 1, vcc
	v_lshrrev_b64 v[0:1], v8, v[0:1]
; %bb.10126:                            ;   in Loop: Header=BB4_9739 Depth=3
	s_andn2_saveexec_b64 s[40:41], s[40:41]
; %bb.10127:                            ;   in Loop: Header=BB4_9739 Depth=3
	v_bfe_u32 v2, v0, 23, 1
; %bb.10128:                            ;   in Loop: Header=BB4_9739 Depth=3
	s_or_b64 exec, exec, s[40:41]
	v_lshrrev_b64 v[0:1], 21, v[0:1]
	v_cmp_gt_i32_e32 vcc, 32, v2
	v_cndmask_b32_e32 v1, 0, v1, vcc
	v_cndmask_b32_e32 v0, 3, v0, vcc
	v_cmp_eq_u64_e64 s[40:41], 0, v[0:1]
	v_min_i32_e32 v1, 31, v2
	v_lshlrev_b32_e32 v1, 2, v1
	v_cmp_eq_u32_e32 vcc, 0, v2
	v_and_b32_e32 v1, 0xfc, v1
	v_and_or_b32 v0, v0, 3, v1
	s_and_b64 s[40:41], vcc, s[40:41]
	v_cndmask_b32_e64 v0, v0, 0, s[40:41]
	v_or_b32_e32 v31, v0, v3
.LBB4_10129:                            ;   in Loop: Header=BB4_9739 Depth=3
	s_or_b64 exec, exec, s[48:49]
                                        ; implicit-def: $vgpr3
.LBB4_10130:                            ;   in Loop: Header=BB4_9739 Depth=3
	s_andn2_saveexec_b64 s[40:41], s[38:39]
; %bb.10131:                            ;   in Loop: Header=BB4_9739 Depth=3
	v_or_b32_e32 v31, 0x7b, v3
; %bb.10132:                            ;   in Loop: Header=BB4_9739 Depth=3
	s_or_b64 exec, exec, s[40:41]
                                        ; implicit-def: $vgpr2
                                        ; implicit-def: $vgpr0_vgpr1
.LBB4_10133:                            ;   in Loop: Header=BB4_9739 Depth=3
	s_andn2_saveexec_b64 s[40:41], s[42:43]
	s_cbranch_execz .LBB4_10139
; %bb.10134:                            ;   in Loop: Header=BB4_9739 Depth=3
	v_cmp_ne_u64_e32 vcc, 0, v[0:1]
                                        ; implicit-def: $vgpr31
	s_and_saveexec_b64 s[42:43], vcc
	s_xor_b64 s[42:43], exec, s[42:43]
; %bb.10135:                            ;   in Loop: Header=BB4_9739 Depth=3
	v_or_b32_sdwa v31, v2, s47 dst_sel:DWORD dst_unused:UNUSED_PAD src0_sel:BYTE_3 src1_sel:DWORD
                                        ; implicit-def: $vgpr2
; %bb.10136:                            ;   in Loop: Header=BB4_9739 Depth=3
	s_andn2_saveexec_b64 s[42:43], s[42:43]
; %bb.10137:                            ;   in Loop: Header=BB4_9739 Depth=3
	v_cmp_lt_i32_e32 vcc, -1, v2
	v_bfrev_b32_e32 v0, 0.5
	v_cndmask_b32_e32 v31, v0, v52, vcc
; %bb.10138:                            ;   in Loop: Header=BB4_9739 Depth=3
	s_or_b64 exec, exec, s[42:43]
.LBB4_10139:                            ;   in Loop: Header=BB4_9739 Depth=3
	s_or_b64 exec, exec, s[40:41]
	v_lshrrev_b32_e32 v0, 16, v11
	v_cmp_ne_u16_sdwa s[42:43], v0, v17 src0_sel:BYTE_0 src1_sel:DWORD
	v_mov_b32_e32 v1, 0
	s_and_saveexec_b64 s[40:41], s[42:43]
	s_cbranch_execz .LBB4_10147
; %bb.10140:                            ;   in Loop: Header=BB4_9739 Depth=3
	v_cmp_ne_u16_sdwa vcc, v0, s96 src0_sel:BYTE_0 src1_sel:DWORD
	v_bfrev_b32_e32 v1, 1
	s_and_saveexec_b64 s[42:43], vcc
	s_cbranch_execz .LBB4_10146
; %bb.10141:                            ;   in Loop: Header=BB4_9739 Depth=3
	v_and_b32_e32 v1, 0x7c0000, v11
	v_bfe_u32 v2, v11, 16, 2
	v_cmp_ne_u32_e32 vcc, s44, v1
                                        ; implicit-def: $vgpr1
	s_and_saveexec_b64 s[38:39], vcc
	s_xor_b64 s[38:39], exec, s[38:39]
	s_cbranch_execz .LBB4_10143
; %bb.10142:                            ;   in Loop: Header=BB4_9739 Depth=3
	v_ffbh_u32_e32 v1, v2
	v_min_u32_e32 v8, 32, v1
	v_subrev_u32_e32 v1, 29, v8
	v_lshlrev_b64 v[0:1], v1, v[0:1]
	v_bfe_u32 v3, v11, 18, 5
	v_and_b32_e32 v0, 3, v0
	v_cmp_eq_u32_e32 vcc, 0, v3
	v_sub_u32_e32 v1, 30, v8
	v_cndmask_b32_e32 v0, v2, v0, vcc
	v_lshlrev_b32_e32 v2, 8, v11
	v_cndmask_b32_e32 v1, v3, v1, vcc
	v_and_b32_e32 v2, 0x80000000, v2
	v_lshl_add_u32 v1, v1, 23, v2
	v_lshl_or_b32 v0, v0, 21, v1
	v_add_u32_e32 v1, 0x38000000, v0
                                        ; implicit-def: $vgpr2
                                        ; implicit-def: $vgpr0
.LBB4_10143:                            ;   in Loop: Header=BB4_9739 Depth=3
	s_andn2_saveexec_b64 s[38:39], s[38:39]
; %bb.10144:                            ;   in Loop: Header=BB4_9739 Depth=3
	v_mov_b32_e32 v1, -1
	v_cmp_gt_i16_sdwa vcc, sext(v0), v1 src0_sel:BYTE_0 src1_sel:DWORD
	v_mov_b32_e32 v0, 0xff800000
	v_mov_b32_e32 v1, 0x7f800000
	v_cndmask_b32_e32 v0, v0, v1, vcc
	v_cmp_eq_u32_e32 vcc, 0, v2
	v_mov_b32_e32 v1, 0x7f800001
	v_cndmask_b32_e32 v1, v1, v0, vcc
; %bb.10145:                            ;   in Loop: Header=BB4_9739 Depth=3
	s_or_b64 exec, exec, s[38:39]
.LBB4_10146:                            ;   in Loop: Header=BB4_9739 Depth=3
	s_or_b64 exec, exec, s[42:43]
.LBB4_10147:                            ;   in Loop: Header=BB4_9739 Depth=3
	s_or_b64 exec, exec, s[40:41]
	v_mul_f32_e32 v2, v27, v1
	v_and_b32_e32 v8, 0x7f800000, v2
	v_mov_b32_e32 v9, v17
	v_cmp_ne_u64_e32 vcc, s[76:77], v[8:9]
	v_and_b32_e32 v0, 0x7fffff, v2
	v_mov_b32_e32 v1, v17
                                        ; implicit-def: $vgpr33
	s_and_saveexec_b64 s[40:41], vcc
	s_xor_b64 s[42:43], exec, s[40:41]
	s_cbranch_execz .LBB4_10161
; %bb.10148:                            ;   in Loop: Header=BB4_9739 Depth=3
	v_and_b32_e32 v8, 0x7fffffff, v2
	v_mov_b32_e32 v9, v17
	v_cmp_gt_u64_e32 vcc, s[78:79], v[8:9]
	v_and_b32_sdwa v3, v2, s96 dst_sel:DWORD dst_unused:UNUSED_PAD src0_sel:BYTE_3 src1_sel:DWORD
                                        ; implicit-def: $vgpr33
	s_and_saveexec_b64 s[40:41], vcc
	s_xor_b64 s[38:39], exec, s[40:41]
	s_cbranch_execz .LBB4_10158
; %bb.10149:                            ;   in Loop: Header=BB4_9739 Depth=3
	v_mov_b32_e32 v33, 0
	v_cmp_ne_u32_e32 vcc, 0, v2
	s_and_saveexec_b64 s[48:49], vcc
	s_cbranch_execz .LBB4_10157
; %bb.10150:                            ;   in Loop: Header=BB4_9739 Depth=3
	v_bfe_u32 v8, v2, 23, 8
	v_cmp_gt_u32_e64 s[40:41], s46, v8
	v_sub_u32_e32 v2, 0x71, v8
	v_cmp_eq_u32_e32 vcc, 0, v8
	v_cndmask_b32_e64 v2, 0, v2, s[40:41]
	v_mov_b32_e32 v9, 0x70
	v_cndmask_b32_e32 v9, v2, v9, vcc
	v_add_u32_e32 v2, 21, v9
	v_or_b32_e32 v28, 0x800000, v0
	v_lshlrev_b64 v[48:49], v2, -1
	v_cndmask_b32_e32 v0, v28, v0, vcc
	v_add_u32_e32 v2, 20, v9
	v_bfi_b32 v48, v48, 0, v0
	v_lshlrev_b64 v[54:55], v2, 1
	v_lshrrev_b64 v[0:1], v9, v[0:1]
	v_bfi_b32 v49, v49, 0, 0
	v_cmp_eq_u64_e64 s[40:41], v[48:49], v[54:55]
	v_mov_b32_e32 v2, v1
	v_mov_b32_e32 v1, v0
	s_and_saveexec_b64 s[50:51], s[40:41]
; %bb.10151:                            ;   in Loop: Header=BB4_9739 Depth=3
	v_bfe_u32 v1, v0, 21, 1
	v_add_co_u32_e64 v1, s[40:41], v0, v1
	v_add_co_u32_e64 v1, s[40:41], -1, v1
; %bb.10152:                            ;   in Loop: Header=BB4_9739 Depth=3
	s_or_b64 exec, exec, s[50:51]
	v_add_u32_e32 v2, 0xffffff81, v8
	v_mov_b32_e32 v8, 0xffffff82
	v_cndmask_b32_e32 v2, v2, v8, vcc
	v_lshrrev_b32_e32 v8, 23, v0
	v_add3_u32 v9, v9, v2, v8
	v_add_u32_e32 v8, 14, v9
	v_and_b32_e32 v1, 0x1fffff, v1
	v_add_u32_e32 v0, v1, v0
	v_mov_b32_e32 v1, v17
	v_cmp_ne_u32_e32 vcc, 0, v8
                                        ; implicit-def: $vgpr2
	s_and_saveexec_b64 s[40:41], vcc
	s_xor_b64 s[40:41], exec, s[40:41]
; %bb.10153:                            ;   in Loop: Header=BB4_9739 Depth=3
	v_cmp_lt_u64_e32 vcc, s[88:89], v[0:1]
	v_add_u32_e32 v2, 15, v9
	v_cndmask_b32_e32 v2, v8, v2, vcc
	v_cndmask_b32_e64 v8, 0, 1, vcc
	v_lshrrev_b64 v[0:1], v8, v[0:1]
; %bb.10154:                            ;   in Loop: Header=BB4_9739 Depth=3
	s_andn2_saveexec_b64 s[40:41], s[40:41]
; %bb.10155:                            ;   in Loop: Header=BB4_9739 Depth=3
	v_bfe_u32 v2, v0, 23, 1
; %bb.10156:                            ;   in Loop: Header=BB4_9739 Depth=3
	s_or_b64 exec, exec, s[40:41]
	v_lshrrev_b64 v[0:1], 21, v[0:1]
	v_cmp_gt_i32_e32 vcc, 32, v2
	v_cndmask_b32_e32 v1, 0, v1, vcc
	v_cndmask_b32_e32 v0, 3, v0, vcc
	v_cmp_eq_u64_e64 s[40:41], 0, v[0:1]
	v_min_i32_e32 v1, 31, v2
	v_lshlrev_b32_e32 v1, 2, v1
	v_cmp_eq_u32_e32 vcc, 0, v2
	v_and_b32_e32 v1, 0xfc, v1
	v_and_or_b32 v0, v0, 3, v1
	s_and_b64 s[40:41], vcc, s[40:41]
	v_cndmask_b32_e64 v0, v0, 0, s[40:41]
	v_or_b32_e32 v33, v0, v3
.LBB4_10157:                            ;   in Loop: Header=BB4_9739 Depth=3
	s_or_b64 exec, exec, s[48:49]
                                        ; implicit-def: $vgpr3
.LBB4_10158:                            ;   in Loop: Header=BB4_9739 Depth=3
	s_andn2_saveexec_b64 s[40:41], s[38:39]
; %bb.10159:                            ;   in Loop: Header=BB4_9739 Depth=3
	v_or_b32_e32 v33, 0x7b, v3
; %bb.10160:                            ;   in Loop: Header=BB4_9739 Depth=3
	s_or_b64 exec, exec, s[40:41]
                                        ; implicit-def: $vgpr2
                                        ; implicit-def: $vgpr0_vgpr1
.LBB4_10161:                            ;   in Loop: Header=BB4_9739 Depth=3
	s_andn2_saveexec_b64 s[40:41], s[42:43]
	s_cbranch_execz .LBB4_10167
; %bb.10162:                            ;   in Loop: Header=BB4_9739 Depth=3
	v_cmp_ne_u64_e32 vcc, 0, v[0:1]
                                        ; implicit-def: $vgpr33
	s_and_saveexec_b64 s[42:43], vcc
	s_xor_b64 s[42:43], exec, s[42:43]
; %bb.10163:                            ;   in Loop: Header=BB4_9739 Depth=3
	v_or_b32_sdwa v33, v2, s47 dst_sel:DWORD dst_unused:UNUSED_PAD src0_sel:BYTE_3 src1_sel:DWORD
                                        ; implicit-def: $vgpr2
; %bb.10164:                            ;   in Loop: Header=BB4_9739 Depth=3
	s_andn2_saveexec_b64 s[42:43], s[42:43]
; %bb.10165:                            ;   in Loop: Header=BB4_9739 Depth=3
	v_cmp_lt_i32_e32 vcc, -1, v2
	v_bfrev_b32_e32 v0, 0.5
	v_cndmask_b32_e32 v33, v0, v52, vcc
; %bb.10166:                            ;   in Loop: Header=BB4_9739 Depth=3
	s_or_b64 exec, exec, s[42:43]
.LBB4_10167:                            ;   in Loop: Header=BB4_9739 Depth=3
	s_or_b64 exec, exec, s[40:41]
	v_cmp_lt_u64_e32 vcc, s[56:57], v[10:11]
	v_mov_b32_e32 v1, 0
	s_and_saveexec_b64 s[40:41], vcc
	s_cbranch_execz .LBB4_10175
; %bb.10168:                            ;   in Loop: Header=BB4_9739 Depth=3
	v_lshrrev_b32_e32 v0, 24, v11
	v_cmp_ne_u32_e32 vcc, s96, v0
	v_bfrev_b32_e32 v1, 1
	s_and_saveexec_b64 s[42:43], vcc
	s_cbranch_execz .LBB4_10174
; %bb.10169:                            ;   in Loop: Header=BB4_9739 Depth=3
	v_and_b32_e32 v1, 0x7c000000, v11
	v_bfe_u32 v2, v11, 24, 2
	v_cmp_ne_u32_e32 vcc, s45, v1
                                        ; implicit-def: $vgpr1
	s_and_saveexec_b64 s[38:39], vcc
	s_xor_b64 s[38:39], exec, s[38:39]
	s_cbranch_execz .LBB4_10171
; %bb.10170:                            ;   in Loop: Header=BB4_9739 Depth=3
	v_ffbh_u32_e32 v1, v2
	v_min_u32_e32 v8, 32, v1
	v_subrev_u32_e32 v1, 29, v8
	v_lshlrev_b64 v[0:1], v1, v[0:1]
	v_bfe_u32 v3, v11, 26, 5
	v_sub_u32_e32 v1, 30, v8
	v_and_b32_e32 v0, 3, v0
	v_cmp_eq_u32_e32 vcc, 0, v3
	v_cndmask_b32_e32 v1, v3, v1, vcc
	v_cndmask_b32_e32 v0, v2, v0, vcc
	v_and_b32_e32 v2, 0x80000000, v11
	v_lshl_add_u32 v1, v1, 23, v2
	v_lshl_or_b32 v0, v0, 21, v1
	v_add_u32_e32 v1, 0x38000000, v0
                                        ; implicit-def: $vgpr2
                                        ; implicit-def: $vgpr10_vgpr11
.LBB4_10171:                            ;   in Loop: Header=BB4_9739 Depth=3
	s_andn2_saveexec_b64 s[38:39], s[38:39]
; %bb.10172:                            ;   in Loop: Header=BB4_9739 Depth=3
	v_cmp_lt_i64_e32 vcc, -1, v[10:11]
	v_mov_b32_e32 v0, 0xff800000
	v_mov_b32_e32 v1, 0x7f800000
	v_cndmask_b32_e32 v0, v0, v1, vcc
	v_cmp_eq_u32_e32 vcc, 0, v2
	v_mov_b32_e32 v1, 0x7f800001
	v_cndmask_b32_e32 v1, v1, v0, vcc
; %bb.10173:                            ;   in Loop: Header=BB4_9739 Depth=3
	s_or_b64 exec, exec, s[38:39]
.LBB4_10174:                            ;   in Loop: Header=BB4_9739 Depth=3
	s_or_b64 exec, exec, s[42:43]
.LBB4_10175:                            ;   in Loop: Header=BB4_9739 Depth=3
	s_or_b64 exec, exec, s[40:41]
	v_mul_f32_e32 v2, v27, v1
	v_and_b32_e32 v8, 0x7f800000, v2
	v_mov_b32_e32 v9, v17
	v_cmp_ne_u64_e32 vcc, s[76:77], v[8:9]
	v_and_b32_e32 v0, 0x7fffff, v2
	v_mov_b32_e32 v1, v17
                                        ; implicit-def: $vgpr36
	s_and_saveexec_b64 s[40:41], vcc
	s_xor_b64 s[42:43], exec, s[40:41]
	s_cbranch_execz .LBB4_10189
; %bb.10176:                            ;   in Loop: Header=BB4_9739 Depth=3
	v_and_b32_e32 v8, 0x7fffffff, v2
	v_mov_b32_e32 v9, v17
	v_cmp_gt_u64_e32 vcc, s[78:79], v[8:9]
	v_and_b32_sdwa v3, v2, s96 dst_sel:DWORD dst_unused:UNUSED_PAD src0_sel:BYTE_3 src1_sel:DWORD
                                        ; implicit-def: $vgpr36
	s_and_saveexec_b64 s[40:41], vcc
	s_xor_b64 s[38:39], exec, s[40:41]
	s_cbranch_execz .LBB4_10186
; %bb.10177:                            ;   in Loop: Header=BB4_9739 Depth=3
	v_mov_b32_e32 v36, 0
	v_cmp_ne_u32_e32 vcc, 0, v2
	s_and_saveexec_b64 s[48:49], vcc
	s_cbranch_execz .LBB4_10185
; %bb.10178:                            ;   in Loop: Header=BB4_9739 Depth=3
	v_bfe_u32 v8, v2, 23, 8
	v_cmp_gt_u32_e64 s[40:41], s46, v8
	v_sub_u32_e32 v2, 0x71, v8
	v_cmp_eq_u32_e32 vcc, 0, v8
	v_cndmask_b32_e64 v2, 0, v2, s[40:41]
	v_mov_b32_e32 v9, 0x70
	v_cndmask_b32_e32 v9, v2, v9, vcc
	v_or_b32_e32 v10, 0x800000, v0
	v_add_u32_e32 v2, 21, v9
	v_cndmask_b32_e32 v0, v10, v0, vcc
	v_lshlrev_b64 v[10:11], v2, -1
	v_add_u32_e32 v2, 20, v9
	v_bfi_b32 v10, v10, 0, v0
	v_lshlrev_b64 v[48:49], v2, 1
	v_lshrrev_b64 v[0:1], v9, v[0:1]
	v_bfi_b32 v11, v11, 0, 0
	v_cmp_eq_u64_e64 s[40:41], v[10:11], v[48:49]
	v_mov_b32_e32 v2, v1
	v_mov_b32_e32 v1, v0
	s_and_saveexec_b64 s[50:51], s[40:41]
; %bb.10179:                            ;   in Loop: Header=BB4_9739 Depth=3
	v_bfe_u32 v1, v0, 21, 1
	v_add_co_u32_e64 v1, s[40:41], v0, v1
	v_add_co_u32_e64 v1, s[40:41], -1, v1
; %bb.10180:                            ;   in Loop: Header=BB4_9739 Depth=3
	s_or_b64 exec, exec, s[50:51]
	v_add_u32_e32 v2, 0xffffff81, v8
	v_mov_b32_e32 v8, 0xffffff82
	v_cndmask_b32_e32 v2, v2, v8, vcc
	v_lshrrev_b32_e32 v8, 23, v0
	v_add3_u32 v9, v9, v2, v8
	v_add_u32_e32 v8, 14, v9
	v_and_b32_e32 v1, 0x1fffff, v1
	v_add_u32_e32 v0, v1, v0
	v_mov_b32_e32 v1, v17
	v_cmp_ne_u32_e32 vcc, 0, v8
                                        ; implicit-def: $vgpr2
	s_and_saveexec_b64 s[40:41], vcc
	s_xor_b64 s[40:41], exec, s[40:41]
; %bb.10181:                            ;   in Loop: Header=BB4_9739 Depth=3
	v_cmp_lt_u64_e32 vcc, s[88:89], v[0:1]
	v_add_u32_e32 v2, 15, v9
	v_cndmask_b32_e32 v2, v8, v2, vcc
	v_cndmask_b32_e64 v8, 0, 1, vcc
	v_lshrrev_b64 v[0:1], v8, v[0:1]
; %bb.10182:                            ;   in Loop: Header=BB4_9739 Depth=3
	s_andn2_saveexec_b64 s[40:41], s[40:41]
; %bb.10183:                            ;   in Loop: Header=BB4_9739 Depth=3
	v_bfe_u32 v2, v0, 23, 1
; %bb.10184:                            ;   in Loop: Header=BB4_9739 Depth=3
	s_or_b64 exec, exec, s[40:41]
	v_lshrrev_b64 v[0:1], 21, v[0:1]
	v_cmp_gt_i32_e32 vcc, 32, v2
	v_cndmask_b32_e32 v1, 0, v1, vcc
	v_cndmask_b32_e32 v0, 3, v0, vcc
	v_cmp_eq_u64_e64 s[40:41], 0, v[0:1]
	v_min_i32_e32 v1, 31, v2
	v_lshlrev_b32_e32 v1, 2, v1
	v_cmp_eq_u32_e32 vcc, 0, v2
	v_and_b32_e32 v1, 0xfc, v1
	v_and_or_b32 v0, v0, 3, v1
	s_and_b64 s[40:41], vcc, s[40:41]
	v_cndmask_b32_e64 v0, v0, 0, s[40:41]
	v_or_b32_e32 v36, v0, v3
.LBB4_10185:                            ;   in Loop: Header=BB4_9739 Depth=3
	s_or_b64 exec, exec, s[48:49]
                                        ; implicit-def: $vgpr3
.LBB4_10186:                            ;   in Loop: Header=BB4_9739 Depth=3
	s_andn2_saveexec_b64 s[40:41], s[38:39]
; %bb.10187:                            ;   in Loop: Header=BB4_9739 Depth=3
	v_or_b32_e32 v36, 0x7b, v3
; %bb.10188:                            ;   in Loop: Header=BB4_9739 Depth=3
	s_or_b64 exec, exec, s[40:41]
                                        ; implicit-def: $vgpr2
                                        ; implicit-def: $vgpr0_vgpr1
.LBB4_10189:                            ;   in Loop: Header=BB4_9739 Depth=3
	s_andn2_saveexec_b64 s[40:41], s[42:43]
	s_cbranch_execz .LBB4_10195
; %bb.10190:                            ;   in Loop: Header=BB4_9739 Depth=3
	v_cmp_ne_u64_e32 vcc, 0, v[0:1]
                                        ; implicit-def: $vgpr36
	s_and_saveexec_b64 s[42:43], vcc
	s_xor_b64 s[42:43], exec, s[42:43]
; %bb.10191:                            ;   in Loop: Header=BB4_9739 Depth=3
	v_or_b32_sdwa v36, v2, s47 dst_sel:DWORD dst_unused:UNUSED_PAD src0_sel:BYTE_3 src1_sel:DWORD
                                        ; implicit-def: $vgpr2
; %bb.10192:                            ;   in Loop: Header=BB4_9739 Depth=3
	s_andn2_saveexec_b64 s[42:43], s[42:43]
; %bb.10193:                            ;   in Loop: Header=BB4_9739 Depth=3
	v_cmp_lt_i32_e32 vcc, -1, v2
	v_bfrev_b32_e32 v0, 0.5
	v_cndmask_b32_e32 v36, v0, v52, vcc
; %bb.10194:                            ;   in Loop: Header=BB4_9739 Depth=3
	s_or_b64 exec, exec, s[42:43]
.LBB4_10195:                            ;   in Loop: Header=BB4_9739 Depth=3
	s_or_b64 exec, exec, s[40:41]
	global_load_dwordx4 v[8:11], v[14:15], off glc slc
	v_lshl_or_b32 v27, v32, 8, v25
	v_lshlrev_b32_e32 v0, 16, v35
	v_lshlrev_b32_e32 v1, 24, v53
	v_or3_b32 v0, v0, v1, v27
	v_mov_b32_e32 v1, v17
	v_cmp_ne_u32_e32 vcc, 0, v25
	v_mov_b32_e32 v2, 0
	s_and_saveexec_b64 s[42:43], vcc
	s_cbranch_execz .LBB4_10203
; %bb.10196:                            ;   in Loop: Header=BB4_9739 Depth=3
	v_cmp_ne_u32_e32 vcc, s96, v25
	v_bfrev_b32_e32 v2, 1
	s_and_saveexec_b64 s[38:39], vcc
	s_cbranch_execz .LBB4_10202
; %bb.10197:                            ;   in Loop: Header=BB4_9739 Depth=3
	v_and_b32_e32 v2, 0x7c, v25
	v_and_b32_e32 v3, 3, v25
	v_cmp_ne_u32_e32 vcc, s85, v2
                                        ; implicit-def: $vgpr2
	s_and_saveexec_b64 s[40:41], vcc
	s_xor_b64 s[40:41], exec, s[40:41]
	s_cbranch_execz .LBB4_10199
; %bb.10198:                            ;   in Loop: Header=BB4_9739 Depth=3
	v_ffbh_u32_e32 v2, v3
	v_min_u32_e32 v29, 32, v2
	v_subrev_u32_e32 v2, 29, v29
	v_lshlrev_b64 v[1:2], v2, v[0:1]
	v_bfe_u32 v28, v25, 2, 5
	v_and_b32_e32 v1, 3, v1
	v_cmp_eq_u32_e32 vcc, 0, v28
	v_sub_u32_e32 v2, 30, v29
	v_cndmask_b32_e32 v1, v3, v1, vcc
	v_lshlrev_b32_e32 v3, 24, v25
	v_cndmask_b32_e32 v2, v28, v2, vcc
	v_and_b32_e32 v3, 0x80000000, v3
	v_lshl_add_u32 v2, v2, 23, v3
	v_lshl_or_b32 v1, v1, 21, v2
	v_add_u32_e32 v2, 0x38000000, v1
                                        ; implicit-def: $vgpr3
                                        ; implicit-def: $vgpr25
.LBB4_10199:                            ;   in Loop: Header=BB4_9739 Depth=3
	s_andn2_saveexec_b64 s[48:49], s[40:41]
; %bb.10200:                            ;   in Loop: Header=BB4_9739 Depth=3
	v_and_b32_e32 v1, 0x80, v25
	v_cmp_eq_u32_e64 s[40:41], 0, v1
	v_mov_b32_e32 v1, 0xff800000
	v_mov_b32_e32 v2, 0x7f800000
	v_cmp_eq_u32_e32 vcc, 0, v3
	v_cndmask_b32_e64 v1, v1, v2, s[40:41]
	v_mov_b32_e32 v2, 0x7f800001
	v_cndmask_b32_e32 v2, v2, v1, vcc
; %bb.10201:                            ;   in Loop: Header=BB4_9739 Depth=3
	s_or_b64 exec, exec, s[48:49]
.LBB4_10202:                            ;   in Loop: Header=BB4_9739 Depth=3
	s_or_b64 exec, exec, s[38:39]
.LBB4_10203:                            ;   in Loop: Header=BB4_9739 Depth=3
	s_or_b64 exec, exec, s[42:43]
	s_waitcnt vmcnt(0)
	v_cmp_gt_i16_sdwa s[42:43], v8, s47 src0_sel:BYTE_0 src1_sel:DWORD
	s_mov_b64 s[40:41], 0
	s_and_saveexec_b64 vcc, s[42:43]
	s_xor_b64 s[42:43], exec, vcc
	s_cbranch_execz .LBB4_10722
; %bb.10204:                            ;   in Loop: Header=BB4_9739 Depth=3
	v_cmp_eq_u16_sdwa s[38:39], v8, s96 src0_sel:BYTE_0 src1_sel:DWORD
	s_mov_b64 s[40:41], -1
	s_and_saveexec_b64 vcc, s[38:39]
; %bb.10205:                            ;   in Loop: Header=BB4_9739 Depth=3
	s_xor_b64 s[40:41], exec, -1
; %bb.10206:                            ;   in Loop: Header=BB4_9739 Depth=3
	s_or_b64 exec, exec, vcc
	s_and_b64 s[40:41], s[40:41], exec
	s_or_saveexec_b64 s[42:43], s[42:43]
	v_bfrev_b32_e32 v1, 1
	s_xor_b64 exec, exec, s[42:43]
	s_cbranch_execnz .LBB4_10723
.LBB4_10207:                            ;   in Loop: Header=BB4_9739 Depth=3
	s_or_b64 exec, exec, s[42:43]
	s_and_saveexec_b64 s[38:39], s[40:41]
	s_cbranch_execz .LBB4_10209
.LBB4_10208:                            ;   in Loop: Header=BB4_9739 Depth=3
	v_and_b32_e32 v1, 3, v8
	v_and_b32_e32 v25, 0x7c, v8
	v_cmp_eq_u32_e32 vcc, s85, v25
	v_ffbh_u32_e32 v25, v1
	v_min_u32_e32 v25, 32, v25
	v_subrev_u32_e32 v28, 29, v25
	v_lshlrev_b64 v[48:49], v28, v[8:9]
	v_bfe_u32 v3, v8, 2, 5
	v_cmp_eq_u32_e64 s[40:41], 0, v3
	v_sub_u32_e32 v25, 30, v25
	v_and_b32_e32 v28, 3, v48
	v_cndmask_b32_e64 v3, v3, v25, s[40:41]
	v_cndmask_b32_e64 v25, v1, v28, s[40:41]
	v_lshlrev_b32_e32 v28, 24, v8
	v_and_b32_e32 v28, 0x80000000, v28
	v_lshl_add_u32 v3, v3, 23, v28
	v_cmp_eq_u32_e64 s[40:41], 0, v1
	v_mov_b32_e32 v1, -1
	v_lshl_or_b32 v3, v25, 21, v3
	v_cmp_gt_i16_sdwa s[42:43], sext(v8), v1 src0_sel:BYTE_0 src1_sel:DWORD
	v_mov_b32_e32 v1, 0xff800000
	v_mov_b32_e32 v25, 0x7f800000
	v_cndmask_b32_e64 v1, v1, v25, s[42:43]
	v_mov_b32_e32 v25, 0x7f800001
	v_add_u32_e32 v3, 0x38000000, v3
	v_cndmask_b32_e64 v1, v25, v1, s[40:41]
	v_cndmask_b32_e32 v1, v3, v1, vcc
.LBB4_10209:                            ;   in Loop: Header=BB4_9739 Depth=3
	s_or_b64 exec, exec, s[38:39]
	v_add_f32_e32 v3, v2, v1
	v_and_b32_e32 v48, 0x7f800000, v3
	v_mov_b32_e32 v49, v17
	v_cmp_ne_u64_e32 vcc, s[76:77], v[48:49]
	v_and_b32_e32 v1, 0x7fffff, v3
	v_mov_b32_e32 v2, v17
                                        ; implicit-def: $vgpr25
	s_and_saveexec_b64 s[40:41], vcc
	s_xor_b64 s[42:43], exec, s[40:41]
	s_cbranch_execz .LBB4_10223
; %bb.10210:                            ;   in Loop: Header=BB4_9739 Depth=3
	v_and_b32_e32 v48, 0x7fffffff, v3
	v_mov_b32_e32 v49, v17
	v_cmp_gt_u64_e32 vcc, s[78:79], v[48:49]
	v_and_b32_sdwa v32, v3, s96 dst_sel:DWORD dst_unused:UNUSED_PAD src0_sel:BYTE_3 src1_sel:DWORD
                                        ; implicit-def: $vgpr25
	s_and_saveexec_b64 s[40:41], vcc
	s_xor_b64 s[38:39], exec, s[40:41]
	s_cbranch_execz .LBB4_10220
; %bb.10211:                            ;   in Loop: Header=BB4_9739 Depth=3
	v_mov_b32_e32 v25, 0
	v_cmp_ne_u32_e32 vcc, 0, v3
	s_and_saveexec_b64 s[48:49], vcc
	s_cbranch_execz .LBB4_10219
; %bb.10212:                            ;   in Loop: Header=BB4_9739 Depth=3
	v_bfe_u32 v25, v3, 23, 8
	v_cmp_gt_u32_e64 s[40:41], s46, v25
	v_sub_u32_e32 v3, 0x71, v25
	v_cmp_eq_u32_e32 vcc, 0, v25
	v_cndmask_b32_e64 v3, 0, v3, s[40:41]
	v_mov_b32_e32 v29, 0x70
	v_cndmask_b32_e32 v35, v3, v29, vcc
	v_add_u32_e32 v3, 21, v35
	v_or_b32_e32 v28, 0x800000, v1
	v_lshlrev_b64 v[48:49], v3, -1
	v_cndmask_b32_e32 v1, v28, v1, vcc
	v_add_u32_e32 v3, 20, v35
	v_bfi_b32 v48, v48, 0, v1
	v_lshlrev_b64 v[53:54], v3, 1
	v_lshrrev_b64 v[1:2], v35, v[1:2]
	v_bfi_b32 v49, v49, 0, 0
	v_cmp_eq_u64_e64 s[40:41], v[48:49], v[53:54]
	v_mov_b32_e32 v3, v2
	v_mov_b32_e32 v2, v1
	s_and_saveexec_b64 s[50:51], s[40:41]
; %bb.10213:                            ;   in Loop: Header=BB4_9739 Depth=3
	v_bfe_u32 v2, v1, 21, 1
	v_add_co_u32_e64 v2, s[40:41], v1, v2
	v_add_co_u32_e64 v2, s[40:41], -1, v2
; %bb.10214:                            ;   in Loop: Header=BB4_9739 Depth=3
	s_or_b64 exec, exec, s[50:51]
	v_add_u32_e32 v3, 0xffffff81, v25
	v_mov_b32_e32 v25, 0xffffff82
	v_cndmask_b32_e32 v3, v3, v25, vcc
	v_lshrrev_b32_e32 v25, 23, v1
	v_add3_u32 v35, v35, v3, v25
	v_add_u32_e32 v25, 14, v35
	v_and_b32_e32 v2, 0x1fffff, v2
	v_add_u32_e32 v1, v2, v1
	v_mov_b32_e32 v2, v17
	v_cmp_ne_u32_e32 vcc, 0, v25
                                        ; implicit-def: $vgpr3
	s_and_saveexec_b64 s[40:41], vcc
	s_xor_b64 s[40:41], exec, s[40:41]
; %bb.10215:                            ;   in Loop: Header=BB4_9739 Depth=3
	v_cmp_lt_u64_e32 vcc, s[88:89], v[1:2]
	v_add_u32_e32 v3, 15, v35
	v_cndmask_b32_e32 v3, v25, v3, vcc
	v_cndmask_b32_e64 v25, 0, 1, vcc
	v_lshrrev_b64 v[1:2], v25, v[1:2]
; %bb.10216:                            ;   in Loop: Header=BB4_9739 Depth=3
	s_andn2_saveexec_b64 s[40:41], s[40:41]
; %bb.10217:                            ;   in Loop: Header=BB4_9739 Depth=3
	v_bfe_u32 v3, v1, 23, 1
; %bb.10218:                            ;   in Loop: Header=BB4_9739 Depth=3
	s_or_b64 exec, exec, s[40:41]
	v_lshrrev_b64 v[1:2], 21, v[1:2]
	v_cmp_gt_i32_e32 vcc, 32, v3
	v_cndmask_b32_e32 v2, 0, v2, vcc
	v_cndmask_b32_e32 v1, 3, v1, vcc
	v_cmp_eq_u64_e64 s[40:41], 0, v[1:2]
	v_min_i32_e32 v2, 31, v3
	v_lshlrev_b32_e32 v2, 2, v2
	v_cmp_eq_u32_e32 vcc, 0, v3
	v_and_b32_e32 v2, 0xfc, v2
	v_and_or_b32 v1, v1, 3, v2
	s_and_b64 s[40:41], vcc, s[40:41]
	v_cndmask_b32_e64 v1, v1, 0, s[40:41]
	v_or_b32_e32 v25, v1, v32
.LBB4_10219:                            ;   in Loop: Header=BB4_9739 Depth=3
	s_or_b64 exec, exec, s[48:49]
                                        ; implicit-def: $vgpr32
.LBB4_10220:                            ;   in Loop: Header=BB4_9739 Depth=3
	s_andn2_saveexec_b64 s[40:41], s[38:39]
; %bb.10221:                            ;   in Loop: Header=BB4_9739 Depth=3
	v_or_b32_e32 v25, 0x7b, v32
; %bb.10222:                            ;   in Loop: Header=BB4_9739 Depth=3
	s_or_b64 exec, exec, s[40:41]
                                        ; implicit-def: $vgpr3
                                        ; implicit-def: $vgpr1_vgpr2
.LBB4_10223:                            ;   in Loop: Header=BB4_9739 Depth=3
	s_andn2_saveexec_b64 s[40:41], s[42:43]
	s_cbranch_execz .LBB4_10229
; %bb.10224:                            ;   in Loop: Header=BB4_9739 Depth=3
	v_cmp_ne_u64_e32 vcc, 0, v[1:2]
                                        ; implicit-def: $vgpr25
	s_and_saveexec_b64 s[42:43], vcc
	s_xor_b64 s[42:43], exec, s[42:43]
; %bb.10225:                            ;   in Loop: Header=BB4_9739 Depth=3
	v_or_b32_sdwa v25, v3, s47 dst_sel:DWORD dst_unused:UNUSED_PAD src0_sel:BYTE_3 src1_sel:DWORD
                                        ; implicit-def: $vgpr3
; %bb.10226:                            ;   in Loop: Header=BB4_9739 Depth=3
	s_andn2_saveexec_b64 s[42:43], s[42:43]
; %bb.10227:                            ;   in Loop: Header=BB4_9739 Depth=3
	v_cmp_lt_i32_e32 vcc, -1, v3
	v_bfrev_b32_e32 v1, 0.5
	v_cndmask_b32_e32 v25, v1, v52, vcc
; %bb.10228:                            ;   in Loop: Header=BB4_9739 Depth=3
	s_or_b64 exec, exec, s[42:43]
.LBB4_10229:                            ;   in Loop: Header=BB4_9739 Depth=3
	s_or_b64 exec, exec, s[40:41]
	v_lshrrev_b16_e32 v1, 8, v27
	v_cmp_ne_u16_e32 vcc, 0, v1
	v_mov_b32_e32 v3, 0
	s_and_saveexec_b64 s[40:41], vcc
	s_cbranch_execz .LBB4_10237
; %bb.10230:                            ;   in Loop: Header=BB4_9739 Depth=3
	v_cmp_ne_u16_e32 vcc, s96, v1
	v_bfrev_b32_e32 v3, 1
	s_and_saveexec_b64 s[42:43], vcc
	s_cbranch_execz .LBB4_10236
; %bb.10231:                            ;   in Loop: Header=BB4_9739 Depth=3
	v_and_b32_e32 v2, 0x7c, v1
	v_and_b32_e32 v32, 3, v1
	v_cmp_ne_u32_e32 vcc, s85, v2
                                        ; implicit-def: $vgpr3
	s_and_saveexec_b64 s[38:39], vcc
	s_xor_b64 s[38:39], exec, s[38:39]
	s_cbranch_execz .LBB4_10233
; %bb.10232:                            ;   in Loop: Header=BB4_9739 Depth=3
	v_ffbh_u32_e32 v28, v32
	v_min_u32_e32 v28, 32, v28
	v_mov_b32_e32 v2, v17
	v_subrev_u32_e32 v29, 29, v28
	v_bfe_u32 v3, v1, 2, 5
	v_lshlrev_b64 v[1:2], v29, v[1:2]
	v_sub_u32_e32 v2, 30, v28
	v_cmp_eq_u32_e32 vcc, 0, v3
	v_cndmask_b32_e32 v2, v3, v2, vcc
	v_lshlrev_b32_e32 v3, 16, v27
	v_and_b32_e32 v1, 3, v1
	v_and_b32_e32 v3, 0x80000000, v3
	v_cndmask_b32_e32 v1, v32, v1, vcc
	v_lshl_add_u32 v2, v2, 23, v3
	v_lshl_or_b32 v1, v1, 21, v2
	v_add_u32_e32 v3, 0x38000000, v1
                                        ; implicit-def: $vgpr32
                                        ; implicit-def: $vgpr27
.LBB4_10233:                            ;   in Loop: Header=BB4_9739 Depth=3
	s_andn2_saveexec_b64 s[38:39], s[38:39]
; %bb.10234:                            ;   in Loop: Header=BB4_9739 Depth=3
	v_cmp_lt_i16_e32 vcc, -1, v27
	v_mov_b32_e32 v1, 0xff800000
	v_mov_b32_e32 v2, 0x7f800000
	v_cndmask_b32_e32 v1, v1, v2, vcc
	v_cmp_eq_u32_e32 vcc, 0, v32
	v_mov_b32_e32 v2, 0x7f800001
	v_cndmask_b32_e32 v3, v2, v1, vcc
; %bb.10235:                            ;   in Loop: Header=BB4_9739 Depth=3
	s_or_b64 exec, exec, s[38:39]
.LBB4_10236:                            ;   in Loop: Header=BB4_9739 Depth=3
	s_or_b64 exec, exec, s[42:43]
.LBB4_10237:                            ;   in Loop: Header=BB4_9739 Depth=3
	s_or_b64 exec, exec, s[40:41]
	v_lshrrev_b16_e32 v1, 8, v8
	v_cmp_lt_i16_e32 vcc, s47, v1
	s_mov_b64 s[40:41], 0
	s_and_saveexec_b64 s[42:43], vcc
	s_xor_b64 s[42:43], exec, s[42:43]
	s_cbranch_execz .LBB4_10724
; %bb.10238:                            ;   in Loop: Header=BB4_9739 Depth=3
	v_cmp_eq_u16_e32 vcc, s96, v1
	s_mov_b64 s[40:41], -1
	s_and_saveexec_b64 s[38:39], vcc
; %bb.10239:                            ;   in Loop: Header=BB4_9739 Depth=3
	s_xor_b64 s[40:41], exec, -1
; %bb.10240:                            ;   in Loop: Header=BB4_9739 Depth=3
	s_or_b64 exec, exec, s[38:39]
	s_and_b64 s[40:41], s[40:41], exec
	s_or_saveexec_b64 s[42:43], s[42:43]
	v_bfrev_b32_e32 v2, 1
	s_xor_b64 exec, exec, s[42:43]
	s_cbranch_execnz .LBB4_10725
.LBB4_10241:                            ;   in Loop: Header=BB4_9739 Depth=3
	s_or_b64 exec, exec, s[42:43]
	s_and_saveexec_b64 s[38:39], s[40:41]
	s_cbranch_execz .LBB4_10243
.LBB4_10242:                            ;   in Loop: Header=BB4_9739 Depth=3
	v_and_b32_e32 v27, 3, v1
	v_and_b32_e32 v29, 0x7c, v1
	v_cmp_eq_u32_e32 vcc, s85, v29
	v_ffbh_u32_e32 v29, v27
	v_min_u32_e32 v29, 32, v29
	v_mov_b32_e32 v2, v17
	v_subrev_u32_e32 v32, 29, v29
	v_bfe_u32 v28, v1, 2, 5
	v_lshlrev_b64 v[48:49], v32, v[1:2]
	v_cmp_eq_u32_e64 s[40:41], 0, v28
	v_sub_u32_e32 v2, 30, v29
	v_lshlrev_b32_e32 v1, 24, v1
	v_and_b32_e32 v29, 3, v48
	v_cndmask_b32_e64 v2, v28, v2, s[40:41]
	v_and_b32_e32 v1, 0x80000000, v1
	v_cndmask_b32_e64 v28, v27, v29, s[40:41]
	v_lshl_add_u32 v1, v2, 23, v1
	v_cmp_eq_u32_e64 s[40:41], 0, v27
	v_cmp_lt_i16_e64 s[42:43], -1, v8
	v_mov_b32_e32 v2, 0xff800000
	v_mov_b32_e32 v27, 0x7f800000
	v_lshl_or_b32 v1, v28, 21, v1
	v_cndmask_b32_e64 v2, v2, v27, s[42:43]
	v_mov_b32_e32 v27, 0x7f800001
	v_add_u32_e32 v1, 0x38000000, v1
	v_cndmask_b32_e64 v2, v27, v2, s[40:41]
	v_cndmask_b32_e32 v2, v1, v2, vcc
.LBB4_10243:                            ;   in Loop: Header=BB4_9739 Depth=3
	s_or_b64 exec, exec, s[38:39]
	v_add_f32_e32 v3, v3, v2
	v_and_b32_e32 v48, 0x7f800000, v3
	v_mov_b32_e32 v49, v17
	v_cmp_ne_u64_e32 vcc, s[76:77], v[48:49]
	v_and_b32_e32 v1, 0x7fffff, v3
	v_mov_b32_e32 v2, v17
                                        ; implicit-def: $vgpr27
	s_and_saveexec_b64 s[40:41], vcc
	s_xor_b64 s[42:43], exec, s[40:41]
	s_cbranch_execz .LBB4_10257
; %bb.10244:                            ;   in Loop: Header=BB4_9739 Depth=3
	v_and_b32_e32 v48, 0x7fffffff, v3
	v_mov_b32_e32 v49, v17
	v_cmp_gt_u64_e32 vcc, s[78:79], v[48:49]
	v_and_b32_sdwa v32, v3, s96 dst_sel:DWORD dst_unused:UNUSED_PAD src0_sel:BYTE_3 src1_sel:DWORD
                                        ; implicit-def: $vgpr27
	s_and_saveexec_b64 s[40:41], vcc
	s_xor_b64 s[38:39], exec, s[40:41]
	s_cbranch_execz .LBB4_10254
; %bb.10245:                            ;   in Loop: Header=BB4_9739 Depth=3
	v_mov_b32_e32 v27, 0
	v_cmp_ne_u32_e32 vcc, 0, v3
	s_and_saveexec_b64 s[48:49], vcc
	s_cbranch_execz .LBB4_10253
; %bb.10246:                            ;   in Loop: Header=BB4_9739 Depth=3
	v_bfe_u32 v27, v3, 23, 8
	v_cmp_gt_u32_e64 s[40:41], s46, v27
	v_sub_u32_e32 v3, 0x71, v27
	v_cmp_eq_u32_e32 vcc, 0, v27
	v_cndmask_b32_e64 v3, 0, v3, s[40:41]
	v_mov_b32_e32 v29, 0x70
	v_cndmask_b32_e32 v35, v3, v29, vcc
	v_add_u32_e32 v3, 21, v35
	v_or_b32_e32 v28, 0x800000, v1
	v_lshlrev_b64 v[48:49], v3, -1
	v_cndmask_b32_e32 v1, v28, v1, vcc
	v_add_u32_e32 v3, 20, v35
	v_bfi_b32 v48, v48, 0, v1
	v_lshlrev_b64 v[53:54], v3, 1
	v_lshrrev_b64 v[1:2], v35, v[1:2]
	v_bfi_b32 v49, v49, 0, 0
	v_cmp_eq_u64_e64 s[40:41], v[48:49], v[53:54]
	v_mov_b32_e32 v3, v2
	v_mov_b32_e32 v2, v1
	s_and_saveexec_b64 s[50:51], s[40:41]
; %bb.10247:                            ;   in Loop: Header=BB4_9739 Depth=3
	v_bfe_u32 v2, v1, 21, 1
	v_add_co_u32_e64 v2, s[40:41], v1, v2
	v_add_co_u32_e64 v2, s[40:41], -1, v2
; %bb.10248:                            ;   in Loop: Header=BB4_9739 Depth=3
	s_or_b64 exec, exec, s[50:51]
	v_add_u32_e32 v3, 0xffffff81, v27
	v_mov_b32_e32 v27, 0xffffff82
	v_cndmask_b32_e32 v3, v3, v27, vcc
	v_lshrrev_b32_e32 v27, 23, v1
	v_add3_u32 v35, v35, v3, v27
	v_add_u32_e32 v27, 14, v35
	v_and_b32_e32 v2, 0x1fffff, v2
	v_add_u32_e32 v1, v2, v1
	v_mov_b32_e32 v2, v17
	v_cmp_ne_u32_e32 vcc, 0, v27
                                        ; implicit-def: $vgpr3
	s_and_saveexec_b64 s[40:41], vcc
	s_xor_b64 s[40:41], exec, s[40:41]
; %bb.10249:                            ;   in Loop: Header=BB4_9739 Depth=3
	v_cmp_lt_u64_e32 vcc, s[88:89], v[1:2]
	v_add_u32_e32 v3, 15, v35
	v_cndmask_b32_e32 v3, v27, v3, vcc
	v_cndmask_b32_e64 v27, 0, 1, vcc
	v_lshrrev_b64 v[1:2], v27, v[1:2]
; %bb.10250:                            ;   in Loop: Header=BB4_9739 Depth=3
	s_andn2_saveexec_b64 s[40:41], s[40:41]
; %bb.10251:                            ;   in Loop: Header=BB4_9739 Depth=3
	v_bfe_u32 v3, v1, 23, 1
; %bb.10252:                            ;   in Loop: Header=BB4_9739 Depth=3
	s_or_b64 exec, exec, s[40:41]
	v_lshrrev_b64 v[1:2], 21, v[1:2]
	v_cmp_gt_i32_e32 vcc, 32, v3
	v_cndmask_b32_e32 v2, 0, v2, vcc
	v_cndmask_b32_e32 v1, 3, v1, vcc
	v_cmp_eq_u64_e64 s[40:41], 0, v[1:2]
	v_min_i32_e32 v2, 31, v3
	v_lshlrev_b32_e32 v2, 2, v2
	v_cmp_eq_u32_e32 vcc, 0, v3
	v_and_b32_e32 v2, 0xfc, v2
	v_and_or_b32 v1, v1, 3, v2
	s_and_b64 s[40:41], vcc, s[40:41]
	v_cndmask_b32_e64 v1, v1, 0, s[40:41]
	v_or_b32_e32 v27, v1, v32
.LBB4_10253:                            ;   in Loop: Header=BB4_9739 Depth=3
	s_or_b64 exec, exec, s[48:49]
                                        ; implicit-def: $vgpr32
.LBB4_10254:                            ;   in Loop: Header=BB4_9739 Depth=3
	s_andn2_saveexec_b64 s[40:41], s[38:39]
; %bb.10255:                            ;   in Loop: Header=BB4_9739 Depth=3
	v_or_b32_e32 v27, 0x7b, v32
; %bb.10256:                            ;   in Loop: Header=BB4_9739 Depth=3
	s_or_b64 exec, exec, s[40:41]
                                        ; implicit-def: $vgpr3
                                        ; implicit-def: $vgpr1_vgpr2
.LBB4_10257:                            ;   in Loop: Header=BB4_9739 Depth=3
	s_andn2_saveexec_b64 s[40:41], s[42:43]
	s_cbranch_execz .LBB4_10263
; %bb.10258:                            ;   in Loop: Header=BB4_9739 Depth=3
	v_cmp_ne_u64_e32 vcc, 0, v[1:2]
                                        ; implicit-def: $vgpr27
	s_and_saveexec_b64 s[42:43], vcc
	s_xor_b64 s[42:43], exec, s[42:43]
; %bb.10259:                            ;   in Loop: Header=BB4_9739 Depth=3
	v_or_b32_sdwa v27, v3, s47 dst_sel:DWORD dst_unused:UNUSED_PAD src0_sel:BYTE_3 src1_sel:DWORD
                                        ; implicit-def: $vgpr3
; %bb.10260:                            ;   in Loop: Header=BB4_9739 Depth=3
	s_andn2_saveexec_b64 s[42:43], s[42:43]
; %bb.10261:                            ;   in Loop: Header=BB4_9739 Depth=3
	v_cmp_lt_i32_e32 vcc, -1, v3
	v_bfrev_b32_e32 v1, 0.5
	v_cndmask_b32_e32 v27, v1, v52, vcc
; %bb.10262:                            ;   in Loop: Header=BB4_9739 Depth=3
	s_or_b64 exec, exec, s[42:43]
.LBB4_10263:                            ;   in Loop: Header=BB4_9739 Depth=3
	s_or_b64 exec, exec, s[40:41]
	v_and_b32_sdwa v3, v0, s87 dst_sel:DWORD dst_unused:UNUSED_PAD src0_sel:WORD_1 src1_sel:DWORD
	v_lshrrev_b32_e32 v1, 16, v0
	v_cmp_ne_u16_e32 vcc, 0, v3
	v_mov_b32_e32 v2, 0
	s_and_saveexec_b64 s[40:41], vcc
	s_cbranch_execz .LBB4_10271
; %bb.10264:                            ;   in Loop: Header=BB4_9739 Depth=3
	v_cmp_ne_u16_e32 vcc, s96, v3
	v_bfrev_b32_e32 v2, 1
	s_and_saveexec_b64 s[42:43], vcc
	s_cbranch_execz .LBB4_10270
; %bb.10265:                            ;   in Loop: Header=BB4_9739 Depth=3
	v_and_b32_e32 v2, 0x7c0000, v0
	v_bfe_u32 v3, v0, 16, 2
	v_cmp_ne_u32_e32 vcc, s44, v2
                                        ; implicit-def: $vgpr2
	s_and_saveexec_b64 s[38:39], vcc
	s_xor_b64 s[38:39], exec, s[38:39]
	s_cbranch_execz .LBB4_10267
; %bb.10266:                            ;   in Loop: Header=BB4_9739 Depth=3
	v_ffbh_u32_e32 v2, v3
	v_min_u32_e32 v29, 32, v2
	v_lshrrev_b32_e32 v1, 16, v0
	v_subrev_u32_e32 v2, 29, v29
	v_lshlrev_b64 v[1:2], v2, v[1:2]
	v_bfe_u32 v28, v0, 18, 5
	v_and_b32_e32 v1, 3, v1
	v_cmp_eq_u32_e32 vcc, 0, v28
	v_sub_u32_e32 v2, 30, v29
	v_cndmask_b32_e32 v1, v3, v1, vcc
	v_lshlrev_b32_e32 v3, 8, v0
	v_cndmask_b32_e32 v2, v28, v2, vcc
	v_and_b32_e32 v3, 0x80000000, v3
	v_lshl_add_u32 v2, v2, 23, v3
	v_lshl_or_b32 v1, v1, 21, v2
	v_add_u32_e32 v2, 0x38000000, v1
                                        ; implicit-def: $vgpr3
                                        ; implicit-def: $vgpr1
.LBB4_10267:                            ;   in Loop: Header=BB4_9739 Depth=3
	s_andn2_saveexec_b64 s[38:39], s[38:39]
; %bb.10268:                            ;   in Loop: Header=BB4_9739 Depth=3
	v_mov_b32_e32 v2, -1
	v_cmp_gt_i16_sdwa vcc, sext(v1), v2 src0_sel:BYTE_0 src1_sel:DWORD
	v_mov_b32_e32 v1, 0xff800000
	v_mov_b32_e32 v2, 0x7f800000
	v_cndmask_b32_e32 v1, v1, v2, vcc
	v_cmp_eq_u32_e32 vcc, 0, v3
	v_mov_b32_e32 v2, 0x7f800001
	v_cndmask_b32_e32 v2, v2, v1, vcc
; %bb.10269:                            ;   in Loop: Header=BB4_9739 Depth=3
	s_or_b64 exec, exec, s[38:39]
.LBB4_10270:                            ;   in Loop: Header=BB4_9739 Depth=3
	s_or_b64 exec, exec, s[42:43]
.LBB4_10271:                            ;   in Loop: Header=BB4_9739 Depth=3
	s_or_b64 exec, exec, s[40:41]
	v_lshrrev_b32_e32 v1, 16, v8
	v_cmp_gt_i16_sdwa s[42:43], v1, s47 src0_sel:BYTE_0 src1_sel:DWORD
	s_mov_b64 s[40:41], 0
	s_and_saveexec_b64 vcc, s[42:43]
	s_xor_b64 s[42:43], exec, vcc
	s_cbranch_execz .LBB4_10726
; %bb.10272:                            ;   in Loop: Header=BB4_9739 Depth=3
	v_cmp_eq_u16_sdwa s[38:39], v1, s96 src0_sel:BYTE_0 src1_sel:DWORD
	s_mov_b64 s[40:41], -1
	s_and_saveexec_b64 vcc, s[38:39]
; %bb.10273:                            ;   in Loop: Header=BB4_9739 Depth=3
	s_xor_b64 s[40:41], exec, -1
; %bb.10274:                            ;   in Loop: Header=BB4_9739 Depth=3
	s_or_b64 exec, exec, vcc
	s_and_b64 s[40:41], s[40:41], exec
	s_or_saveexec_b64 s[42:43], s[42:43]
	v_bfrev_b32_e32 v3, 1
	s_xor_b64 exec, exec, s[42:43]
	s_cbranch_execnz .LBB4_10727
.LBB4_10275:                            ;   in Loop: Header=BB4_9739 Depth=3
	s_or_b64 exec, exec, s[42:43]
	s_and_saveexec_b64 s[38:39], s[40:41]
	s_cbranch_execz .LBB4_10277
.LBB4_10276:                            ;   in Loop: Header=BB4_9739 Depth=3
	v_and_b32_e32 v3, 3, v1
	v_and_b32_e32 v29, 0x7c0000, v8
	v_cmp_eq_u32_e32 vcc, s44, v29
	v_ffbh_u32_e32 v29, v3
	v_min_u32_e32 v29, 32, v29
	v_subrev_u32_e32 v32, 29, v29
	v_lshlrev_b64 v[48:49], v32, v[1:2]
	v_bfe_u32 v28, v8, 18, 5
	v_cmp_eq_u32_e64 s[40:41], 0, v28
	v_sub_u32_e32 v29, 30, v29
	v_and_b32_e32 v32, 3, v48
	v_cndmask_b32_e64 v28, v28, v29, s[40:41]
	v_cndmask_b32_e64 v29, v3, v32, s[40:41]
	v_lshlrev_b32_e32 v32, 24, v1
	v_and_b32_e32 v32, 0x80000000, v32
	v_cmp_eq_u32_e64 s[40:41], 0, v3
	v_mov_b32_e32 v3, -1
	v_lshl_add_u32 v28, v28, 23, v32
	v_cmp_gt_i16_sdwa s[42:43], sext(v1), v3 src0_sel:BYTE_0 src1_sel:DWORD
	v_mov_b32_e32 v1, 0xff800000
	v_mov_b32_e32 v3, 0x7f800000
	v_lshl_or_b32 v28, v29, 21, v28
	v_cndmask_b32_e64 v1, v1, v3, s[42:43]
	v_mov_b32_e32 v3, 0x7f800001
	v_add_u32_e32 v28, 0x38000000, v28
	v_cndmask_b32_e64 v1, v3, v1, s[40:41]
	v_cndmask_b32_e32 v3, v28, v1, vcc
.LBB4_10277:                            ;   in Loop: Header=BB4_9739 Depth=3
	s_or_b64 exec, exec, s[38:39]
	v_add_f32_e32 v3, v2, v3
	v_and_b32_e32 v48, 0x7f800000, v3
	v_mov_b32_e32 v49, v17
	v_cmp_ne_u64_e32 vcc, s[76:77], v[48:49]
	v_and_b32_e32 v1, 0x7fffff, v3
	v_mov_b32_e32 v2, v17
                                        ; implicit-def: $vgpr32
	s_and_saveexec_b64 s[40:41], vcc
	s_xor_b64 s[42:43], exec, s[40:41]
	s_cbranch_execz .LBB4_10291
; %bb.10278:                            ;   in Loop: Header=BB4_9739 Depth=3
	v_and_b32_e32 v48, 0x7fffffff, v3
	v_mov_b32_e32 v49, v17
	v_cmp_gt_u64_e32 vcc, s[78:79], v[48:49]
	v_and_b32_sdwa v35, v3, s96 dst_sel:DWORD dst_unused:UNUSED_PAD src0_sel:BYTE_3 src1_sel:DWORD
                                        ; implicit-def: $vgpr32
	s_and_saveexec_b64 s[40:41], vcc
	s_xor_b64 s[38:39], exec, s[40:41]
	s_cbranch_execz .LBB4_10288
; %bb.10279:                            ;   in Loop: Header=BB4_9739 Depth=3
	v_mov_b32_e32 v32, 0
	v_cmp_ne_u32_e32 vcc, 0, v3
	s_and_saveexec_b64 s[48:49], vcc
	s_cbranch_execz .LBB4_10287
; %bb.10280:                            ;   in Loop: Header=BB4_9739 Depth=3
	v_bfe_u32 v32, v3, 23, 8
	v_cmp_gt_u32_e64 s[40:41], s46, v32
	v_sub_u32_e32 v3, 0x71, v32
	v_cmp_eq_u32_e32 vcc, 0, v32
	v_cndmask_b32_e64 v3, 0, v3, s[40:41]
	v_mov_b32_e32 v29, 0x70
	v_cndmask_b32_e32 v53, v3, v29, vcc
	v_add_u32_e32 v3, 21, v53
	v_or_b32_e32 v28, 0x800000, v1
	v_lshlrev_b64 v[48:49], v3, -1
	v_cndmask_b32_e32 v1, v28, v1, vcc
	v_add_u32_e32 v3, 20, v53
	v_bfi_b32 v48, v48, 0, v1
	v_lshlrev_b64 v[54:55], v3, 1
	v_lshrrev_b64 v[1:2], v53, v[1:2]
	v_bfi_b32 v49, v49, 0, 0
	v_cmp_eq_u64_e64 s[40:41], v[48:49], v[54:55]
	v_mov_b32_e32 v3, v2
	v_mov_b32_e32 v2, v1
	s_and_saveexec_b64 s[50:51], s[40:41]
; %bb.10281:                            ;   in Loop: Header=BB4_9739 Depth=3
	v_bfe_u32 v2, v1, 21, 1
	v_add_co_u32_e64 v2, s[40:41], v1, v2
	v_add_co_u32_e64 v2, s[40:41], -1, v2
; %bb.10282:                            ;   in Loop: Header=BB4_9739 Depth=3
	s_or_b64 exec, exec, s[50:51]
	v_add_u32_e32 v3, 0xffffff81, v32
	v_mov_b32_e32 v28, 0xffffff82
	v_cndmask_b32_e32 v3, v3, v28, vcc
	v_lshrrev_b32_e32 v28, 23, v1
	v_add3_u32 v53, v53, v3, v28
	v_add_u32_e32 v32, 14, v53
	v_and_b32_e32 v2, 0x1fffff, v2
	v_add_u32_e32 v1, v2, v1
	v_mov_b32_e32 v2, v17
	v_cmp_ne_u32_e32 vcc, 0, v32
                                        ; implicit-def: $vgpr3
	s_and_saveexec_b64 s[40:41], vcc
	s_xor_b64 s[40:41], exec, s[40:41]
; %bb.10283:                            ;   in Loop: Header=BB4_9739 Depth=3
	v_cmp_lt_u64_e32 vcc, s[88:89], v[1:2]
	v_add_u32_e32 v3, 15, v53
	v_cndmask_b32_e64 v28, 0, 1, vcc
	v_cndmask_b32_e32 v3, v32, v3, vcc
	v_lshrrev_b64 v[1:2], v28, v[1:2]
; %bb.10284:                            ;   in Loop: Header=BB4_9739 Depth=3
	s_andn2_saveexec_b64 s[40:41], s[40:41]
; %bb.10285:                            ;   in Loop: Header=BB4_9739 Depth=3
	v_bfe_u32 v3, v1, 23, 1
; %bb.10286:                            ;   in Loop: Header=BB4_9739 Depth=3
	s_or_b64 exec, exec, s[40:41]
	v_lshrrev_b64 v[1:2], 21, v[1:2]
	v_cmp_gt_i32_e32 vcc, 32, v3
	v_cndmask_b32_e32 v2, 0, v2, vcc
	v_cndmask_b32_e32 v1, 3, v1, vcc
	v_cmp_eq_u64_e64 s[40:41], 0, v[1:2]
	v_min_i32_e32 v2, 31, v3
	v_lshlrev_b32_e32 v2, 2, v2
	v_cmp_eq_u32_e32 vcc, 0, v3
	v_and_b32_e32 v2, 0xfc, v2
	v_and_or_b32 v1, v1, 3, v2
	s_and_b64 s[40:41], vcc, s[40:41]
	v_cndmask_b32_e64 v1, v1, 0, s[40:41]
	v_or_b32_e32 v32, v1, v35
.LBB4_10287:                            ;   in Loop: Header=BB4_9739 Depth=3
	s_or_b64 exec, exec, s[48:49]
                                        ; implicit-def: $vgpr35
.LBB4_10288:                            ;   in Loop: Header=BB4_9739 Depth=3
	s_andn2_saveexec_b64 s[40:41], s[38:39]
; %bb.10289:                            ;   in Loop: Header=BB4_9739 Depth=3
	v_or_b32_e32 v32, 0x7b, v35
; %bb.10290:                            ;   in Loop: Header=BB4_9739 Depth=3
	s_or_b64 exec, exec, s[40:41]
                                        ; implicit-def: $vgpr3
                                        ; implicit-def: $vgpr1_vgpr2
.LBB4_10291:                            ;   in Loop: Header=BB4_9739 Depth=3
	s_andn2_saveexec_b64 s[40:41], s[42:43]
	s_cbranch_execz .LBB4_10297
; %bb.10292:                            ;   in Loop: Header=BB4_9739 Depth=3
	v_cmp_ne_u64_e32 vcc, 0, v[1:2]
                                        ; implicit-def: $vgpr32
	s_and_saveexec_b64 s[42:43], vcc
	s_xor_b64 s[42:43], exec, s[42:43]
; %bb.10293:                            ;   in Loop: Header=BB4_9739 Depth=3
	v_or_b32_sdwa v32, v3, s47 dst_sel:DWORD dst_unused:UNUSED_PAD src0_sel:BYTE_3 src1_sel:DWORD
                                        ; implicit-def: $vgpr3
; %bb.10294:                            ;   in Loop: Header=BB4_9739 Depth=3
	s_andn2_saveexec_b64 s[42:43], s[42:43]
; %bb.10295:                            ;   in Loop: Header=BB4_9739 Depth=3
	v_cmp_lt_i32_e32 vcc, -1, v3
	v_bfrev_b32_e32 v1, 0.5
	v_cndmask_b32_e32 v32, v1, v52, vcc
; %bb.10296:                            ;   in Loop: Header=BB4_9739 Depth=3
	s_or_b64 exec, exec, s[42:43]
.LBB4_10297:                            ;   in Loop: Header=BB4_9739 Depth=3
	s_or_b64 exec, exec, s[40:41]
	v_cmp_lt_u32_e32 vcc, s57, v0
	v_mov_b32_e32 v2, 0
	s_and_saveexec_b64 s[40:41], vcc
	s_cbranch_execz .LBB4_10305
; %bb.10298:                            ;   in Loop: Header=BB4_9739 Depth=3
	v_lshrrev_b32_e32 v1, 24, v0
	v_cmp_ne_u32_e32 vcc, s96, v1
	v_bfrev_b32_e32 v2, 1
	s_and_saveexec_b64 s[42:43], vcc
	s_cbranch_execz .LBB4_10304
; %bb.10299:                            ;   in Loop: Header=BB4_9739 Depth=3
	v_and_b32_e32 v2, 0x7c000000, v0
	v_bfe_u32 v3, v0, 24, 2
	v_cmp_ne_u32_e32 vcc, s45, v2
                                        ; implicit-def: $vgpr2
	s_and_saveexec_b64 s[38:39], vcc
	s_xor_b64 s[38:39], exec, s[38:39]
	s_cbranch_execz .LBB4_10301
; %bb.10300:                            ;   in Loop: Header=BB4_9739 Depth=3
	v_ffbh_u32_e32 v2, v3
	v_min_u32_e32 v29, 32, v2
	v_subrev_u32_e32 v2, 29, v29
	v_bfe_u32 v28, v0, 26, 5
	v_lshlrev_b64 v[1:2], v2, v[1:2]
	v_sub_u32_e32 v2, 30, v29
	v_cmp_eq_u32_e32 vcc, 0, v28
	v_and_b32_e32 v1, 3, v1
	v_cndmask_b32_e32 v2, v28, v2, vcc
	v_and_b32_e32 v0, 0x80000000, v0
	v_cndmask_b32_e32 v1, v3, v1, vcc
	v_lshl_add_u32 v0, v2, 23, v0
	v_lshl_or_b32 v0, v1, 21, v0
	v_add_u32_e32 v2, 0x38000000, v0
                                        ; implicit-def: $vgpr3
                                        ; implicit-def: $vgpr0_vgpr1
.LBB4_10301:                            ;   in Loop: Header=BB4_9739 Depth=3
	s_andn2_saveexec_b64 s[38:39], s[38:39]
; %bb.10302:                            ;   in Loop: Header=BB4_9739 Depth=3
	v_cmp_lt_i32_e32 vcc, -1, v0
	v_mov_b32_e32 v0, 0xff800000
	v_mov_b32_e32 v1, 0x7f800000
	v_cndmask_b32_e32 v0, v0, v1, vcc
	v_cmp_eq_u32_e32 vcc, 0, v3
	v_mov_b32_e32 v1, 0x7f800001
	v_cndmask_b32_e32 v2, v1, v0, vcc
; %bb.10303:                            ;   in Loop: Header=BB4_9739 Depth=3
	s_or_b64 exec, exec, s[38:39]
.LBB4_10304:                            ;   in Loop: Header=BB4_9739 Depth=3
	s_or_b64 exec, exec, s[42:43]
.LBB4_10305:                            ;   in Loop: Header=BB4_9739 Depth=3
	s_or_b64 exec, exec, s[40:41]
	v_bfe_u32 v1, v8, 24, 2
	v_and_b32_e32 v28, 0x7c000000, v8
	v_cmp_eq_u32_e32 vcc, s45, v28
	v_ffbh_u32_e32 v28, v1
	v_min_u32_e32 v28, 32, v28
	v_lshrrev_b32_e32 v0, 24, v8
	v_subrev_u32_e32 v29, 29, v28
	v_lshlrev_b64 v[48:49], v29, v[0:1]
	v_bfe_u32 v3, v8, 26, 5
	v_cmp_eq_u32_e64 s[40:41], 0, v3
	v_sub_u32_e32 v28, 30, v28
	v_and_b32_e32 v29, 3, v48
	v_cndmask_b32_e64 v3, v3, v28, s[40:41]
	v_cndmask_b32_e64 v28, v1, v29, s[40:41]
	v_and_b32_e32 v29, 0x80000000, v8
	v_lshl_add_u32 v3, v3, 23, v29
	v_lshl_or_b32 v3, v28, 21, v3
	v_cmp_eq_u32_e64 s[40:41], 0, v1
	v_cmp_lt_i32_e64 s[42:43], -1, v8
	v_mov_b32_e32 v1, 0xff800000
	v_mov_b32_e32 v28, 0x7f800000
	v_cndmask_b32_e64 v1, v1, v28, s[42:43]
	v_mov_b32_e32 v28, 0x7f800001
	v_add_u32_e32 v3, 0x38000000, v3
	v_cndmask_b32_e64 v1, v28, v1, s[40:41]
	v_cndmask_b32_e32 v1, v3, v1, vcc
	v_cmp_ne_u32_e32 vcc, s96, v0
	v_bfrev_b32_e32 v0, 1
	v_cndmask_b32_e32 v0, v0, v1, vcc
	v_cmp_lt_u32_e32 vcc, s57, v8
	v_cndmask_b32_e32 v0, 0, v0, vcc
	v_add_f32_e32 v2, v0, v2
	v_and_b32_e32 v48, 0x7f800000, v2
	v_mov_b32_e32 v49, v17
	v_cmp_ne_u64_e32 vcc, s[76:77], v[48:49]
	v_and_b32_e32 v0, 0x7fffff, v2
	v_mov_b32_e32 v1, v17
                                        ; implicit-def: $vgpr35
	s_and_saveexec_b64 s[40:41], vcc
	s_xor_b64 s[42:43], exec, s[40:41]
	s_cbranch_execz .LBB4_10319
; %bb.10306:                            ;   in Loop: Header=BB4_9739 Depth=3
	v_and_b32_e32 v48, 0x7fffffff, v2
	v_mov_b32_e32 v49, v17
	v_cmp_gt_u64_e32 vcc, s[78:79], v[48:49]
	v_and_b32_sdwa v3, v2, s96 dst_sel:DWORD dst_unused:UNUSED_PAD src0_sel:BYTE_3 src1_sel:DWORD
                                        ; implicit-def: $vgpr35
	s_and_saveexec_b64 s[40:41], vcc
	s_xor_b64 s[38:39], exec, s[40:41]
	s_cbranch_execz .LBB4_10316
; %bb.10307:                            ;   in Loop: Header=BB4_9739 Depth=3
	v_mov_b32_e32 v35, 0
	v_cmp_ne_u32_e32 vcc, 0, v2
	s_and_saveexec_b64 s[48:49], vcc
	s_cbranch_execz .LBB4_10315
; %bb.10308:                            ;   in Loop: Header=BB4_9739 Depth=3
	v_bfe_u32 v35, v2, 23, 8
	v_cmp_gt_u32_e64 s[40:41], s46, v35
	v_sub_u32_e32 v2, 0x71, v35
	v_cmp_eq_u32_e32 vcc, 0, v35
	v_cndmask_b32_e64 v2, 0, v2, s[40:41]
	v_mov_b32_e32 v29, 0x70
	v_cndmask_b32_e32 v53, v2, v29, vcc
	v_add_u32_e32 v2, 21, v53
	v_or_b32_e32 v28, 0x800000, v0
	v_lshlrev_b64 v[48:49], v2, -1
	v_cndmask_b32_e32 v0, v28, v0, vcc
	v_add_u32_e32 v2, 20, v53
	v_bfi_b32 v48, v48, 0, v0
	v_lshlrev_b64 v[54:55], v2, 1
	v_lshrrev_b64 v[0:1], v53, v[0:1]
	v_bfi_b32 v49, v49, 0, 0
	v_cmp_eq_u64_e64 s[40:41], v[48:49], v[54:55]
	v_mov_b32_e32 v2, v1
	v_mov_b32_e32 v1, v0
	s_and_saveexec_b64 s[50:51], s[40:41]
; %bb.10309:                            ;   in Loop: Header=BB4_9739 Depth=3
	v_bfe_u32 v1, v0, 21, 1
	v_add_co_u32_e64 v1, s[40:41], v0, v1
	v_add_co_u32_e64 v1, s[40:41], -1, v1
; %bb.10310:                            ;   in Loop: Header=BB4_9739 Depth=3
	s_or_b64 exec, exec, s[50:51]
	v_add_u32_e32 v2, 0xffffff81, v35
	v_mov_b32_e32 v28, 0xffffff82
	v_cndmask_b32_e32 v2, v2, v28, vcc
	v_lshrrev_b32_e32 v28, 23, v0
	v_add3_u32 v53, v53, v2, v28
	v_add_u32_e32 v35, 14, v53
	v_and_b32_e32 v1, 0x1fffff, v1
	v_add_u32_e32 v0, v1, v0
	v_mov_b32_e32 v1, v17
	v_cmp_ne_u32_e32 vcc, 0, v35
                                        ; implicit-def: $vgpr2
	s_and_saveexec_b64 s[40:41], vcc
	s_xor_b64 s[40:41], exec, s[40:41]
; %bb.10311:                            ;   in Loop: Header=BB4_9739 Depth=3
	v_cmp_lt_u64_e32 vcc, s[88:89], v[0:1]
	v_add_u32_e32 v2, 15, v53
	v_cndmask_b32_e64 v28, 0, 1, vcc
	v_cndmask_b32_e32 v2, v35, v2, vcc
	v_lshrrev_b64 v[0:1], v28, v[0:1]
; %bb.10312:                            ;   in Loop: Header=BB4_9739 Depth=3
	s_andn2_saveexec_b64 s[40:41], s[40:41]
; %bb.10313:                            ;   in Loop: Header=BB4_9739 Depth=3
	v_bfe_u32 v2, v0, 23, 1
; %bb.10314:                            ;   in Loop: Header=BB4_9739 Depth=3
	s_or_b64 exec, exec, s[40:41]
	v_lshrrev_b64 v[0:1], 21, v[0:1]
	v_cmp_gt_i32_e32 vcc, 32, v2
	v_cndmask_b32_e32 v1, 0, v1, vcc
	v_cndmask_b32_e32 v0, 3, v0, vcc
	v_cmp_eq_u64_e64 s[40:41], 0, v[0:1]
	v_min_i32_e32 v1, 31, v2
	v_lshlrev_b32_e32 v1, 2, v1
	v_cmp_eq_u32_e32 vcc, 0, v2
	v_and_b32_e32 v1, 0xfc, v1
	v_and_or_b32 v0, v0, 3, v1
	s_and_b64 s[40:41], vcc, s[40:41]
	v_cndmask_b32_e64 v0, v0, 0, s[40:41]
	v_or_b32_e32 v35, v0, v3
.LBB4_10315:                            ;   in Loop: Header=BB4_9739 Depth=3
	s_or_b64 exec, exec, s[48:49]
                                        ; implicit-def: $vgpr3
.LBB4_10316:                            ;   in Loop: Header=BB4_9739 Depth=3
	s_andn2_saveexec_b64 s[40:41], s[38:39]
; %bb.10317:                            ;   in Loop: Header=BB4_9739 Depth=3
	v_or_b32_e32 v35, 0x7b, v3
; %bb.10318:                            ;   in Loop: Header=BB4_9739 Depth=3
	s_or_b64 exec, exec, s[40:41]
                                        ; implicit-def: $vgpr2
                                        ; implicit-def: $vgpr0_vgpr1
.LBB4_10319:                            ;   in Loop: Header=BB4_9739 Depth=3
	s_andn2_saveexec_b64 s[40:41], s[42:43]
	s_cbranch_execz .LBB4_10325
; %bb.10320:                            ;   in Loop: Header=BB4_9739 Depth=3
	v_cmp_ne_u64_e32 vcc, 0, v[0:1]
                                        ; implicit-def: $vgpr35
	s_and_saveexec_b64 s[42:43], vcc
	s_xor_b64 s[42:43], exec, s[42:43]
; %bb.10321:                            ;   in Loop: Header=BB4_9739 Depth=3
	v_or_b32_sdwa v35, v2, s47 dst_sel:DWORD dst_unused:UNUSED_PAD src0_sel:BYTE_3 src1_sel:DWORD
                                        ; implicit-def: $vgpr2
; %bb.10322:                            ;   in Loop: Header=BB4_9739 Depth=3
	s_andn2_saveexec_b64 s[42:43], s[42:43]
; %bb.10323:                            ;   in Loop: Header=BB4_9739 Depth=3
	v_cmp_lt_i32_e32 vcc, -1, v2
	v_bfrev_b32_e32 v0, 0.5
	v_cndmask_b32_e32 v35, v0, v52, vcc
; %bb.10324:                            ;   in Loop: Header=BB4_9739 Depth=3
	s_or_b64 exec, exec, s[42:43]
.LBB4_10325:                            ;   in Loop: Header=BB4_9739 Depth=3
	s_or_b64 exec, exec, s[40:41]
	v_lshl_or_b32 v53, v38, 8, v4
	v_lshlrev_b32_e32 v0, 16, v50
	v_lshlrev_b32_e32 v1, 24, v51
	v_or3_b32 v0, v0, v1, v53
	v_mov_b32_e32 v1, v17
	v_cmp_ne_u32_e32 vcc, 0, v4
	v_mov_b32_e32 v3, 0
	s_and_saveexec_b64 s[42:43], vcc
	s_cbranch_execz .LBB4_10333
; %bb.10326:                            ;   in Loop: Header=BB4_9739 Depth=3
	v_cmp_ne_u32_e32 vcc, s96, v4
	v_bfrev_b32_e32 v3, 1
	s_and_saveexec_b64 s[38:39], vcc
	s_cbranch_execz .LBB4_10332
; %bb.10327:                            ;   in Loop: Header=BB4_9739 Depth=3
	v_and_b32_e32 v3, 0x7c, v4
	v_and_b32_e32 v2, 3, v4
	v_cmp_ne_u32_e32 vcc, s85, v3
                                        ; implicit-def: $vgpr3
	s_and_saveexec_b64 s[40:41], vcc
	s_xor_b64 s[40:41], exec, s[40:41]
	s_cbranch_execz .LBB4_10329
; %bb.10328:                            ;   in Loop: Header=BB4_9739 Depth=3
	v_ffbh_u32_e32 v28, v2
	v_min_u32_e32 v28, 32, v28
	v_bfe_u32 v3, v4, 2, 5
	v_subrev_u32_e32 v29, 29, v28
	v_lshlrev_b64 v[48:49], v29, v[0:1]
	v_sub_u32_e32 v1, 30, v28
	v_cmp_eq_u32_e32 vcc, 0, v3
	v_cndmask_b32_e32 v1, v3, v1, vcc
	v_lshlrev_b32_e32 v3, 24, v4
	v_and_b32_e32 v28, 3, v48
	v_and_b32_e32 v3, 0x80000000, v3
	v_cndmask_b32_e32 v2, v2, v28, vcc
	v_lshl_add_u32 v1, v1, 23, v3
	v_lshl_or_b32 v1, v2, 21, v1
	v_add_u32_e32 v3, 0x38000000, v1
                                        ; implicit-def: $vgpr2
                                        ; implicit-def: $vgpr4
.LBB4_10329:                            ;   in Loop: Header=BB4_9739 Depth=3
	s_andn2_saveexec_b64 s[48:49], s[40:41]
; %bb.10330:                            ;   in Loop: Header=BB4_9739 Depth=3
	v_and_b32_e32 v1, 0x80, v4
	v_cmp_eq_u32_e32 vcc, 0, v2
	v_cmp_eq_u32_e64 s[40:41], 0, v1
	v_mov_b32_e32 v1, 0xff800000
	v_mov_b32_e32 v2, 0x7f800000
	v_cndmask_b32_e64 v1, v1, v2, s[40:41]
	v_mov_b32_e32 v2, 0x7f800001
	v_cndmask_b32_e32 v3, v2, v1, vcc
; %bb.10331:                            ;   in Loop: Header=BB4_9739 Depth=3
	s_or_b64 exec, exec, s[48:49]
.LBB4_10332:                            ;   in Loop: Header=BB4_9739 Depth=3
	s_or_b64 exec, exec, s[38:39]
.LBB4_10333:                            ;   in Loop: Header=BB4_9739 Depth=3
	s_or_b64 exec, exec, s[42:43]
	v_cmp_gt_i16_sdwa s[42:43], v9, s47 src0_sel:BYTE_0 src1_sel:DWORD
	s_mov_b64 s[40:41], 0
	s_and_saveexec_b64 vcc, s[42:43]
	s_xor_b64 s[42:43], exec, vcc
	s_cbranch_execz .LBB4_10337
; %bb.10334:                            ;   in Loop: Header=BB4_9739 Depth=3
	v_cmp_eq_u16_sdwa s[38:39], v9, s96 src0_sel:BYTE_0 src1_sel:DWORD
	s_mov_b64 s[40:41], -1
	s_and_saveexec_b64 vcc, s[38:39]
; %bb.10335:                            ;   in Loop: Header=BB4_9739 Depth=3
	s_xor_b64 s[40:41], exec, -1
; %bb.10336:                            ;   in Loop: Header=BB4_9739 Depth=3
	s_or_b64 exec, exec, vcc
	s_and_b64 s[40:41], s[40:41], exec
.LBB4_10337:                            ;   in Loop: Header=BB4_9739 Depth=3
	s_or_saveexec_b64 s[42:43], s[42:43]
	v_bfrev_b32_e32 v4, 1
	s_xor_b64 exec, exec, s[42:43]
; %bb.10338:                            ;   in Loop: Header=BB4_9739 Depth=3
	v_cmp_ne_u16_sdwa vcc, v9, v17 src0_sel:BYTE_0 src1_sel:DWORD
	s_andn2_b64 s[40:41], s[40:41], exec
	s_and_b64 vcc, vcc, exec
	v_mov_b32_e32 v4, 0
	s_or_b64 s[40:41], s[40:41], vcc
; %bb.10339:                            ;   in Loop: Header=BB4_9739 Depth=3
	s_or_b64 exec, exec, s[42:43]
	v_mov_b32_e32 v1, v9
	v_mov_b32_e32 v2, v17
	s_and_saveexec_b64 s[38:39], s[40:41]
	s_cbranch_execz .LBB4_10341
; %bb.10340:                            ;   in Loop: Header=BB4_9739 Depth=3
	v_and_b32_e32 v4, 3, v9
	v_and_b32_e32 v29, 0x7c, v9
	v_cmp_eq_u32_e32 vcc, s85, v29
	v_ffbh_u32_e32 v29, v4
	v_min_u32_e32 v29, 32, v29
	v_subrev_u32_e32 v38, 29, v29
	v_lshlrev_b64 v[48:49], v38, v[1:2]
	v_bfe_u32 v28, v9, 2, 5
	v_cmp_eq_u32_e64 s[40:41], 0, v28
	v_sub_u32_e32 v2, 30, v29
	v_and_b32_e32 v29, 3, v48
	v_cndmask_b32_e64 v2, v28, v2, s[40:41]
	v_cndmask_b32_e64 v28, v4, v29, s[40:41]
	v_lshlrev_b32_e32 v29, 24, v9
	v_and_b32_e32 v29, 0x80000000, v29
	v_lshl_add_u32 v2, v2, 23, v29
	v_cmp_eq_u32_e64 s[40:41], 0, v4
	v_mov_b32_e32 v4, -1
	v_lshl_or_b32 v2, v28, 21, v2
	v_cmp_gt_i16_sdwa s[42:43], sext(v9), v4 src0_sel:BYTE_0 src1_sel:DWORD
	v_mov_b32_e32 v4, 0xff800000
	v_mov_b32_e32 v28, 0x7f800000
	v_cndmask_b32_e64 v4, v4, v28, s[42:43]
	v_mov_b32_e32 v28, 0x7f800001
	v_add_u32_e32 v2, 0x38000000, v2
	v_cndmask_b32_e64 v4, v28, v4, s[40:41]
	v_cndmask_b32_e32 v4, v2, v4, vcc
.LBB4_10341:                            ;   in Loop: Header=BB4_9739 Depth=3
	s_or_b64 exec, exec, s[38:39]
	v_add_f32_e32 v4, v3, v4
	v_and_b32_e32 v48, 0x7f800000, v4
	v_mov_b32_e32 v49, v17
	v_cmp_ne_u64_e32 vcc, s[76:77], v[48:49]
	v_and_b32_e32 v2, 0x7fffff, v4
	v_mov_b32_e32 v3, v17
                                        ; implicit-def: $vgpr38
	s_and_saveexec_b64 s[40:41], vcc
	s_xor_b64 s[42:43], exec, s[40:41]
	s_cbranch_execz .LBB4_10355
; %bb.10342:                            ;   in Loop: Header=BB4_9739 Depth=3
	v_and_b32_e32 v48, 0x7fffffff, v4
	v_mov_b32_e32 v49, v17
	v_cmp_gt_u64_e32 vcc, s[78:79], v[48:49]
	v_and_b32_sdwa v50, v4, s96 dst_sel:DWORD dst_unused:UNUSED_PAD src0_sel:BYTE_3 src1_sel:DWORD
                                        ; implicit-def: $vgpr38
	s_and_saveexec_b64 s[40:41], vcc
	s_xor_b64 s[38:39], exec, s[40:41]
	s_cbranch_execz .LBB4_10352
; %bb.10343:                            ;   in Loop: Header=BB4_9739 Depth=3
	v_mov_b32_e32 v38, 0
	v_cmp_ne_u32_e32 vcc, 0, v4
	s_and_saveexec_b64 s[48:49], vcc
	s_cbranch_execz .LBB4_10351
; %bb.10344:                            ;   in Loop: Header=BB4_9739 Depth=3
	v_bfe_u32 v38, v4, 23, 8
	v_cmp_gt_u32_e64 s[40:41], s46, v38
	v_sub_u32_e32 v4, 0x71, v38
	v_cmp_eq_u32_e32 vcc, 0, v38
	v_cndmask_b32_e64 v4, 0, v4, s[40:41]
	v_mov_b32_e32 v29, 0x70
	v_cndmask_b32_e32 v51, v4, v29, vcc
	v_add_u32_e32 v4, 21, v51
	v_or_b32_e32 v28, 0x800000, v2
	v_lshlrev_b64 v[48:49], v4, -1
	v_cndmask_b32_e32 v2, v28, v2, vcc
	v_add_u32_e32 v4, 20, v51
	v_bfi_b32 v48, v48, 0, v2
	v_lshlrev_b64 v[54:55], v4, 1
	v_lshrrev_b64 v[2:3], v51, v[2:3]
	v_bfi_b32 v49, v49, 0, 0
	v_cmp_eq_u64_e64 s[40:41], v[48:49], v[54:55]
	v_mov_b32_e32 v4, v3
	v_mov_b32_e32 v3, v2
	s_and_saveexec_b64 s[50:51], s[40:41]
; %bb.10345:                            ;   in Loop: Header=BB4_9739 Depth=3
	v_bfe_u32 v3, v2, 21, 1
	v_add_co_u32_e64 v3, s[40:41], v2, v3
	v_add_co_u32_e64 v3, s[40:41], -1, v3
; %bb.10346:                            ;   in Loop: Header=BB4_9739 Depth=3
	s_or_b64 exec, exec, s[50:51]
	v_add_u32_e32 v4, 0xffffff81, v38
	v_mov_b32_e32 v28, 0xffffff82
	v_cndmask_b32_e32 v4, v4, v28, vcc
	v_lshrrev_b32_e32 v28, 23, v2
	v_add3_u32 v51, v51, v4, v28
	v_add_u32_e32 v38, 14, v51
	v_and_b32_e32 v3, 0x1fffff, v3
	v_add_u32_e32 v2, v3, v2
	v_mov_b32_e32 v3, v17
	v_cmp_ne_u32_e32 vcc, 0, v38
                                        ; implicit-def: $vgpr4
	s_and_saveexec_b64 s[40:41], vcc
	s_xor_b64 s[40:41], exec, s[40:41]
; %bb.10347:                            ;   in Loop: Header=BB4_9739 Depth=3
	v_cmp_lt_u64_e32 vcc, s[88:89], v[2:3]
	v_add_u32_e32 v4, 15, v51
	v_cndmask_b32_e64 v28, 0, 1, vcc
	v_cndmask_b32_e32 v4, v38, v4, vcc
	v_lshrrev_b64 v[2:3], v28, v[2:3]
; %bb.10348:                            ;   in Loop: Header=BB4_9739 Depth=3
	s_andn2_saveexec_b64 s[40:41], s[40:41]
; %bb.10349:                            ;   in Loop: Header=BB4_9739 Depth=3
	v_bfe_u32 v4, v2, 23, 1
; %bb.10350:                            ;   in Loop: Header=BB4_9739 Depth=3
	s_or_b64 exec, exec, s[40:41]
	v_lshrrev_b64 v[2:3], 21, v[2:3]
	v_cmp_gt_i32_e32 vcc, 32, v4
	v_cndmask_b32_e32 v3, 0, v3, vcc
	v_cndmask_b32_e32 v2, 3, v2, vcc
	v_cmp_eq_u64_e64 s[40:41], 0, v[2:3]
	v_min_i32_e32 v3, 31, v4
	v_lshlrev_b32_e32 v3, 2, v3
	v_cmp_eq_u32_e32 vcc, 0, v4
	v_and_b32_e32 v3, 0xfc, v3
	v_and_or_b32 v2, v2, 3, v3
	s_and_b64 s[40:41], vcc, s[40:41]
	v_cndmask_b32_e64 v2, v2, 0, s[40:41]
	v_or_b32_e32 v38, v2, v50
.LBB4_10351:                            ;   in Loop: Header=BB4_9739 Depth=3
	s_or_b64 exec, exec, s[48:49]
                                        ; implicit-def: $vgpr50
.LBB4_10352:                            ;   in Loop: Header=BB4_9739 Depth=3
	s_andn2_saveexec_b64 s[40:41], s[38:39]
; %bb.10353:                            ;   in Loop: Header=BB4_9739 Depth=3
	v_or_b32_e32 v38, 0x7b, v50
; %bb.10354:                            ;   in Loop: Header=BB4_9739 Depth=3
	s_or_b64 exec, exec, s[40:41]
                                        ; implicit-def: $vgpr4
                                        ; implicit-def: $vgpr2_vgpr3
.LBB4_10355:                            ;   in Loop: Header=BB4_9739 Depth=3
	s_andn2_saveexec_b64 s[40:41], s[42:43]
	s_cbranch_execz .LBB4_10361
; %bb.10356:                            ;   in Loop: Header=BB4_9739 Depth=3
	v_cmp_ne_u64_e32 vcc, 0, v[2:3]
                                        ; implicit-def: $vgpr38
	s_and_saveexec_b64 s[42:43], vcc
	s_xor_b64 s[42:43], exec, s[42:43]
; %bb.10357:                            ;   in Loop: Header=BB4_9739 Depth=3
	v_or_b32_sdwa v38, v4, s47 dst_sel:DWORD dst_unused:UNUSED_PAD src0_sel:BYTE_3 src1_sel:DWORD
                                        ; implicit-def: $vgpr4
; %bb.10358:                            ;   in Loop: Header=BB4_9739 Depth=3
	s_andn2_saveexec_b64 s[42:43], s[42:43]
; %bb.10359:                            ;   in Loop: Header=BB4_9739 Depth=3
	v_cmp_lt_i32_e32 vcc, -1, v4
	v_bfrev_b32_e32 v2, 0.5
	v_cndmask_b32_e32 v38, v2, v52, vcc
; %bb.10360:                            ;   in Loop: Header=BB4_9739 Depth=3
	s_or_b64 exec, exec, s[42:43]
.LBB4_10361:                            ;   in Loop: Header=BB4_9739 Depth=3
	s_or_b64 exec, exec, s[40:41]
	v_lshrrev_b16_e32 v2, 8, v53
	v_cmp_ne_u16_e32 vcc, 0, v2
	v_mov_b32_e32 v4, 0
	s_and_saveexec_b64 s[40:41], vcc
	s_cbranch_execz .LBB4_10369
; %bb.10362:                            ;   in Loop: Header=BB4_9739 Depth=3
	v_cmp_ne_u16_e32 vcc, s96, v2
	v_bfrev_b32_e32 v4, 1
	s_and_saveexec_b64 s[42:43], vcc
	s_cbranch_execz .LBB4_10368
; %bb.10363:                            ;   in Loop: Header=BB4_9739 Depth=3
	v_and_b32_e32 v3, 0x7c, v2
	v_and_b32_e32 v50, 3, v2
	v_cmp_ne_u32_e32 vcc, s85, v3
                                        ; implicit-def: $vgpr4
	s_and_saveexec_b64 s[38:39], vcc
	s_xor_b64 s[38:39], exec, s[38:39]
	s_cbranch_execz .LBB4_10365
; %bb.10364:                            ;   in Loop: Header=BB4_9739 Depth=3
	v_ffbh_u32_e32 v28, v50
	v_min_u32_e32 v28, 32, v28
	v_mov_b32_e32 v3, v17
	v_subrev_u32_e32 v29, 29, v28
	v_bfe_u32 v4, v2, 2, 5
	v_lshlrev_b64 v[2:3], v29, v[2:3]
	v_sub_u32_e32 v3, 30, v28
	v_cmp_eq_u32_e32 vcc, 0, v4
	v_cndmask_b32_e32 v3, v4, v3, vcc
	v_lshlrev_b32_e32 v4, 16, v53
	v_and_b32_e32 v2, 3, v2
	v_and_b32_e32 v4, 0x80000000, v4
	v_cndmask_b32_e32 v2, v50, v2, vcc
	v_lshl_add_u32 v3, v3, 23, v4
	v_lshl_or_b32 v2, v2, 21, v3
	v_add_u32_e32 v4, 0x38000000, v2
                                        ; implicit-def: $vgpr50
                                        ; implicit-def: $vgpr53
.LBB4_10365:                            ;   in Loop: Header=BB4_9739 Depth=3
	s_andn2_saveexec_b64 s[38:39], s[38:39]
; %bb.10366:                            ;   in Loop: Header=BB4_9739 Depth=3
	v_cmp_lt_i16_e32 vcc, -1, v53
	v_mov_b32_e32 v2, 0xff800000
	v_mov_b32_e32 v3, 0x7f800000
	v_cndmask_b32_e32 v2, v2, v3, vcc
	v_cmp_eq_u32_e32 vcc, 0, v50
	v_mov_b32_e32 v3, 0x7f800001
	v_cndmask_b32_e32 v4, v3, v2, vcc
; %bb.10367:                            ;   in Loop: Header=BB4_9739 Depth=3
	s_or_b64 exec, exec, s[38:39]
.LBB4_10368:                            ;   in Loop: Header=BB4_9739 Depth=3
	s_or_b64 exec, exec, s[42:43]
.LBB4_10369:                            ;   in Loop: Header=BB4_9739 Depth=3
	s_or_b64 exec, exec, s[40:41]
	v_lshrrev_b16_e32 v2, 8, v1
	v_cmp_lt_i16_e32 vcc, s47, v2
	s_mov_b64 s[40:41], 0
	s_and_saveexec_b64 s[42:43], vcc
	s_xor_b64 s[42:43], exec, s[42:43]
	s_cbranch_execz .LBB4_10728
; %bb.10370:                            ;   in Loop: Header=BB4_9739 Depth=3
	v_cmp_eq_u16_e32 vcc, s96, v2
	s_mov_b64 s[40:41], -1
	s_and_saveexec_b64 s[38:39], vcc
; %bb.10371:                            ;   in Loop: Header=BB4_9739 Depth=3
	s_xor_b64 s[40:41], exec, -1
; %bb.10372:                            ;   in Loop: Header=BB4_9739 Depth=3
	s_or_b64 exec, exec, s[38:39]
	s_and_b64 s[40:41], s[40:41], exec
	s_or_saveexec_b64 s[42:43], s[42:43]
	v_bfrev_b32_e32 v3, 1
	s_xor_b64 exec, exec, s[42:43]
	s_cbranch_execnz .LBB4_10729
.LBB4_10373:                            ;   in Loop: Header=BB4_9739 Depth=3
	s_or_b64 exec, exec, s[42:43]
	s_and_saveexec_b64 s[38:39], s[40:41]
	s_cbranch_execz .LBB4_10375
.LBB4_10374:                            ;   in Loop: Header=BB4_9739 Depth=3
	v_and_b32_e32 v28, 3, v2
	v_and_b32_e32 v48, 0x7c, v2
	v_cmp_eq_u32_e32 vcc, s85, v48
	v_ffbh_u32_e32 v48, v28
	v_min_u32_e32 v50, 32, v48
	v_mov_b32_e32 v3, v17
	v_subrev_u32_e32 v48, 29, v50
	v_bfe_u32 v29, v2, 2, 5
	v_lshlrev_b64 v[48:49], v48, v[2:3]
	v_cmp_eq_u32_e64 s[40:41], 0, v29
	v_sub_u32_e32 v3, 30, v50
	v_lshlrev_b32_e32 v2, 24, v2
	v_and_b32_e32 v48, 3, v48
	v_cndmask_b32_e64 v3, v29, v3, s[40:41]
	v_and_b32_e32 v2, 0x80000000, v2
	v_cndmask_b32_e64 v29, v28, v48, s[40:41]
	v_lshl_add_u32 v2, v3, 23, v2
	v_cmp_lt_i16_e64 s[42:43], -1, v1
	v_mov_b32_e32 v1, 0xff800000
	v_mov_b32_e32 v3, 0x7f800000
	v_lshl_or_b32 v2, v29, 21, v2
	v_cmp_eq_u32_e64 s[40:41], 0, v28
	v_cndmask_b32_e64 v1, v1, v3, s[42:43]
	v_mov_b32_e32 v3, 0x7f800001
	v_add_u32_e32 v2, 0x38000000, v2
	v_cndmask_b32_e64 v1, v3, v1, s[40:41]
	v_cndmask_b32_e32 v3, v2, v1, vcc
.LBB4_10375:                            ;   in Loop: Header=BB4_9739 Depth=3
	s_or_b64 exec, exec, s[38:39]
	v_add_f32_e32 v3, v4, v3
	v_and_b32_e32 v48, 0x7f800000, v3
	v_mov_b32_e32 v49, v17
	v_cmp_ne_u64_e32 vcc, s[76:77], v[48:49]
	v_and_b32_e32 v1, 0x7fffff, v3
	v_mov_b32_e32 v2, v17
                                        ; implicit-def: $vgpr50
	s_and_saveexec_b64 s[40:41], vcc
	s_xor_b64 s[42:43], exec, s[40:41]
	s_cbranch_execz .LBB4_10389
; %bb.10376:                            ;   in Loop: Header=BB4_9739 Depth=3
	v_and_b32_e32 v48, 0x7fffffff, v3
	v_mov_b32_e32 v49, v17
	v_cmp_gt_u64_e32 vcc, s[78:79], v[48:49]
	v_and_b32_sdwa v4, v3, s96 dst_sel:DWORD dst_unused:UNUSED_PAD src0_sel:BYTE_3 src1_sel:DWORD
                                        ; implicit-def: $vgpr50
	s_and_saveexec_b64 s[40:41], vcc
	s_xor_b64 s[38:39], exec, s[40:41]
	s_cbranch_execz .LBB4_10386
; %bb.10377:                            ;   in Loop: Header=BB4_9739 Depth=3
	v_mov_b32_e32 v50, 0
	v_cmp_ne_u32_e32 vcc, 0, v3
	s_and_saveexec_b64 s[48:49], vcc
	s_cbranch_execz .LBB4_10385
; %bb.10378:                            ;   in Loop: Header=BB4_9739 Depth=3
	v_bfe_u32 v50, v3, 23, 8
	v_cmp_gt_u32_e64 s[40:41], s46, v50
	v_sub_u32_e32 v3, 0x71, v50
	v_cmp_eq_u32_e32 vcc, 0, v50
	v_cndmask_b32_e64 v3, 0, v3, s[40:41]
	v_mov_b32_e32 v29, 0x70
	v_cndmask_b32_e32 v51, v3, v29, vcc
	v_add_u32_e32 v3, 21, v51
	v_or_b32_e32 v28, 0x800000, v1
	v_lshlrev_b64 v[48:49], v3, -1
	v_cndmask_b32_e32 v1, v28, v1, vcc
	v_add_u32_e32 v3, 20, v51
	v_bfi_b32 v48, v48, 0, v1
	v_lshlrev_b64 v[53:54], v3, 1
	v_lshrrev_b64 v[1:2], v51, v[1:2]
	v_bfi_b32 v49, v49, 0, 0
	v_cmp_eq_u64_e64 s[40:41], v[48:49], v[53:54]
	v_mov_b32_e32 v3, v2
	v_mov_b32_e32 v2, v1
	s_and_saveexec_b64 s[50:51], s[40:41]
; %bb.10379:                            ;   in Loop: Header=BB4_9739 Depth=3
	v_bfe_u32 v2, v1, 21, 1
	v_add_co_u32_e64 v2, s[40:41], v1, v2
	v_add_co_u32_e64 v2, s[40:41], -1, v2
; %bb.10380:                            ;   in Loop: Header=BB4_9739 Depth=3
	s_or_b64 exec, exec, s[50:51]
	v_add_u32_e32 v3, 0xffffff81, v50
	v_mov_b32_e32 v28, 0xffffff82
	v_cndmask_b32_e32 v3, v3, v28, vcc
	v_lshrrev_b32_e32 v28, 23, v1
	v_add3_u32 v51, v51, v3, v28
	v_add_u32_e32 v50, 14, v51
	v_and_b32_e32 v2, 0x1fffff, v2
	v_add_u32_e32 v1, v2, v1
	v_mov_b32_e32 v2, v17
	v_cmp_ne_u32_e32 vcc, 0, v50
                                        ; implicit-def: $vgpr3
	s_and_saveexec_b64 s[40:41], vcc
	s_xor_b64 s[40:41], exec, s[40:41]
; %bb.10381:                            ;   in Loop: Header=BB4_9739 Depth=3
	v_cmp_lt_u64_e32 vcc, s[88:89], v[1:2]
	v_add_u32_e32 v3, 15, v51
	v_cndmask_b32_e64 v28, 0, 1, vcc
	v_cndmask_b32_e32 v3, v50, v3, vcc
	v_lshrrev_b64 v[1:2], v28, v[1:2]
; %bb.10382:                            ;   in Loop: Header=BB4_9739 Depth=3
	s_andn2_saveexec_b64 s[40:41], s[40:41]
; %bb.10383:                            ;   in Loop: Header=BB4_9739 Depth=3
	v_bfe_u32 v3, v1, 23, 1
; %bb.10384:                            ;   in Loop: Header=BB4_9739 Depth=3
	s_or_b64 exec, exec, s[40:41]
	v_lshrrev_b64 v[1:2], 21, v[1:2]
	v_cmp_gt_i32_e32 vcc, 32, v3
	v_cndmask_b32_e32 v2, 0, v2, vcc
	v_cndmask_b32_e32 v1, 3, v1, vcc
	v_cmp_eq_u64_e64 s[40:41], 0, v[1:2]
	v_min_i32_e32 v2, 31, v3
	v_lshlrev_b32_e32 v2, 2, v2
	v_cmp_eq_u32_e32 vcc, 0, v3
	v_and_b32_e32 v2, 0xfc, v2
	v_and_or_b32 v1, v1, 3, v2
	s_and_b64 s[40:41], vcc, s[40:41]
	v_cndmask_b32_e64 v1, v1, 0, s[40:41]
	v_or_b32_e32 v50, v1, v4
.LBB4_10385:                            ;   in Loop: Header=BB4_9739 Depth=3
	s_or_b64 exec, exec, s[48:49]
                                        ; implicit-def: $vgpr4
.LBB4_10386:                            ;   in Loop: Header=BB4_9739 Depth=3
	s_andn2_saveexec_b64 s[40:41], s[38:39]
; %bb.10387:                            ;   in Loop: Header=BB4_9739 Depth=3
	v_or_b32_e32 v50, 0x7b, v4
; %bb.10388:                            ;   in Loop: Header=BB4_9739 Depth=3
	s_or_b64 exec, exec, s[40:41]
                                        ; implicit-def: $vgpr3
                                        ; implicit-def: $vgpr1_vgpr2
.LBB4_10389:                            ;   in Loop: Header=BB4_9739 Depth=3
	s_andn2_saveexec_b64 s[40:41], s[42:43]
	s_cbranch_execz .LBB4_10395
; %bb.10390:                            ;   in Loop: Header=BB4_9739 Depth=3
	v_cmp_ne_u64_e32 vcc, 0, v[1:2]
                                        ; implicit-def: $vgpr50
	s_and_saveexec_b64 s[42:43], vcc
	s_xor_b64 s[42:43], exec, s[42:43]
; %bb.10391:                            ;   in Loop: Header=BB4_9739 Depth=3
	v_or_b32_sdwa v50, v3, s47 dst_sel:DWORD dst_unused:UNUSED_PAD src0_sel:BYTE_3 src1_sel:DWORD
                                        ; implicit-def: $vgpr3
; %bb.10392:                            ;   in Loop: Header=BB4_9739 Depth=3
	s_andn2_saveexec_b64 s[42:43], s[42:43]
; %bb.10393:                            ;   in Loop: Header=BB4_9739 Depth=3
	v_cmp_lt_i32_e32 vcc, -1, v3
	v_bfrev_b32_e32 v1, 0.5
	v_cndmask_b32_e32 v50, v1, v52, vcc
; %bb.10394:                            ;   in Loop: Header=BB4_9739 Depth=3
	s_or_b64 exec, exec, s[42:43]
.LBB4_10395:                            ;   in Loop: Header=BB4_9739 Depth=3
	s_or_b64 exec, exec, s[40:41]
	v_and_b32_sdwa v3, v0, s87 dst_sel:DWORD dst_unused:UNUSED_PAD src0_sel:WORD_1 src1_sel:DWORD
	v_lshrrev_b32_e32 v1, 16, v0
	v_cmp_ne_u16_e32 vcc, 0, v3
	v_mov_b32_e32 v2, 0
	s_and_saveexec_b64 s[40:41], vcc
	s_cbranch_execz .LBB4_10403
; %bb.10396:                            ;   in Loop: Header=BB4_9739 Depth=3
	v_cmp_ne_u16_e32 vcc, s96, v3
	v_bfrev_b32_e32 v2, 1
	s_and_saveexec_b64 s[42:43], vcc
	s_cbranch_execz .LBB4_10402
; %bb.10397:                            ;   in Loop: Header=BB4_9739 Depth=3
	v_and_b32_e32 v2, 0x7c0000, v0
	v_bfe_u32 v3, v0, 16, 2
	v_cmp_ne_u32_e32 vcc, s44, v2
                                        ; implicit-def: $vgpr2
	s_and_saveexec_b64 s[38:39], vcc
	s_xor_b64 s[38:39], exec, s[38:39]
	s_cbranch_execz .LBB4_10399
; %bb.10398:                            ;   in Loop: Header=BB4_9739 Depth=3
	v_ffbh_u32_e32 v2, v3
	v_min_u32_e32 v28, 32, v2
	v_subrev_u32_e32 v2, 29, v28
	v_lshlrev_b64 v[1:2], v2, v[1:2]
	v_bfe_u32 v4, v0, 18, 5
	v_and_b32_e32 v1, 3, v1
	v_cmp_eq_u32_e32 vcc, 0, v4
	v_sub_u32_e32 v2, 30, v28
	v_cndmask_b32_e32 v1, v3, v1, vcc
	v_lshlrev_b32_e32 v3, 8, v0
	v_cndmask_b32_e32 v2, v4, v2, vcc
	v_and_b32_e32 v3, 0x80000000, v3
	v_lshl_add_u32 v2, v2, 23, v3
	v_lshl_or_b32 v1, v1, 21, v2
	v_add_u32_e32 v2, 0x38000000, v1
                                        ; implicit-def: $vgpr3
                                        ; implicit-def: $vgpr1
.LBB4_10399:                            ;   in Loop: Header=BB4_9739 Depth=3
	s_andn2_saveexec_b64 s[38:39], s[38:39]
; %bb.10400:                            ;   in Loop: Header=BB4_9739 Depth=3
	v_mov_b32_e32 v2, -1
	v_cmp_gt_i16_sdwa vcc, sext(v1), v2 src0_sel:BYTE_0 src1_sel:DWORD
	v_mov_b32_e32 v1, 0xff800000
	v_mov_b32_e32 v2, 0x7f800000
	v_cndmask_b32_e32 v1, v1, v2, vcc
	v_cmp_eq_u32_e32 vcc, 0, v3
	v_mov_b32_e32 v2, 0x7f800001
	v_cndmask_b32_e32 v2, v2, v1, vcc
; %bb.10401:                            ;   in Loop: Header=BB4_9739 Depth=3
	s_or_b64 exec, exec, s[38:39]
.LBB4_10402:                            ;   in Loop: Header=BB4_9739 Depth=3
	s_or_b64 exec, exec, s[42:43]
.LBB4_10403:                            ;   in Loop: Header=BB4_9739 Depth=3
	s_or_b64 exec, exec, s[40:41]
	v_lshrrev_b32_e32 v1, 16, v9
	v_cmp_gt_i16_sdwa s[42:43], v1, s47 src0_sel:BYTE_0 src1_sel:DWORD
	s_mov_b64 s[40:41], 0
	s_and_saveexec_b64 vcc, s[42:43]
	s_xor_b64 s[42:43], exec, vcc
	s_cbranch_execz .LBB4_10730
; %bb.10404:                            ;   in Loop: Header=BB4_9739 Depth=3
	v_cmp_eq_u16_sdwa s[38:39], v1, s96 src0_sel:BYTE_0 src1_sel:DWORD
	s_mov_b64 s[40:41], -1
	s_and_saveexec_b64 vcc, s[38:39]
; %bb.10405:                            ;   in Loop: Header=BB4_9739 Depth=3
	s_xor_b64 s[40:41], exec, -1
; %bb.10406:                            ;   in Loop: Header=BB4_9739 Depth=3
	s_or_b64 exec, exec, vcc
	s_and_b64 s[40:41], s[40:41], exec
	s_or_saveexec_b64 s[42:43], s[42:43]
	v_bfrev_b32_e32 v3, 1
	s_xor_b64 exec, exec, s[42:43]
	s_cbranch_execnz .LBB4_10731
.LBB4_10407:                            ;   in Loop: Header=BB4_9739 Depth=3
	s_or_b64 exec, exec, s[42:43]
	s_and_saveexec_b64 s[38:39], s[40:41]
	s_cbranch_execz .LBB4_10409
.LBB4_10408:                            ;   in Loop: Header=BB4_9739 Depth=3
	v_and_b32_e32 v28, 3, v1
	v_and_b32_e32 v3, 0x7c0000, v9
	v_cmp_eq_u32_e32 vcc, s44, v3
	v_ffbh_u32_e32 v3, v28
	v_min_u32_e32 v48, 32, v3
	v_subrev_u32_e32 v3, 29, v48
	v_bfe_u32 v29, v9, 18, 5
	v_lshlrev_b64 v[3:4], v3, v[1:2]
	v_cmp_eq_u32_e64 s[40:41], 0, v29
	v_sub_u32_e32 v4, 30, v48
	v_cndmask_b32_e64 v4, v29, v4, s[40:41]
	v_lshlrev_b32_e32 v29, 24, v1
	v_and_b32_e32 v3, 3, v3
	v_and_b32_e32 v29, 0x80000000, v29
	v_cndmask_b32_e64 v3, v28, v3, s[40:41]
	v_lshl_add_u32 v4, v4, 23, v29
	v_lshl_or_b32 v3, v3, 21, v4
	v_mov_b32_e32 v4, -1
	v_cmp_gt_i16_sdwa s[42:43], sext(v1), v4 src0_sel:BYTE_0 src1_sel:DWORD
	v_mov_b32_e32 v1, 0xff800000
	v_mov_b32_e32 v4, 0x7f800000
	v_cmp_eq_u32_e64 s[40:41], 0, v28
	v_cndmask_b32_e64 v1, v1, v4, s[42:43]
	v_mov_b32_e32 v4, 0x7f800001
	v_add_u32_e32 v3, 0x38000000, v3
	v_cndmask_b32_e64 v1, v4, v1, s[40:41]
	v_cndmask_b32_e32 v3, v3, v1, vcc
.LBB4_10409:                            ;   in Loop: Header=BB4_9739 Depth=3
	s_or_b64 exec, exec, s[38:39]
	v_add_f32_e32 v3, v2, v3
	v_and_b32_e32 v48, 0x7f800000, v3
	v_mov_b32_e32 v49, v17
	v_cmp_ne_u64_e32 vcc, s[76:77], v[48:49]
	v_and_b32_e32 v1, 0x7fffff, v3
	v_mov_b32_e32 v2, v17
                                        ; implicit-def: $vgpr51
	s_and_saveexec_b64 s[40:41], vcc
	s_xor_b64 s[42:43], exec, s[40:41]
	s_cbranch_execz .LBB4_10423
; %bb.10410:                            ;   in Loop: Header=BB4_9739 Depth=3
	v_and_b32_e32 v48, 0x7fffffff, v3
	v_mov_b32_e32 v49, v17
	v_cmp_gt_u64_e32 vcc, s[78:79], v[48:49]
	v_and_b32_sdwa v4, v3, s96 dst_sel:DWORD dst_unused:UNUSED_PAD src0_sel:BYTE_3 src1_sel:DWORD
                                        ; implicit-def: $vgpr51
	s_and_saveexec_b64 s[40:41], vcc
	s_xor_b64 s[38:39], exec, s[40:41]
	s_cbranch_execz .LBB4_10420
; %bb.10411:                            ;   in Loop: Header=BB4_9739 Depth=3
	v_mov_b32_e32 v51, 0
	v_cmp_ne_u32_e32 vcc, 0, v3
	s_and_saveexec_b64 s[48:49], vcc
	s_cbranch_execz .LBB4_10419
; %bb.10412:                            ;   in Loop: Header=BB4_9739 Depth=3
	v_bfe_u32 v51, v3, 23, 8
	v_cmp_gt_u32_e64 s[40:41], s46, v51
	v_sub_u32_e32 v3, 0x71, v51
	v_cmp_eq_u32_e32 vcc, 0, v51
	v_cndmask_b32_e64 v3, 0, v3, s[40:41]
	v_mov_b32_e32 v29, 0x70
	v_cndmask_b32_e32 v53, v3, v29, vcc
	v_add_u32_e32 v3, 21, v53
	v_or_b32_e32 v28, 0x800000, v1
	v_lshlrev_b64 v[48:49], v3, -1
	v_cndmask_b32_e32 v1, v28, v1, vcc
	v_add_u32_e32 v3, 20, v53
	v_bfi_b32 v48, v48, 0, v1
	v_lshlrev_b64 v[54:55], v3, 1
	v_lshrrev_b64 v[1:2], v53, v[1:2]
	v_bfi_b32 v49, v49, 0, 0
	v_cmp_eq_u64_e64 s[40:41], v[48:49], v[54:55]
	v_mov_b32_e32 v3, v2
	v_mov_b32_e32 v2, v1
	s_and_saveexec_b64 s[50:51], s[40:41]
; %bb.10413:                            ;   in Loop: Header=BB4_9739 Depth=3
	v_bfe_u32 v2, v1, 21, 1
	v_add_co_u32_e64 v2, s[40:41], v1, v2
	v_add_co_u32_e64 v2, s[40:41], -1, v2
; %bb.10414:                            ;   in Loop: Header=BB4_9739 Depth=3
	s_or_b64 exec, exec, s[50:51]
	v_add_u32_e32 v3, 0xffffff81, v51
	v_mov_b32_e32 v28, 0xffffff82
	v_cndmask_b32_e32 v3, v3, v28, vcc
	v_lshrrev_b32_e32 v28, 23, v1
	v_add3_u32 v53, v53, v3, v28
	v_add_u32_e32 v51, 14, v53
	v_and_b32_e32 v2, 0x1fffff, v2
	v_add_u32_e32 v1, v2, v1
	v_mov_b32_e32 v2, v17
	v_cmp_ne_u32_e32 vcc, 0, v51
                                        ; implicit-def: $vgpr3
	s_and_saveexec_b64 s[40:41], vcc
	s_xor_b64 s[40:41], exec, s[40:41]
; %bb.10415:                            ;   in Loop: Header=BB4_9739 Depth=3
	v_cmp_lt_u64_e32 vcc, s[88:89], v[1:2]
	v_add_u32_e32 v3, 15, v53
	v_cndmask_b32_e64 v28, 0, 1, vcc
	v_cndmask_b32_e32 v3, v51, v3, vcc
	v_lshrrev_b64 v[1:2], v28, v[1:2]
; %bb.10416:                            ;   in Loop: Header=BB4_9739 Depth=3
	s_andn2_saveexec_b64 s[40:41], s[40:41]
; %bb.10417:                            ;   in Loop: Header=BB4_9739 Depth=3
	v_bfe_u32 v3, v1, 23, 1
; %bb.10418:                            ;   in Loop: Header=BB4_9739 Depth=3
	s_or_b64 exec, exec, s[40:41]
	v_lshrrev_b64 v[1:2], 21, v[1:2]
	v_cmp_gt_i32_e32 vcc, 32, v3
	v_cndmask_b32_e32 v2, 0, v2, vcc
	v_cndmask_b32_e32 v1, 3, v1, vcc
	v_cmp_eq_u64_e64 s[40:41], 0, v[1:2]
	v_min_i32_e32 v2, 31, v3
	v_lshlrev_b32_e32 v2, 2, v2
	v_cmp_eq_u32_e32 vcc, 0, v3
	v_and_b32_e32 v2, 0xfc, v2
	v_and_or_b32 v1, v1, 3, v2
	s_and_b64 s[40:41], vcc, s[40:41]
	v_cndmask_b32_e64 v1, v1, 0, s[40:41]
	v_or_b32_e32 v51, v1, v4
.LBB4_10419:                            ;   in Loop: Header=BB4_9739 Depth=3
	s_or_b64 exec, exec, s[48:49]
                                        ; implicit-def: $vgpr4
.LBB4_10420:                            ;   in Loop: Header=BB4_9739 Depth=3
	s_andn2_saveexec_b64 s[40:41], s[38:39]
; %bb.10421:                            ;   in Loop: Header=BB4_9739 Depth=3
	v_or_b32_e32 v51, 0x7b, v4
; %bb.10422:                            ;   in Loop: Header=BB4_9739 Depth=3
	s_or_b64 exec, exec, s[40:41]
                                        ; implicit-def: $vgpr3
                                        ; implicit-def: $vgpr1_vgpr2
.LBB4_10423:                            ;   in Loop: Header=BB4_9739 Depth=3
	s_andn2_saveexec_b64 s[40:41], s[42:43]
	s_cbranch_execz .LBB4_10429
; %bb.10424:                            ;   in Loop: Header=BB4_9739 Depth=3
	v_cmp_ne_u64_e32 vcc, 0, v[1:2]
                                        ; implicit-def: $vgpr51
	s_and_saveexec_b64 s[42:43], vcc
	s_xor_b64 s[42:43], exec, s[42:43]
; %bb.10425:                            ;   in Loop: Header=BB4_9739 Depth=3
	v_or_b32_sdwa v51, v3, s47 dst_sel:DWORD dst_unused:UNUSED_PAD src0_sel:BYTE_3 src1_sel:DWORD
                                        ; implicit-def: $vgpr3
; %bb.10426:                            ;   in Loop: Header=BB4_9739 Depth=3
	s_andn2_saveexec_b64 s[42:43], s[42:43]
; %bb.10427:                            ;   in Loop: Header=BB4_9739 Depth=3
	v_cmp_lt_i32_e32 vcc, -1, v3
	v_bfrev_b32_e32 v1, 0.5
	v_cndmask_b32_e32 v51, v1, v52, vcc
; %bb.10428:                            ;   in Loop: Header=BB4_9739 Depth=3
	s_or_b64 exec, exec, s[42:43]
.LBB4_10429:                            ;   in Loop: Header=BB4_9739 Depth=3
	s_or_b64 exec, exec, s[40:41]
	v_cmp_lt_u32_e32 vcc, s57, v0
	v_mov_b32_e32 v2, 0
	s_and_saveexec_b64 s[40:41], vcc
	s_cbranch_execz .LBB4_10437
; %bb.10430:                            ;   in Loop: Header=BB4_9739 Depth=3
	v_lshrrev_b32_e32 v1, 24, v0
	v_cmp_ne_u32_e32 vcc, s96, v1
	v_bfrev_b32_e32 v2, 1
	s_and_saveexec_b64 s[42:43], vcc
	s_cbranch_execz .LBB4_10436
; %bb.10431:                            ;   in Loop: Header=BB4_9739 Depth=3
	v_and_b32_e32 v2, 0x7c000000, v0
	v_bfe_u32 v3, v0, 24, 2
	v_cmp_ne_u32_e32 vcc, s45, v2
                                        ; implicit-def: $vgpr2
	s_and_saveexec_b64 s[38:39], vcc
	s_xor_b64 s[38:39], exec, s[38:39]
	s_cbranch_execz .LBB4_10433
; %bb.10432:                            ;   in Loop: Header=BB4_9739 Depth=3
	v_ffbh_u32_e32 v2, v3
	v_min_u32_e32 v28, 32, v2
	v_subrev_u32_e32 v2, 29, v28
	v_bfe_u32 v4, v0, 26, 5
	v_lshlrev_b64 v[1:2], v2, v[1:2]
	v_sub_u32_e32 v2, 30, v28
	v_cmp_eq_u32_e32 vcc, 0, v4
	v_and_b32_e32 v1, 3, v1
	v_cndmask_b32_e32 v2, v4, v2, vcc
	v_and_b32_e32 v0, 0x80000000, v0
	v_cndmask_b32_e32 v1, v3, v1, vcc
	v_lshl_add_u32 v0, v2, 23, v0
	v_lshl_or_b32 v0, v1, 21, v0
	v_add_u32_e32 v2, 0x38000000, v0
                                        ; implicit-def: $vgpr3
                                        ; implicit-def: $vgpr0_vgpr1
.LBB4_10433:                            ;   in Loop: Header=BB4_9739 Depth=3
	s_andn2_saveexec_b64 s[38:39], s[38:39]
; %bb.10434:                            ;   in Loop: Header=BB4_9739 Depth=3
	v_cmp_lt_i32_e32 vcc, -1, v0
	v_mov_b32_e32 v0, 0xff800000
	v_mov_b32_e32 v1, 0x7f800000
	v_cndmask_b32_e32 v0, v0, v1, vcc
	v_cmp_eq_u32_e32 vcc, 0, v3
	v_mov_b32_e32 v1, 0x7f800001
	v_cndmask_b32_e32 v2, v1, v0, vcc
; %bb.10435:                            ;   in Loop: Header=BB4_9739 Depth=3
	s_or_b64 exec, exec, s[38:39]
.LBB4_10436:                            ;   in Loop: Header=BB4_9739 Depth=3
	s_or_b64 exec, exec, s[42:43]
.LBB4_10437:                            ;   in Loop: Header=BB4_9739 Depth=3
	s_or_b64 exec, exec, s[40:41]
	v_bfe_u32 v1, v9, 24, 2
	v_and_b32_e32 v3, 0x7c000000, v9
	v_cmp_eq_u32_e32 vcc, s45, v3
	v_ffbh_u32_e32 v3, v1
	v_min_u32_e32 v29, 32, v3
	v_lshrrev_b32_e32 v0, 24, v9
	v_subrev_u32_e32 v3, 29, v29
	v_bfe_u32 v28, v9, 26, 5
	v_lshlrev_b64 v[3:4], v3, v[0:1]
	v_cmp_eq_u32_e64 s[40:41], 0, v28
	v_sub_u32_e32 v4, 30, v29
	v_and_b32_e32 v3, 3, v3
	v_cndmask_b32_e64 v4, v28, v4, s[40:41]
	v_and_b32_e32 v28, 0x80000000, v9
	v_cndmask_b32_e64 v3, v1, v3, s[40:41]
	v_lshl_add_u32 v4, v4, 23, v28
	v_cmp_lt_i64_e64 s[42:43], -1, v[8:9]
	v_lshl_or_b32 v3, v3, 21, v4
	v_cmp_eq_u32_e64 s[40:41], 0, v1
	v_mov_b32_e32 v1, 0xff800000
	v_mov_b32_e32 v4, 0x7f800000
	v_cndmask_b32_e64 v1, v1, v4, s[42:43]
	v_mov_b32_e32 v4, 0x7f800001
	v_add_u32_e32 v3, 0x38000000, v3
	v_cndmask_b32_e64 v1, v4, v1, s[40:41]
	v_cndmask_b32_e32 v1, v3, v1, vcc
	v_cmp_ne_u32_e32 vcc, s96, v0
	v_bfrev_b32_e32 v0, 1
	v_cndmask_b32_e32 v0, v0, v1, vcc
	v_cmp_lt_u64_e32 vcc, s[56:57], v[8:9]
	v_mov_b32_e32 v4, v17
	v_cndmask_b32_e32 v0, 0, v0, vcc
	v_add_f32_e32 v2, v0, v2
	v_and_b32_e32 v3, 0x7f800000, v2
	v_cmp_ne_u64_e32 vcc, s[76:77], v[3:4]
	v_and_b32_e32 v0, 0x7fffff, v2
	v_mov_b32_e32 v1, v17
                                        ; implicit-def: $vgpr8
	s_and_saveexec_b64 s[40:41], vcc
	s_xor_b64 s[42:43], exec, s[40:41]
	s_cbranch_execz .LBB4_10451
; %bb.10438:                            ;   in Loop: Header=BB4_9739 Depth=3
	v_and_b32_e32 v3, 0x7fffffff, v2
	v_mov_b32_e32 v4, v17
	v_cmp_gt_u64_e32 vcc, s[78:79], v[3:4]
	v_and_b32_sdwa v3, v2, s96 dst_sel:DWORD dst_unused:UNUSED_PAD src0_sel:BYTE_3 src1_sel:DWORD
                                        ; implicit-def: $vgpr8
	s_and_saveexec_b64 s[40:41], vcc
	s_xor_b64 s[38:39], exec, s[40:41]
	s_cbranch_execz .LBB4_10448
; %bb.10439:                            ;   in Loop: Header=BB4_9739 Depth=3
	v_mov_b32_e32 v8, 0
	v_cmp_ne_u32_e32 vcc, 0, v2
	s_and_saveexec_b64 s[48:49], vcc
	s_cbranch_execz .LBB4_10447
; %bb.10440:                            ;   in Loop: Header=BB4_9739 Depth=3
	v_bfe_u32 v4, v2, 23, 8
	v_cmp_gt_u32_e64 s[40:41], s46, v4
	v_sub_u32_e32 v2, 0x71, v4
	v_cmp_eq_u32_e32 vcc, 0, v4
	v_cndmask_b32_e64 v2, 0, v2, s[40:41]
	v_mov_b32_e32 v8, 0x70
	v_cndmask_b32_e32 v8, v2, v8, vcc
	v_add_u32_e32 v2, 21, v8
	v_or_b32_e32 v9, 0x800000, v0
	v_lshlrev_b64 v[48:49], v2, -1
	v_cndmask_b32_e32 v0, v9, v0, vcc
	v_add_u32_e32 v2, 20, v8
	v_bfi_b32 v48, v48, 0, v0
	v_lshlrev_b64 v[53:54], v2, 1
	v_lshrrev_b64 v[0:1], v8, v[0:1]
	v_bfi_b32 v49, v49, 0, 0
	v_cmp_eq_u64_e64 s[40:41], v[48:49], v[53:54]
	v_mov_b32_e32 v2, v1
	v_mov_b32_e32 v1, v0
	s_and_saveexec_b64 s[50:51], s[40:41]
; %bb.10441:                            ;   in Loop: Header=BB4_9739 Depth=3
	v_bfe_u32 v1, v0, 21, 1
	v_add_co_u32_e64 v1, s[40:41], v0, v1
	v_add_co_u32_e64 v1, s[40:41], -1, v1
; %bb.10442:                            ;   in Loop: Header=BB4_9739 Depth=3
	s_or_b64 exec, exec, s[50:51]
	v_add_u32_e32 v2, 0xffffff81, v4
	v_mov_b32_e32 v4, 0xffffff82
	v_cndmask_b32_e32 v2, v2, v4, vcc
	v_lshrrev_b32_e32 v4, 23, v0
	v_add3_u32 v8, v8, v2, v4
	v_add_u32_e32 v4, 14, v8
	v_and_b32_e32 v1, 0x1fffff, v1
	v_add_u32_e32 v0, v1, v0
	v_mov_b32_e32 v1, v17
	v_cmp_ne_u32_e32 vcc, 0, v4
                                        ; implicit-def: $vgpr2
	s_and_saveexec_b64 s[40:41], vcc
	s_xor_b64 s[40:41], exec, s[40:41]
; %bb.10443:                            ;   in Loop: Header=BB4_9739 Depth=3
	v_cmp_lt_u64_e32 vcc, s[88:89], v[0:1]
	v_add_u32_e32 v2, 15, v8
	v_cndmask_b32_e32 v2, v4, v2, vcc
	v_cndmask_b32_e64 v4, 0, 1, vcc
	v_lshrrev_b64 v[0:1], v4, v[0:1]
; %bb.10444:                            ;   in Loop: Header=BB4_9739 Depth=3
	s_andn2_saveexec_b64 s[40:41], s[40:41]
; %bb.10445:                            ;   in Loop: Header=BB4_9739 Depth=3
	v_bfe_u32 v2, v0, 23, 1
; %bb.10446:                            ;   in Loop: Header=BB4_9739 Depth=3
	s_or_b64 exec, exec, s[40:41]
	v_lshrrev_b64 v[0:1], 21, v[0:1]
	v_cmp_gt_i32_e32 vcc, 32, v2
	v_cndmask_b32_e32 v1, 0, v1, vcc
	v_cndmask_b32_e32 v0, 3, v0, vcc
	v_cmp_eq_u64_e64 s[40:41], 0, v[0:1]
	v_min_i32_e32 v1, 31, v2
	v_lshlrev_b32_e32 v1, 2, v1
	v_cmp_eq_u32_e32 vcc, 0, v2
	v_and_b32_e32 v1, 0xfc, v1
	v_and_or_b32 v0, v0, 3, v1
	s_and_b64 s[40:41], vcc, s[40:41]
	v_cndmask_b32_e64 v0, v0, 0, s[40:41]
	v_or_b32_e32 v8, v0, v3
.LBB4_10447:                            ;   in Loop: Header=BB4_9739 Depth=3
	s_or_b64 exec, exec, s[48:49]
                                        ; implicit-def: $vgpr3
.LBB4_10448:                            ;   in Loop: Header=BB4_9739 Depth=3
	s_andn2_saveexec_b64 s[40:41], s[38:39]
; %bb.10449:                            ;   in Loop: Header=BB4_9739 Depth=3
	v_or_b32_e32 v8, 0x7b, v3
; %bb.10450:                            ;   in Loop: Header=BB4_9739 Depth=3
	s_or_b64 exec, exec, s[40:41]
                                        ; implicit-def: $vgpr2
                                        ; implicit-def: $vgpr0_vgpr1
.LBB4_10451:                            ;   in Loop: Header=BB4_9739 Depth=3
	s_andn2_saveexec_b64 s[40:41], s[42:43]
	s_cbranch_execz .LBB4_10457
; %bb.10452:                            ;   in Loop: Header=BB4_9739 Depth=3
	v_cmp_ne_u64_e32 vcc, 0, v[0:1]
                                        ; implicit-def: $vgpr8
	s_and_saveexec_b64 s[42:43], vcc
	s_xor_b64 s[42:43], exec, s[42:43]
; %bb.10453:                            ;   in Loop: Header=BB4_9739 Depth=3
	v_or_b32_sdwa v8, v2, s47 dst_sel:DWORD dst_unused:UNUSED_PAD src0_sel:BYTE_3 src1_sel:DWORD
                                        ; implicit-def: $vgpr2
; %bb.10454:                            ;   in Loop: Header=BB4_9739 Depth=3
	s_andn2_saveexec_b64 s[42:43], s[42:43]
; %bb.10455:                            ;   in Loop: Header=BB4_9739 Depth=3
	v_cmp_lt_i32_e32 vcc, -1, v2
	v_bfrev_b32_e32 v0, 0.5
	v_cndmask_b32_e32 v8, v0, v52, vcc
; %bb.10456:                            ;   in Loop: Header=BB4_9739 Depth=3
	s_or_b64 exec, exec, s[42:43]
.LBB4_10457:                            ;   in Loop: Header=BB4_9739 Depth=3
	s_or_b64 exec, exec, s[40:41]
	v_lshl_or_b32 v4, v34, 8, v30
	v_lshlrev_b32_e32 v0, 16, v37
	v_lshlrev_b32_e32 v1, 24, v39
	v_or3_b32 v0, v0, v1, v4
	v_mov_b32_e32 v1, v17
	v_cmp_ne_u32_e32 vcc, 0, v30
	v_mov_b32_e32 v2, 0
	s_and_saveexec_b64 s[42:43], vcc
	s_cbranch_execz .LBB4_10465
; %bb.10458:                            ;   in Loop: Header=BB4_9739 Depth=3
	v_cmp_ne_u32_e32 vcc, s96, v30
	v_bfrev_b32_e32 v2, 1
	s_and_saveexec_b64 s[38:39], vcc
	s_cbranch_execz .LBB4_10464
; %bb.10459:                            ;   in Loop: Header=BB4_9739 Depth=3
	v_and_b32_e32 v2, 0x7c, v30
	v_and_b32_e32 v3, 3, v30
	v_cmp_ne_u32_e32 vcc, s85, v2
                                        ; implicit-def: $vgpr2
	s_and_saveexec_b64 s[40:41], vcc
	s_xor_b64 s[40:41], exec, s[40:41]
	s_cbranch_execz .LBB4_10461
; %bb.10460:                            ;   in Loop: Header=BB4_9739 Depth=3
	v_ffbh_u32_e32 v2, v3
	v_min_u32_e32 v28, 32, v2
	v_subrev_u32_e32 v2, 29, v28
	v_lshlrev_b64 v[1:2], v2, v[0:1]
	v_bfe_u32 v9, v30, 2, 5
	v_and_b32_e32 v1, 3, v1
	v_cmp_eq_u32_e32 vcc, 0, v9
	v_sub_u32_e32 v2, 30, v28
	v_cndmask_b32_e32 v1, v3, v1, vcc
	v_lshlrev_b32_e32 v3, 24, v30
	v_cndmask_b32_e32 v2, v9, v2, vcc
	v_and_b32_e32 v3, 0x80000000, v3
	v_lshl_add_u32 v2, v2, 23, v3
	v_lshl_or_b32 v1, v1, 21, v2
	v_add_u32_e32 v2, 0x38000000, v1
                                        ; implicit-def: $vgpr3
                                        ; implicit-def: $vgpr30
.LBB4_10461:                            ;   in Loop: Header=BB4_9739 Depth=3
	s_andn2_saveexec_b64 s[48:49], s[40:41]
; %bb.10462:                            ;   in Loop: Header=BB4_9739 Depth=3
	v_and_b32_e32 v1, 0x80, v30
	v_cmp_eq_u32_e64 s[40:41], 0, v1
	v_mov_b32_e32 v1, 0xff800000
	v_mov_b32_e32 v2, 0x7f800000
	v_cmp_eq_u32_e32 vcc, 0, v3
	v_cndmask_b32_e64 v1, v1, v2, s[40:41]
	v_mov_b32_e32 v2, 0x7f800001
	v_cndmask_b32_e32 v2, v2, v1, vcc
; %bb.10463:                            ;   in Loop: Header=BB4_9739 Depth=3
	s_or_b64 exec, exec, s[48:49]
.LBB4_10464:                            ;   in Loop: Header=BB4_9739 Depth=3
	s_or_b64 exec, exec, s[38:39]
.LBB4_10465:                            ;   in Loop: Header=BB4_9739 Depth=3
	s_or_b64 exec, exec, s[42:43]
	v_cmp_gt_i16_sdwa s[42:43], v10, s47 src0_sel:BYTE_0 src1_sel:DWORD
	s_mov_b64 s[40:41], 0
	s_and_saveexec_b64 vcc, s[42:43]
	s_xor_b64 s[42:43], exec, vcc
	s_cbranch_execz .LBB4_10732
; %bb.10466:                            ;   in Loop: Header=BB4_9739 Depth=3
	v_cmp_eq_u16_sdwa s[38:39], v10, s96 src0_sel:BYTE_0 src1_sel:DWORD
	s_mov_b64 s[40:41], -1
	s_and_saveexec_b64 vcc, s[38:39]
; %bb.10467:                            ;   in Loop: Header=BB4_9739 Depth=3
	s_xor_b64 s[40:41], exec, -1
; %bb.10468:                            ;   in Loop: Header=BB4_9739 Depth=3
	s_or_b64 exec, exec, vcc
	s_and_b64 s[40:41], s[40:41], exec
	s_or_saveexec_b64 s[42:43], s[42:43]
	v_bfrev_b32_e32 v1, 1
	s_xor_b64 exec, exec, s[42:43]
	s_cbranch_execnz .LBB4_10733
.LBB4_10469:                            ;   in Loop: Header=BB4_9739 Depth=3
	s_or_b64 exec, exec, s[42:43]
	s_and_saveexec_b64 s[38:39], s[40:41]
	s_cbranch_execz .LBB4_10471
.LBB4_10470:                            ;   in Loop: Header=BB4_9739 Depth=3
	v_and_b32_e32 v1, 3, v10
	v_and_b32_e32 v9, 0x7c, v10
	v_cmp_eq_u32_e32 vcc, s85, v9
	v_ffbh_u32_e32 v9, v1
	v_min_u32_e32 v9, 32, v9
	v_subrev_u32_e32 v28, 29, v9
	v_lshlrev_b64 v[48:49], v28, v[10:11]
	v_bfe_u32 v3, v10, 2, 5
	v_cmp_eq_u32_e64 s[40:41], 0, v3
	v_sub_u32_e32 v9, 30, v9
	v_and_b32_e32 v28, 3, v48
	v_cndmask_b32_e64 v3, v3, v9, s[40:41]
	v_cndmask_b32_e64 v9, v1, v28, s[40:41]
	v_lshlrev_b32_e32 v28, 24, v10
	v_and_b32_e32 v28, 0x80000000, v28
	v_lshl_add_u32 v3, v3, 23, v28
	v_cmp_eq_u32_e64 s[40:41], 0, v1
	v_mov_b32_e32 v1, -1
	v_lshl_or_b32 v3, v9, 21, v3
	v_cmp_gt_i16_sdwa s[42:43], sext(v10), v1 src0_sel:BYTE_0 src1_sel:DWORD
	v_mov_b32_e32 v1, 0xff800000
	v_mov_b32_e32 v9, 0x7f800000
	v_cndmask_b32_e64 v1, v1, v9, s[42:43]
	v_mov_b32_e32 v9, 0x7f800001
	v_add_u32_e32 v3, 0x38000000, v3
	v_cndmask_b32_e64 v1, v9, v1, s[40:41]
	v_cndmask_b32_e32 v1, v3, v1, vcc
.LBB4_10471:                            ;   in Loop: Header=BB4_9739 Depth=3
	s_or_b64 exec, exec, s[38:39]
	v_add_f32_e32 v3, v2, v1
	v_and_b32_e32 v48, 0x7f800000, v3
	v_mov_b32_e32 v49, v17
	v_cmp_ne_u64_e32 vcc, s[76:77], v[48:49]
	v_and_b32_e32 v1, 0x7fffff, v3
	v_mov_b32_e32 v2, v17
                                        ; implicit-def: $vgpr30
	s_and_saveexec_b64 s[40:41], vcc
	s_xor_b64 s[42:43], exec, s[40:41]
	s_cbranch_execz .LBB4_10485
; %bb.10472:                            ;   in Loop: Header=BB4_9739 Depth=3
	v_and_b32_e32 v48, 0x7fffffff, v3
	v_mov_b32_e32 v49, v17
	v_cmp_gt_u64_e32 vcc, s[78:79], v[48:49]
	v_and_b32_sdwa v9, v3, s96 dst_sel:DWORD dst_unused:UNUSED_PAD src0_sel:BYTE_3 src1_sel:DWORD
                                        ; implicit-def: $vgpr30
	s_and_saveexec_b64 s[40:41], vcc
	s_xor_b64 s[38:39], exec, s[40:41]
	s_cbranch_execz .LBB4_10482
; %bb.10473:                            ;   in Loop: Header=BB4_9739 Depth=3
	v_mov_b32_e32 v30, 0
	v_cmp_ne_u32_e32 vcc, 0, v3
	s_and_saveexec_b64 s[48:49], vcc
	s_cbranch_execz .LBB4_10481
; %bb.10474:                            ;   in Loop: Header=BB4_9739 Depth=3
	v_bfe_u32 v30, v3, 23, 8
	v_cmp_gt_u32_e64 s[40:41], s46, v30
	v_sub_u32_e32 v3, 0x71, v30
	v_cmp_eq_u32_e32 vcc, 0, v30
	v_cndmask_b32_e64 v3, 0, v3, s[40:41]
	v_mov_b32_e32 v29, 0x70
	v_cndmask_b32_e32 v34, v3, v29, vcc
	v_add_u32_e32 v3, 21, v34
	v_or_b32_e32 v28, 0x800000, v1
	v_lshlrev_b64 v[48:49], v3, -1
	v_cndmask_b32_e32 v1, v28, v1, vcc
	v_add_u32_e32 v3, 20, v34
	v_bfi_b32 v48, v48, 0, v1
	v_lshlrev_b64 v[53:54], v3, 1
	v_lshrrev_b64 v[1:2], v34, v[1:2]
	v_bfi_b32 v49, v49, 0, 0
	v_cmp_eq_u64_e64 s[40:41], v[48:49], v[53:54]
	v_mov_b32_e32 v3, v2
	v_mov_b32_e32 v2, v1
	s_and_saveexec_b64 s[50:51], s[40:41]
; %bb.10475:                            ;   in Loop: Header=BB4_9739 Depth=3
	v_bfe_u32 v2, v1, 21, 1
	v_add_co_u32_e64 v2, s[40:41], v1, v2
	v_add_co_u32_e64 v2, s[40:41], -1, v2
; %bb.10476:                            ;   in Loop: Header=BB4_9739 Depth=3
	s_or_b64 exec, exec, s[50:51]
	v_add_u32_e32 v3, 0xffffff81, v30
	v_mov_b32_e32 v28, 0xffffff82
	v_cndmask_b32_e32 v3, v3, v28, vcc
	v_lshrrev_b32_e32 v28, 23, v1
	v_add3_u32 v34, v34, v3, v28
	v_add_u32_e32 v30, 14, v34
	v_and_b32_e32 v2, 0x1fffff, v2
	v_add_u32_e32 v1, v2, v1
	v_mov_b32_e32 v2, v17
	v_cmp_ne_u32_e32 vcc, 0, v30
                                        ; implicit-def: $vgpr3
	s_and_saveexec_b64 s[40:41], vcc
	s_xor_b64 s[40:41], exec, s[40:41]
; %bb.10477:                            ;   in Loop: Header=BB4_9739 Depth=3
	v_cmp_lt_u64_e32 vcc, s[88:89], v[1:2]
	v_add_u32_e32 v3, 15, v34
	v_cndmask_b32_e64 v28, 0, 1, vcc
	v_cndmask_b32_e32 v3, v30, v3, vcc
	v_lshrrev_b64 v[1:2], v28, v[1:2]
; %bb.10478:                            ;   in Loop: Header=BB4_9739 Depth=3
	s_andn2_saveexec_b64 s[40:41], s[40:41]
; %bb.10479:                            ;   in Loop: Header=BB4_9739 Depth=3
	v_bfe_u32 v3, v1, 23, 1
; %bb.10480:                            ;   in Loop: Header=BB4_9739 Depth=3
	s_or_b64 exec, exec, s[40:41]
	v_lshrrev_b64 v[1:2], 21, v[1:2]
	v_cmp_gt_i32_e32 vcc, 32, v3
	v_cndmask_b32_e32 v2, 0, v2, vcc
	v_cndmask_b32_e32 v1, 3, v1, vcc
	v_cmp_eq_u64_e64 s[40:41], 0, v[1:2]
	v_min_i32_e32 v2, 31, v3
	v_lshlrev_b32_e32 v2, 2, v2
	v_cmp_eq_u32_e32 vcc, 0, v3
	v_and_b32_e32 v2, 0xfc, v2
	v_and_or_b32 v1, v1, 3, v2
	s_and_b64 s[40:41], vcc, s[40:41]
	v_cndmask_b32_e64 v1, v1, 0, s[40:41]
	v_or_b32_e32 v30, v1, v9
.LBB4_10481:                            ;   in Loop: Header=BB4_9739 Depth=3
	s_or_b64 exec, exec, s[48:49]
                                        ; implicit-def: $vgpr9
.LBB4_10482:                            ;   in Loop: Header=BB4_9739 Depth=3
	s_andn2_saveexec_b64 s[40:41], s[38:39]
; %bb.10483:                            ;   in Loop: Header=BB4_9739 Depth=3
	v_or_b32_e32 v30, 0x7b, v9
; %bb.10484:                            ;   in Loop: Header=BB4_9739 Depth=3
	s_or_b64 exec, exec, s[40:41]
                                        ; implicit-def: $vgpr3
                                        ; implicit-def: $vgpr1_vgpr2
.LBB4_10485:                            ;   in Loop: Header=BB4_9739 Depth=3
	s_andn2_saveexec_b64 s[40:41], s[42:43]
	s_cbranch_execz .LBB4_10491
; %bb.10486:                            ;   in Loop: Header=BB4_9739 Depth=3
	v_cmp_ne_u64_e32 vcc, 0, v[1:2]
                                        ; implicit-def: $vgpr30
	s_and_saveexec_b64 s[42:43], vcc
	s_xor_b64 s[42:43], exec, s[42:43]
; %bb.10487:                            ;   in Loop: Header=BB4_9739 Depth=3
	v_or_b32_sdwa v30, v3, s47 dst_sel:DWORD dst_unused:UNUSED_PAD src0_sel:BYTE_3 src1_sel:DWORD
                                        ; implicit-def: $vgpr3
; %bb.10488:                            ;   in Loop: Header=BB4_9739 Depth=3
	s_andn2_saveexec_b64 s[42:43], s[42:43]
; %bb.10489:                            ;   in Loop: Header=BB4_9739 Depth=3
	v_cmp_lt_i32_e32 vcc, -1, v3
	v_bfrev_b32_e32 v1, 0.5
	v_cndmask_b32_e32 v30, v1, v52, vcc
; %bb.10490:                            ;   in Loop: Header=BB4_9739 Depth=3
	s_or_b64 exec, exec, s[42:43]
.LBB4_10491:                            ;   in Loop: Header=BB4_9739 Depth=3
	s_or_b64 exec, exec, s[40:41]
	v_lshrrev_b16_e32 v1, 8, v4
	v_cmp_ne_u16_e32 vcc, 0, v1
	v_mov_b32_e32 v3, 0
	s_and_saveexec_b64 s[40:41], vcc
	s_cbranch_execz .LBB4_10499
; %bb.10492:                            ;   in Loop: Header=BB4_9739 Depth=3
	v_cmp_ne_u16_e32 vcc, s96, v1
	v_bfrev_b32_e32 v3, 1
	s_and_saveexec_b64 s[42:43], vcc
	s_cbranch_execz .LBB4_10498
; %bb.10493:                            ;   in Loop: Header=BB4_9739 Depth=3
	v_and_b32_e32 v2, 0x7c, v1
	v_and_b32_e32 v9, 3, v1
	v_cmp_ne_u32_e32 vcc, s85, v2
                                        ; implicit-def: $vgpr3
	s_and_saveexec_b64 s[38:39], vcc
	s_xor_b64 s[38:39], exec, s[38:39]
	s_cbranch_execz .LBB4_10495
; %bb.10494:                            ;   in Loop: Header=BB4_9739 Depth=3
	v_ffbh_u32_e32 v28, v9
	v_min_u32_e32 v28, 32, v28
	v_mov_b32_e32 v2, v17
	v_subrev_u32_e32 v29, 29, v28
	v_bfe_u32 v3, v1, 2, 5
	v_lshlrev_b64 v[1:2], v29, v[1:2]
	v_sub_u32_e32 v2, 30, v28
	v_cmp_eq_u32_e32 vcc, 0, v3
	v_cndmask_b32_e32 v2, v3, v2, vcc
	v_lshlrev_b32_e32 v3, 16, v4
	v_and_b32_e32 v1, 3, v1
	v_and_b32_e32 v3, 0x80000000, v3
	v_cndmask_b32_e32 v1, v9, v1, vcc
	v_lshl_add_u32 v2, v2, 23, v3
	v_lshl_or_b32 v1, v1, 21, v2
	v_add_u32_e32 v3, 0x38000000, v1
                                        ; implicit-def: $vgpr9
                                        ; implicit-def: $vgpr4
.LBB4_10495:                            ;   in Loop: Header=BB4_9739 Depth=3
	s_andn2_saveexec_b64 s[38:39], s[38:39]
; %bb.10496:                            ;   in Loop: Header=BB4_9739 Depth=3
	v_cmp_lt_i16_e32 vcc, -1, v4
	v_mov_b32_e32 v1, 0xff800000
	v_mov_b32_e32 v2, 0x7f800000
	v_cndmask_b32_e32 v1, v1, v2, vcc
	v_cmp_eq_u32_e32 vcc, 0, v9
	v_mov_b32_e32 v2, 0x7f800001
	v_cndmask_b32_e32 v3, v2, v1, vcc
; %bb.10497:                            ;   in Loop: Header=BB4_9739 Depth=3
	s_or_b64 exec, exec, s[38:39]
.LBB4_10498:                            ;   in Loop: Header=BB4_9739 Depth=3
	s_or_b64 exec, exec, s[42:43]
.LBB4_10499:                            ;   in Loop: Header=BB4_9739 Depth=3
	s_or_b64 exec, exec, s[40:41]
	v_lshrrev_b16_e32 v1, 8, v10
	v_cmp_lt_i16_e32 vcc, s47, v1
	s_mov_b64 s[40:41], 0
	s_and_saveexec_b64 s[42:43], vcc
	s_xor_b64 s[42:43], exec, s[42:43]
	s_cbranch_execz .LBB4_10734
; %bb.10500:                            ;   in Loop: Header=BB4_9739 Depth=3
	v_cmp_eq_u16_e32 vcc, s96, v1
	s_mov_b64 s[40:41], -1
	s_and_saveexec_b64 s[38:39], vcc
; %bb.10501:                            ;   in Loop: Header=BB4_9739 Depth=3
	s_xor_b64 s[40:41], exec, -1
; %bb.10502:                            ;   in Loop: Header=BB4_9739 Depth=3
	s_or_b64 exec, exec, s[38:39]
	s_and_b64 s[40:41], s[40:41], exec
	s_or_saveexec_b64 s[42:43], s[42:43]
	v_bfrev_b32_e32 v2, 1
	s_xor_b64 exec, exec, s[42:43]
	s_cbranch_execnz .LBB4_10735
.LBB4_10503:                            ;   in Loop: Header=BB4_9739 Depth=3
	s_or_b64 exec, exec, s[42:43]
	s_and_saveexec_b64 s[38:39], s[40:41]
	s_cbranch_execz .LBB4_10505
.LBB4_10504:                            ;   in Loop: Header=BB4_9739 Depth=3
	v_and_b32_e32 v4, 3, v1
	v_and_b32_e32 v28, 0x7c, v1
	v_cmp_eq_u32_e32 vcc, s85, v28
	v_ffbh_u32_e32 v28, v4
	v_min_u32_e32 v28, 32, v28
	v_mov_b32_e32 v2, v17
	v_subrev_u32_e32 v29, 29, v28
	v_bfe_u32 v9, v1, 2, 5
	v_lshlrev_b64 v[48:49], v29, v[1:2]
	v_cmp_eq_u32_e64 s[40:41], 0, v9
	v_sub_u32_e32 v2, 30, v28
	v_lshlrev_b32_e32 v1, 24, v1
	v_and_b32_e32 v28, 3, v48
	v_cndmask_b32_e64 v2, v9, v2, s[40:41]
	v_and_b32_e32 v1, 0x80000000, v1
	v_cndmask_b32_e64 v9, v4, v28, s[40:41]
	v_lshl_add_u32 v1, v2, 23, v1
	v_cmp_eq_u32_e64 s[40:41], 0, v4
	v_cmp_lt_i16_e64 s[42:43], -1, v10
	v_mov_b32_e32 v2, 0xff800000
	v_mov_b32_e32 v4, 0x7f800000
	v_lshl_or_b32 v1, v9, 21, v1
	v_cndmask_b32_e64 v2, v2, v4, s[42:43]
	v_mov_b32_e32 v4, 0x7f800001
	v_add_u32_e32 v1, 0x38000000, v1
	v_cndmask_b32_e64 v2, v4, v2, s[40:41]
	v_cndmask_b32_e32 v2, v1, v2, vcc
.LBB4_10505:                            ;   in Loop: Header=BB4_9739 Depth=3
	s_or_b64 exec, exec, s[38:39]
	v_add_f32_e32 v3, v3, v2
	v_and_b32_e32 v48, 0x7f800000, v3
	v_mov_b32_e32 v49, v17
	v_cmp_ne_u64_e32 vcc, s[76:77], v[48:49]
	v_and_b32_e32 v1, 0x7fffff, v3
	v_mov_b32_e32 v2, v17
                                        ; implicit-def: $vgpr34
	s_and_saveexec_b64 s[40:41], vcc
	s_xor_b64 s[42:43], exec, s[40:41]
	s_cbranch_execz .LBB4_10519
; %bb.10506:                            ;   in Loop: Header=BB4_9739 Depth=3
	v_and_b32_e32 v48, 0x7fffffff, v3
	v_mov_b32_e32 v49, v17
	v_cmp_gt_u64_e32 vcc, s[78:79], v[48:49]
	v_and_b32_sdwa v4, v3, s96 dst_sel:DWORD dst_unused:UNUSED_PAD src0_sel:BYTE_3 src1_sel:DWORD
                                        ; implicit-def: $vgpr34
	s_and_saveexec_b64 s[40:41], vcc
	s_xor_b64 s[38:39], exec, s[40:41]
	s_cbranch_execz .LBB4_10516
; %bb.10507:                            ;   in Loop: Header=BB4_9739 Depth=3
	v_mov_b32_e32 v34, 0
	v_cmp_ne_u32_e32 vcc, 0, v3
	s_and_saveexec_b64 s[48:49], vcc
	s_cbranch_execz .LBB4_10515
; %bb.10508:                            ;   in Loop: Header=BB4_9739 Depth=3
	v_bfe_u32 v9, v3, 23, 8
	v_cmp_gt_u32_e64 s[40:41], s46, v9
	v_sub_u32_e32 v3, 0x71, v9
	v_cmp_eq_u32_e32 vcc, 0, v9
	v_cndmask_b32_e64 v3, 0, v3, s[40:41]
	v_mov_b32_e32 v29, 0x70
	v_cndmask_b32_e32 v34, v3, v29, vcc
	v_add_u32_e32 v3, 21, v34
	v_or_b32_e32 v28, 0x800000, v1
	v_lshlrev_b64 v[48:49], v3, -1
	v_cndmask_b32_e32 v1, v28, v1, vcc
	v_add_u32_e32 v3, 20, v34
	v_bfi_b32 v48, v48, 0, v1
	v_lshlrev_b64 v[53:54], v3, 1
	v_lshrrev_b64 v[1:2], v34, v[1:2]
	v_bfi_b32 v49, v49, 0, 0
	v_cmp_eq_u64_e64 s[40:41], v[48:49], v[53:54]
	v_mov_b32_e32 v3, v2
	v_mov_b32_e32 v2, v1
	s_and_saveexec_b64 s[50:51], s[40:41]
; %bb.10509:                            ;   in Loop: Header=BB4_9739 Depth=3
	v_bfe_u32 v2, v1, 21, 1
	v_add_co_u32_e64 v2, s[40:41], v1, v2
	v_add_co_u32_e64 v2, s[40:41], -1, v2
; %bb.10510:                            ;   in Loop: Header=BB4_9739 Depth=3
	s_or_b64 exec, exec, s[50:51]
	v_add_u32_e32 v3, 0xffffff81, v9
	v_mov_b32_e32 v9, 0xffffff82
	v_cndmask_b32_e32 v3, v3, v9, vcc
	v_lshrrev_b32_e32 v9, 23, v1
	v_add3_u32 v34, v34, v3, v9
	v_add_u32_e32 v9, 14, v34
	v_and_b32_e32 v2, 0x1fffff, v2
	v_add_u32_e32 v1, v2, v1
	v_mov_b32_e32 v2, v17
	v_cmp_ne_u32_e32 vcc, 0, v9
                                        ; implicit-def: $vgpr3
	s_and_saveexec_b64 s[40:41], vcc
	s_xor_b64 s[40:41], exec, s[40:41]
; %bb.10511:                            ;   in Loop: Header=BB4_9739 Depth=3
	v_cmp_lt_u64_e32 vcc, s[88:89], v[1:2]
	v_add_u32_e32 v3, 15, v34
	v_cndmask_b32_e32 v3, v9, v3, vcc
	v_cndmask_b32_e64 v9, 0, 1, vcc
	v_lshrrev_b64 v[1:2], v9, v[1:2]
; %bb.10512:                            ;   in Loop: Header=BB4_9739 Depth=3
	s_andn2_saveexec_b64 s[40:41], s[40:41]
; %bb.10513:                            ;   in Loop: Header=BB4_9739 Depth=3
	v_bfe_u32 v3, v1, 23, 1
; %bb.10514:                            ;   in Loop: Header=BB4_9739 Depth=3
	s_or_b64 exec, exec, s[40:41]
	v_lshrrev_b64 v[1:2], 21, v[1:2]
	v_cmp_gt_i32_e32 vcc, 32, v3
	v_cndmask_b32_e32 v2, 0, v2, vcc
	v_cndmask_b32_e32 v1, 3, v1, vcc
	v_cmp_eq_u64_e64 s[40:41], 0, v[1:2]
	v_min_i32_e32 v2, 31, v3
	v_lshlrev_b32_e32 v2, 2, v2
	v_cmp_eq_u32_e32 vcc, 0, v3
	v_and_b32_e32 v2, 0xfc, v2
	v_and_or_b32 v1, v1, 3, v2
	s_and_b64 s[40:41], vcc, s[40:41]
	v_cndmask_b32_e64 v1, v1, 0, s[40:41]
	v_or_b32_e32 v34, v1, v4
.LBB4_10515:                            ;   in Loop: Header=BB4_9739 Depth=3
	s_or_b64 exec, exec, s[48:49]
                                        ; implicit-def: $vgpr4
.LBB4_10516:                            ;   in Loop: Header=BB4_9739 Depth=3
	s_andn2_saveexec_b64 s[40:41], s[38:39]
; %bb.10517:                            ;   in Loop: Header=BB4_9739 Depth=3
	v_or_b32_e32 v34, 0x7b, v4
; %bb.10518:                            ;   in Loop: Header=BB4_9739 Depth=3
	s_or_b64 exec, exec, s[40:41]
                                        ; implicit-def: $vgpr3
                                        ; implicit-def: $vgpr1_vgpr2
.LBB4_10519:                            ;   in Loop: Header=BB4_9739 Depth=3
	s_andn2_saveexec_b64 s[40:41], s[42:43]
	s_cbranch_execz .LBB4_10525
; %bb.10520:                            ;   in Loop: Header=BB4_9739 Depth=3
	v_cmp_ne_u64_e32 vcc, 0, v[1:2]
                                        ; implicit-def: $vgpr34
	s_and_saveexec_b64 s[42:43], vcc
	s_xor_b64 s[42:43], exec, s[42:43]
; %bb.10521:                            ;   in Loop: Header=BB4_9739 Depth=3
	v_or_b32_sdwa v34, v3, s47 dst_sel:DWORD dst_unused:UNUSED_PAD src0_sel:BYTE_3 src1_sel:DWORD
                                        ; implicit-def: $vgpr3
; %bb.10522:                            ;   in Loop: Header=BB4_9739 Depth=3
	s_andn2_saveexec_b64 s[42:43], s[42:43]
; %bb.10523:                            ;   in Loop: Header=BB4_9739 Depth=3
	v_cmp_lt_i32_e32 vcc, -1, v3
	v_bfrev_b32_e32 v1, 0.5
	v_cndmask_b32_e32 v34, v1, v52, vcc
; %bb.10524:                            ;   in Loop: Header=BB4_9739 Depth=3
	s_or_b64 exec, exec, s[42:43]
.LBB4_10525:                            ;   in Loop: Header=BB4_9739 Depth=3
	s_or_b64 exec, exec, s[40:41]
	v_and_b32_sdwa v3, v0, s87 dst_sel:DWORD dst_unused:UNUSED_PAD src0_sel:WORD_1 src1_sel:DWORD
	v_lshrrev_b32_e32 v1, 16, v0
	v_cmp_ne_u16_e32 vcc, 0, v3
	v_mov_b32_e32 v2, 0
	s_and_saveexec_b64 s[40:41], vcc
	s_cbranch_execz .LBB4_10533
; %bb.10526:                            ;   in Loop: Header=BB4_9739 Depth=3
	v_cmp_ne_u16_e32 vcc, s96, v3
	v_bfrev_b32_e32 v2, 1
	s_and_saveexec_b64 s[42:43], vcc
	s_cbranch_execz .LBB4_10532
; %bb.10527:                            ;   in Loop: Header=BB4_9739 Depth=3
	v_and_b32_e32 v2, 0x7c0000, v0
	v_bfe_u32 v3, v0, 16, 2
	v_cmp_ne_u32_e32 vcc, s44, v2
                                        ; implicit-def: $vgpr2
	s_and_saveexec_b64 s[38:39], vcc
	s_xor_b64 s[38:39], exec, s[38:39]
	s_cbranch_execz .LBB4_10529
; %bb.10528:                            ;   in Loop: Header=BB4_9739 Depth=3
	v_ffbh_u32_e32 v2, v3
	v_min_u32_e32 v9, 32, v2
	v_subrev_u32_e32 v2, 29, v9
	v_lshlrev_b64 v[1:2], v2, v[1:2]
	v_bfe_u32 v4, v0, 18, 5
	v_and_b32_e32 v1, 3, v1
	v_cmp_eq_u32_e32 vcc, 0, v4
	v_sub_u32_e32 v2, 30, v9
	v_cndmask_b32_e32 v1, v3, v1, vcc
	v_lshlrev_b32_e32 v3, 8, v0
	v_cndmask_b32_e32 v2, v4, v2, vcc
	v_and_b32_e32 v3, 0x80000000, v3
	v_lshl_add_u32 v2, v2, 23, v3
	v_lshl_or_b32 v1, v1, 21, v2
	v_add_u32_e32 v2, 0x38000000, v1
                                        ; implicit-def: $vgpr3
                                        ; implicit-def: $vgpr1
.LBB4_10529:                            ;   in Loop: Header=BB4_9739 Depth=3
	s_andn2_saveexec_b64 s[38:39], s[38:39]
; %bb.10530:                            ;   in Loop: Header=BB4_9739 Depth=3
	v_mov_b32_e32 v2, -1
	v_cmp_gt_i16_sdwa vcc, sext(v1), v2 src0_sel:BYTE_0 src1_sel:DWORD
	v_mov_b32_e32 v1, 0xff800000
	v_mov_b32_e32 v2, 0x7f800000
	v_cndmask_b32_e32 v1, v1, v2, vcc
	v_cmp_eq_u32_e32 vcc, 0, v3
	v_mov_b32_e32 v2, 0x7f800001
	v_cndmask_b32_e32 v2, v2, v1, vcc
; %bb.10531:                            ;   in Loop: Header=BB4_9739 Depth=3
	s_or_b64 exec, exec, s[38:39]
.LBB4_10532:                            ;   in Loop: Header=BB4_9739 Depth=3
	s_or_b64 exec, exec, s[42:43]
.LBB4_10533:                            ;   in Loop: Header=BB4_9739 Depth=3
	s_or_b64 exec, exec, s[40:41]
	v_lshrrev_b32_e32 v1, 16, v10
	v_cmp_gt_i16_sdwa s[42:43], v1, s47 src0_sel:BYTE_0 src1_sel:DWORD
	s_mov_b64 s[40:41], 0
	s_and_saveexec_b64 vcc, s[42:43]
	s_xor_b64 s[42:43], exec, vcc
	s_cbranch_execz .LBB4_10736
; %bb.10534:                            ;   in Loop: Header=BB4_9739 Depth=3
	v_cmp_eq_u16_sdwa s[38:39], v1, s96 src0_sel:BYTE_0 src1_sel:DWORD
	s_mov_b64 s[40:41], -1
	s_and_saveexec_b64 vcc, s[38:39]
; %bb.10535:                            ;   in Loop: Header=BB4_9739 Depth=3
	s_xor_b64 s[40:41], exec, -1
; %bb.10536:                            ;   in Loop: Header=BB4_9739 Depth=3
	s_or_b64 exec, exec, vcc
	s_and_b64 s[40:41], s[40:41], exec
	s_or_saveexec_b64 s[42:43], s[42:43]
	v_bfrev_b32_e32 v3, 1
	s_xor_b64 exec, exec, s[42:43]
	s_cbranch_execnz .LBB4_10737
.LBB4_10537:                            ;   in Loop: Header=BB4_9739 Depth=3
	s_or_b64 exec, exec, s[42:43]
	s_and_saveexec_b64 s[38:39], s[40:41]
	s_cbranch_execz .LBB4_10539
.LBB4_10538:                            ;   in Loop: Header=BB4_9739 Depth=3
	v_and_b32_e32 v9, 3, v1
	v_and_b32_e32 v3, 0x7c0000, v10
	v_cmp_eq_u32_e32 vcc, s44, v3
	v_ffbh_u32_e32 v3, v9
	v_min_u32_e32 v29, 32, v3
	v_subrev_u32_e32 v3, 29, v29
	v_bfe_u32 v28, v10, 18, 5
	v_lshlrev_b64 v[3:4], v3, v[1:2]
	v_cmp_eq_u32_e64 s[40:41], 0, v28
	v_sub_u32_e32 v4, 30, v29
	v_cndmask_b32_e64 v4, v28, v4, s[40:41]
	v_lshlrev_b32_e32 v28, 24, v1
	v_and_b32_e32 v3, 3, v3
	v_and_b32_e32 v28, 0x80000000, v28
	v_cndmask_b32_e64 v3, v9, v3, s[40:41]
	v_lshl_add_u32 v4, v4, 23, v28
	v_lshl_or_b32 v3, v3, 21, v4
	v_mov_b32_e32 v4, -1
	v_cmp_gt_i16_sdwa s[42:43], sext(v1), v4 src0_sel:BYTE_0 src1_sel:DWORD
	v_mov_b32_e32 v1, 0xff800000
	v_mov_b32_e32 v4, 0x7f800000
	v_cmp_eq_u32_e64 s[40:41], 0, v9
	v_cndmask_b32_e64 v1, v1, v4, s[42:43]
	v_mov_b32_e32 v4, 0x7f800001
	v_add_u32_e32 v3, 0x38000000, v3
	v_cndmask_b32_e64 v1, v4, v1, s[40:41]
	v_cndmask_b32_e32 v3, v3, v1, vcc
.LBB4_10539:                            ;   in Loop: Header=BB4_9739 Depth=3
	s_or_b64 exec, exec, s[38:39]
	v_add_f32_e32 v3, v2, v3
	v_and_b32_e32 v48, 0x7f800000, v3
	v_mov_b32_e32 v49, v17
	v_cmp_ne_u64_e32 vcc, s[76:77], v[48:49]
	v_and_b32_e32 v1, 0x7fffff, v3
	v_mov_b32_e32 v2, v17
                                        ; implicit-def: $vgpr37
	s_and_saveexec_b64 s[40:41], vcc
	s_xor_b64 s[42:43], exec, s[40:41]
	s_cbranch_execz .LBB4_10553
; %bb.10540:                            ;   in Loop: Header=BB4_9739 Depth=3
	v_and_b32_e32 v48, 0x7fffffff, v3
	v_mov_b32_e32 v49, v17
	v_cmp_gt_u64_e32 vcc, s[78:79], v[48:49]
	v_and_b32_sdwa v4, v3, s96 dst_sel:DWORD dst_unused:UNUSED_PAD src0_sel:BYTE_3 src1_sel:DWORD
                                        ; implicit-def: $vgpr37
	s_and_saveexec_b64 s[40:41], vcc
	s_xor_b64 s[38:39], exec, s[40:41]
	s_cbranch_execz .LBB4_10550
; %bb.10541:                            ;   in Loop: Header=BB4_9739 Depth=3
	v_mov_b32_e32 v37, 0
	v_cmp_ne_u32_e32 vcc, 0, v3
	s_and_saveexec_b64 s[48:49], vcc
	s_cbranch_execz .LBB4_10549
; %bb.10542:                            ;   in Loop: Header=BB4_9739 Depth=3
	v_bfe_u32 v9, v3, 23, 8
	v_cmp_gt_u32_e64 s[40:41], s46, v9
	v_sub_u32_e32 v3, 0x71, v9
	v_cmp_eq_u32_e32 vcc, 0, v9
	v_cndmask_b32_e64 v3, 0, v3, s[40:41]
	v_mov_b32_e32 v29, 0x70
	v_cndmask_b32_e32 v37, v3, v29, vcc
	v_add_u32_e32 v3, 21, v37
	v_or_b32_e32 v28, 0x800000, v1
	v_lshlrev_b64 v[48:49], v3, -1
	v_cndmask_b32_e32 v1, v28, v1, vcc
	v_add_u32_e32 v3, 20, v37
	v_bfi_b32 v48, v48, 0, v1
	v_lshlrev_b64 v[53:54], v3, 1
	v_lshrrev_b64 v[1:2], v37, v[1:2]
	v_bfi_b32 v49, v49, 0, 0
	v_cmp_eq_u64_e64 s[40:41], v[48:49], v[53:54]
	v_mov_b32_e32 v3, v2
	v_mov_b32_e32 v2, v1
	s_and_saveexec_b64 s[50:51], s[40:41]
; %bb.10543:                            ;   in Loop: Header=BB4_9739 Depth=3
	v_bfe_u32 v2, v1, 21, 1
	v_add_co_u32_e64 v2, s[40:41], v1, v2
	v_add_co_u32_e64 v2, s[40:41], -1, v2
; %bb.10544:                            ;   in Loop: Header=BB4_9739 Depth=3
	s_or_b64 exec, exec, s[50:51]
	v_add_u32_e32 v3, 0xffffff81, v9
	v_mov_b32_e32 v9, 0xffffff82
	v_cndmask_b32_e32 v3, v3, v9, vcc
	v_lshrrev_b32_e32 v9, 23, v1
	v_add3_u32 v37, v37, v3, v9
	v_add_u32_e32 v9, 14, v37
	v_and_b32_e32 v2, 0x1fffff, v2
	v_add_u32_e32 v1, v2, v1
	v_mov_b32_e32 v2, v17
	v_cmp_ne_u32_e32 vcc, 0, v9
                                        ; implicit-def: $vgpr3
	s_and_saveexec_b64 s[40:41], vcc
	s_xor_b64 s[40:41], exec, s[40:41]
; %bb.10545:                            ;   in Loop: Header=BB4_9739 Depth=3
	v_cmp_lt_u64_e32 vcc, s[88:89], v[1:2]
	v_add_u32_e32 v3, 15, v37
	v_cndmask_b32_e32 v3, v9, v3, vcc
	v_cndmask_b32_e64 v9, 0, 1, vcc
	v_lshrrev_b64 v[1:2], v9, v[1:2]
; %bb.10546:                            ;   in Loop: Header=BB4_9739 Depth=3
	s_andn2_saveexec_b64 s[40:41], s[40:41]
; %bb.10547:                            ;   in Loop: Header=BB4_9739 Depth=3
	v_bfe_u32 v3, v1, 23, 1
; %bb.10548:                            ;   in Loop: Header=BB4_9739 Depth=3
	s_or_b64 exec, exec, s[40:41]
	v_lshrrev_b64 v[1:2], 21, v[1:2]
	v_cmp_gt_i32_e32 vcc, 32, v3
	v_cndmask_b32_e32 v2, 0, v2, vcc
	v_cndmask_b32_e32 v1, 3, v1, vcc
	v_cmp_eq_u64_e64 s[40:41], 0, v[1:2]
	v_min_i32_e32 v2, 31, v3
	v_lshlrev_b32_e32 v2, 2, v2
	v_cmp_eq_u32_e32 vcc, 0, v3
	v_and_b32_e32 v2, 0xfc, v2
	v_and_or_b32 v1, v1, 3, v2
	s_and_b64 s[40:41], vcc, s[40:41]
	v_cndmask_b32_e64 v1, v1, 0, s[40:41]
	v_or_b32_e32 v37, v1, v4
.LBB4_10549:                            ;   in Loop: Header=BB4_9739 Depth=3
	s_or_b64 exec, exec, s[48:49]
                                        ; implicit-def: $vgpr4
.LBB4_10550:                            ;   in Loop: Header=BB4_9739 Depth=3
	s_andn2_saveexec_b64 s[40:41], s[38:39]
; %bb.10551:                            ;   in Loop: Header=BB4_9739 Depth=3
	v_or_b32_e32 v37, 0x7b, v4
; %bb.10552:                            ;   in Loop: Header=BB4_9739 Depth=3
	s_or_b64 exec, exec, s[40:41]
                                        ; implicit-def: $vgpr3
                                        ; implicit-def: $vgpr1_vgpr2
.LBB4_10553:                            ;   in Loop: Header=BB4_9739 Depth=3
	s_andn2_saveexec_b64 s[40:41], s[42:43]
	s_cbranch_execz .LBB4_10559
; %bb.10554:                            ;   in Loop: Header=BB4_9739 Depth=3
	v_cmp_ne_u64_e32 vcc, 0, v[1:2]
                                        ; implicit-def: $vgpr37
	s_and_saveexec_b64 s[42:43], vcc
	s_xor_b64 s[42:43], exec, s[42:43]
; %bb.10555:                            ;   in Loop: Header=BB4_9739 Depth=3
	v_or_b32_sdwa v37, v3, s47 dst_sel:DWORD dst_unused:UNUSED_PAD src0_sel:BYTE_3 src1_sel:DWORD
                                        ; implicit-def: $vgpr3
; %bb.10556:                            ;   in Loop: Header=BB4_9739 Depth=3
	s_andn2_saveexec_b64 s[42:43], s[42:43]
; %bb.10557:                            ;   in Loop: Header=BB4_9739 Depth=3
	v_cmp_lt_i32_e32 vcc, -1, v3
	v_bfrev_b32_e32 v1, 0.5
	v_cndmask_b32_e32 v37, v1, v52, vcc
; %bb.10558:                            ;   in Loop: Header=BB4_9739 Depth=3
	s_or_b64 exec, exec, s[42:43]
.LBB4_10559:                            ;   in Loop: Header=BB4_9739 Depth=3
	s_or_b64 exec, exec, s[40:41]
	v_cmp_lt_u32_e32 vcc, s57, v0
	v_mov_b32_e32 v2, 0
	s_and_saveexec_b64 s[40:41], vcc
	s_cbranch_execz .LBB4_10567
; %bb.10560:                            ;   in Loop: Header=BB4_9739 Depth=3
	v_lshrrev_b32_e32 v1, 24, v0
	v_cmp_ne_u32_e32 vcc, s96, v1
	v_bfrev_b32_e32 v2, 1
	s_and_saveexec_b64 s[42:43], vcc
	s_cbranch_execz .LBB4_10566
; %bb.10561:                            ;   in Loop: Header=BB4_9739 Depth=3
	v_and_b32_e32 v2, 0x7c000000, v0
	v_bfe_u32 v3, v0, 24, 2
	v_cmp_ne_u32_e32 vcc, s45, v2
                                        ; implicit-def: $vgpr2
	s_and_saveexec_b64 s[38:39], vcc
	s_xor_b64 s[38:39], exec, s[38:39]
	s_cbranch_execz .LBB4_10563
; %bb.10562:                            ;   in Loop: Header=BB4_9739 Depth=3
	v_ffbh_u32_e32 v2, v3
	v_min_u32_e32 v9, 32, v2
	v_subrev_u32_e32 v2, 29, v9
	v_bfe_u32 v4, v0, 26, 5
	v_lshlrev_b64 v[1:2], v2, v[1:2]
	v_sub_u32_e32 v2, 30, v9
	v_cmp_eq_u32_e32 vcc, 0, v4
	v_and_b32_e32 v1, 3, v1
	v_cndmask_b32_e32 v2, v4, v2, vcc
	v_and_b32_e32 v0, 0x80000000, v0
	v_cndmask_b32_e32 v1, v3, v1, vcc
	v_lshl_add_u32 v0, v2, 23, v0
	v_lshl_or_b32 v0, v1, 21, v0
	v_add_u32_e32 v2, 0x38000000, v0
                                        ; implicit-def: $vgpr3
                                        ; implicit-def: $vgpr0_vgpr1
.LBB4_10563:                            ;   in Loop: Header=BB4_9739 Depth=3
	s_andn2_saveexec_b64 s[38:39], s[38:39]
; %bb.10564:                            ;   in Loop: Header=BB4_9739 Depth=3
	v_cmp_lt_i32_e32 vcc, -1, v0
	v_mov_b32_e32 v0, 0xff800000
	v_mov_b32_e32 v1, 0x7f800000
	v_cndmask_b32_e32 v0, v0, v1, vcc
	v_cmp_eq_u32_e32 vcc, 0, v3
	v_mov_b32_e32 v1, 0x7f800001
	v_cndmask_b32_e32 v2, v1, v0, vcc
; %bb.10565:                            ;   in Loop: Header=BB4_9739 Depth=3
	s_or_b64 exec, exec, s[38:39]
.LBB4_10566:                            ;   in Loop: Header=BB4_9739 Depth=3
	s_or_b64 exec, exec, s[42:43]
.LBB4_10567:                            ;   in Loop: Header=BB4_9739 Depth=3
	s_or_b64 exec, exec, s[40:41]
	v_bfe_u32 v1, v10, 24, 2
	v_and_b32_e32 v3, 0x7c000000, v10
	v_cmp_eq_u32_e32 vcc, s45, v3
	v_ffbh_u32_e32 v3, v1
	v_min_u32_e32 v28, 32, v3
	v_lshrrev_b32_e32 v0, 24, v10
	v_subrev_u32_e32 v3, 29, v28
	v_bfe_u32 v9, v10, 26, 5
	v_lshlrev_b64 v[3:4], v3, v[0:1]
	v_cmp_eq_u32_e64 s[40:41], 0, v9
	v_sub_u32_e32 v4, 30, v28
	v_and_b32_e32 v3, 3, v3
	v_cndmask_b32_e64 v4, v9, v4, s[40:41]
	v_and_b32_e32 v9, 0x80000000, v10
	v_cndmask_b32_e64 v3, v1, v3, s[40:41]
	v_lshl_add_u32 v4, v4, 23, v9
	v_lshl_or_b32 v3, v3, 21, v4
	v_cmp_eq_u32_e64 s[40:41], 0, v1
	v_cmp_lt_i32_e64 s[42:43], -1, v10
	v_mov_b32_e32 v1, 0xff800000
	v_mov_b32_e32 v4, 0x7f800000
	v_cndmask_b32_e64 v1, v1, v4, s[42:43]
	v_mov_b32_e32 v4, 0x7f800001
	v_add_u32_e32 v3, 0x38000000, v3
	v_cndmask_b32_e64 v1, v4, v1, s[40:41]
	v_cndmask_b32_e32 v1, v3, v1, vcc
	v_cmp_ne_u32_e32 vcc, s96, v0
	v_bfrev_b32_e32 v0, 1
	v_cndmask_b32_e32 v0, v0, v1, vcc
	v_cmp_lt_u32_e32 vcc, s57, v10
	v_cndmask_b32_e32 v0, 0, v0, vcc
	v_add_f32_e32 v2, v0, v2
	v_and_b32_e32 v3, 0x7f800000, v2
	v_mov_b32_e32 v4, v17
	v_cmp_ne_u64_e32 vcc, s[76:77], v[3:4]
	v_and_b32_e32 v0, 0x7fffff, v2
	v_mov_b32_e32 v1, v17
                                        ; implicit-def: $vgpr39
	s_and_saveexec_b64 s[40:41], vcc
	s_xor_b64 s[42:43], exec, s[40:41]
	s_cbranch_execz .LBB4_10581
; %bb.10568:                            ;   in Loop: Header=BB4_9739 Depth=3
	v_and_b32_e32 v3, 0x7fffffff, v2
	v_mov_b32_e32 v4, v17
	v_cmp_gt_u64_e32 vcc, s[78:79], v[3:4]
	v_and_b32_sdwa v3, v2, s96 dst_sel:DWORD dst_unused:UNUSED_PAD src0_sel:BYTE_3 src1_sel:DWORD
                                        ; implicit-def: $vgpr39
	s_and_saveexec_b64 s[40:41], vcc
	s_xor_b64 s[38:39], exec, s[40:41]
	s_cbranch_execz .LBB4_10578
; %bb.10569:                            ;   in Loop: Header=BB4_9739 Depth=3
	v_mov_b32_e32 v39, 0
	v_cmp_ne_u32_e32 vcc, 0, v2
	s_and_saveexec_b64 s[48:49], vcc
	s_cbranch_execz .LBB4_10577
; %bb.10570:                            ;   in Loop: Header=BB4_9739 Depth=3
	v_bfe_u32 v4, v2, 23, 8
	v_cmp_gt_u32_e64 s[40:41], s46, v4
	v_sub_u32_e32 v2, 0x71, v4
	v_cmp_eq_u32_e32 vcc, 0, v4
	v_cndmask_b32_e64 v2, 0, v2, s[40:41]
	v_mov_b32_e32 v9, 0x70
	v_cndmask_b32_e32 v9, v2, v9, vcc
	v_add_u32_e32 v2, 21, v9
	v_or_b32_e32 v28, 0x800000, v0
	v_lshlrev_b64 v[48:49], v2, -1
	v_cndmask_b32_e32 v0, v28, v0, vcc
	v_add_u32_e32 v2, 20, v9
	v_bfi_b32 v48, v48, 0, v0
	v_lshlrev_b64 v[53:54], v2, 1
	v_lshrrev_b64 v[0:1], v9, v[0:1]
	v_bfi_b32 v49, v49, 0, 0
	v_cmp_eq_u64_e64 s[40:41], v[48:49], v[53:54]
	v_mov_b32_e32 v2, v1
	v_mov_b32_e32 v1, v0
	s_and_saveexec_b64 s[50:51], s[40:41]
; %bb.10571:                            ;   in Loop: Header=BB4_9739 Depth=3
	v_bfe_u32 v1, v0, 21, 1
	v_add_co_u32_e64 v1, s[40:41], v0, v1
	v_add_co_u32_e64 v1, s[40:41], -1, v1
; %bb.10572:                            ;   in Loop: Header=BB4_9739 Depth=3
	s_or_b64 exec, exec, s[50:51]
	v_add_u32_e32 v2, 0xffffff81, v4
	v_mov_b32_e32 v4, 0xffffff82
	v_cndmask_b32_e32 v2, v2, v4, vcc
	v_lshrrev_b32_e32 v4, 23, v0
	v_add3_u32 v9, v9, v2, v4
	v_add_u32_e32 v4, 14, v9
	v_and_b32_e32 v1, 0x1fffff, v1
	v_add_u32_e32 v0, v1, v0
	v_mov_b32_e32 v1, v17
	v_cmp_ne_u32_e32 vcc, 0, v4
                                        ; implicit-def: $vgpr2
	s_and_saveexec_b64 s[40:41], vcc
	s_xor_b64 s[40:41], exec, s[40:41]
; %bb.10573:                            ;   in Loop: Header=BB4_9739 Depth=3
	v_cmp_lt_u64_e32 vcc, s[88:89], v[0:1]
	v_add_u32_e32 v2, 15, v9
	v_cndmask_b32_e32 v2, v4, v2, vcc
	v_cndmask_b32_e64 v4, 0, 1, vcc
	v_lshrrev_b64 v[0:1], v4, v[0:1]
; %bb.10574:                            ;   in Loop: Header=BB4_9739 Depth=3
	s_andn2_saveexec_b64 s[40:41], s[40:41]
; %bb.10575:                            ;   in Loop: Header=BB4_9739 Depth=3
	v_bfe_u32 v2, v0, 23, 1
; %bb.10576:                            ;   in Loop: Header=BB4_9739 Depth=3
	s_or_b64 exec, exec, s[40:41]
	v_lshrrev_b64 v[0:1], 21, v[0:1]
	v_cmp_gt_i32_e32 vcc, 32, v2
	v_cndmask_b32_e32 v1, 0, v1, vcc
	v_cndmask_b32_e32 v0, 3, v0, vcc
	v_cmp_eq_u64_e64 s[40:41], 0, v[0:1]
	v_min_i32_e32 v1, 31, v2
	v_lshlrev_b32_e32 v1, 2, v1
	v_cmp_eq_u32_e32 vcc, 0, v2
	v_and_b32_e32 v1, 0xfc, v1
	v_and_or_b32 v0, v0, 3, v1
	s_and_b64 s[40:41], vcc, s[40:41]
	v_cndmask_b32_e64 v0, v0, 0, s[40:41]
	v_or_b32_e32 v39, v0, v3
.LBB4_10577:                            ;   in Loop: Header=BB4_9739 Depth=3
	s_or_b64 exec, exec, s[48:49]
                                        ; implicit-def: $vgpr3
.LBB4_10578:                            ;   in Loop: Header=BB4_9739 Depth=3
	s_andn2_saveexec_b64 s[40:41], s[38:39]
; %bb.10579:                            ;   in Loop: Header=BB4_9739 Depth=3
	v_or_b32_e32 v39, 0x7b, v3
; %bb.10580:                            ;   in Loop: Header=BB4_9739 Depth=3
	s_or_b64 exec, exec, s[40:41]
                                        ; implicit-def: $vgpr2
                                        ; implicit-def: $vgpr0_vgpr1
.LBB4_10581:                            ;   in Loop: Header=BB4_9739 Depth=3
	s_andn2_saveexec_b64 s[40:41], s[42:43]
	s_cbranch_execz .LBB4_10587
; %bb.10582:                            ;   in Loop: Header=BB4_9739 Depth=3
	v_cmp_ne_u64_e32 vcc, 0, v[0:1]
                                        ; implicit-def: $vgpr39
	s_and_saveexec_b64 s[42:43], vcc
	s_xor_b64 s[42:43], exec, s[42:43]
; %bb.10583:                            ;   in Loop: Header=BB4_9739 Depth=3
	v_or_b32_sdwa v39, v2, s47 dst_sel:DWORD dst_unused:UNUSED_PAD src0_sel:BYTE_3 src1_sel:DWORD
                                        ; implicit-def: $vgpr2
; %bb.10584:                            ;   in Loop: Header=BB4_9739 Depth=3
	s_andn2_saveexec_b64 s[42:43], s[42:43]
; %bb.10585:                            ;   in Loop: Header=BB4_9739 Depth=3
	v_cmp_lt_i32_e32 vcc, -1, v2
	v_bfrev_b32_e32 v0, 0.5
	v_cndmask_b32_e32 v39, v0, v52, vcc
; %bb.10586:                            ;   in Loop: Header=BB4_9739 Depth=3
	s_or_b64 exec, exec, s[42:43]
.LBB4_10587:                            ;   in Loop: Header=BB4_9739 Depth=3
	s_or_b64 exec, exec, s[40:41]
	v_lshlrev_b32_e32 v0, 24, v36
	v_lshlrev_b32_e32 v1, 16, v33
	v_lshl_or_b32 v9, v31, 8, v26
	v_or3_b32 v0, v1, v0, v9
	v_mov_b32_e32 v1, v17
	v_cmp_ne_u32_e32 vcc, 0, v26
	v_mov_b32_e32 v3, 0
	s_and_saveexec_b64 s[42:43], vcc
	s_cbranch_execz .LBB4_10595
; %bb.10588:                            ;   in Loop: Header=BB4_9739 Depth=3
	v_cmp_ne_u32_e32 vcc, s96, v26
	v_bfrev_b32_e32 v3, 1
	s_and_saveexec_b64 s[38:39], vcc
	s_cbranch_execz .LBB4_10594
; %bb.10589:                            ;   in Loop: Header=BB4_9739 Depth=3
	v_and_b32_e32 v3, 0x7c, v26
	v_and_b32_e32 v2, 3, v26
	v_cmp_ne_u32_e32 vcc, s85, v3
                                        ; implicit-def: $vgpr3
	s_and_saveexec_b64 s[40:41], vcc
	s_xor_b64 s[40:41], exec, s[40:41]
	s_cbranch_execz .LBB4_10591
; %bb.10590:                            ;   in Loop: Header=BB4_9739 Depth=3
	v_ffbh_u32_e32 v3, v2
	v_min_u32_e32 v29, 32, v3
	v_subrev_u32_e32 v3, 29, v29
	v_lshlrev_b64 v[3:4], v3, v[0:1]
	v_bfe_u32 v28, v26, 2, 5
	v_and_b32_e32 v3, 3, v3
	v_cmp_eq_u32_e32 vcc, 0, v28
	v_sub_u32_e32 v1, 30, v29
	v_cndmask_b32_e32 v2, v2, v3, vcc
	v_lshlrev_b32_e32 v3, 24, v26
	v_cndmask_b32_e32 v1, v28, v1, vcc
	v_and_b32_e32 v3, 0x80000000, v3
	v_lshl_add_u32 v1, v1, 23, v3
	v_lshl_or_b32 v1, v2, 21, v1
	v_add_u32_e32 v3, 0x38000000, v1
                                        ; implicit-def: $vgpr2
                                        ; implicit-def: $vgpr26
.LBB4_10591:                            ;   in Loop: Header=BB4_9739 Depth=3
	s_andn2_saveexec_b64 s[48:49], s[40:41]
; %bb.10592:                            ;   in Loop: Header=BB4_9739 Depth=3
	v_and_b32_e32 v1, 0x80, v26
	v_cmp_eq_u32_e32 vcc, 0, v2
	v_cmp_eq_u32_e64 s[40:41], 0, v1
	v_mov_b32_e32 v1, 0xff800000
	v_mov_b32_e32 v2, 0x7f800000
	v_cndmask_b32_e64 v1, v1, v2, s[40:41]
	v_mov_b32_e32 v2, 0x7f800001
	v_cndmask_b32_e32 v3, v2, v1, vcc
; %bb.10593:                            ;   in Loop: Header=BB4_9739 Depth=3
	s_or_b64 exec, exec, s[48:49]
.LBB4_10594:                            ;   in Loop: Header=BB4_9739 Depth=3
	s_or_b64 exec, exec, s[38:39]
.LBB4_10595:                            ;   in Loop: Header=BB4_9739 Depth=3
	s_or_b64 exec, exec, s[42:43]
	v_cmp_gt_i16_sdwa s[42:43], v11, s47 src0_sel:BYTE_0 src1_sel:DWORD
	s_mov_b64 s[40:41], 0
	s_and_saveexec_b64 vcc, s[42:43]
	s_xor_b64 s[42:43], exec, vcc
	s_cbranch_execz .LBB4_10599
; %bb.10596:                            ;   in Loop: Header=BB4_9739 Depth=3
	v_cmp_eq_u16_sdwa s[38:39], v11, s96 src0_sel:BYTE_0 src1_sel:DWORD
	s_mov_b64 s[40:41], -1
	s_and_saveexec_b64 vcc, s[38:39]
; %bb.10597:                            ;   in Loop: Header=BB4_9739 Depth=3
	s_xor_b64 s[40:41], exec, -1
; %bb.10598:                            ;   in Loop: Header=BB4_9739 Depth=3
	s_or_b64 exec, exec, vcc
	s_and_b64 s[40:41], s[40:41], exec
.LBB4_10599:                            ;   in Loop: Header=BB4_9739 Depth=3
	s_or_saveexec_b64 s[42:43], s[42:43]
	v_bfrev_b32_e32 v4, 1
	s_xor_b64 exec, exec, s[42:43]
; %bb.10600:                            ;   in Loop: Header=BB4_9739 Depth=3
	v_cmp_ne_u16_sdwa vcc, v11, v17 src0_sel:BYTE_0 src1_sel:DWORD
	s_andn2_b64 s[40:41], s[40:41], exec
	s_and_b64 vcc, vcc, exec
	v_mov_b32_e32 v4, 0
	s_or_b64 s[40:41], s[40:41], vcc
; %bb.10601:                            ;   in Loop: Header=BB4_9739 Depth=3
	s_or_b64 exec, exec, s[42:43]
	v_mov_b32_e32 v1, v11
	v_mov_b32_e32 v2, v17
	s_and_saveexec_b64 s[38:39], s[40:41]
	s_cbranch_execz .LBB4_10603
; %bb.10602:                            ;   in Loop: Header=BB4_9739 Depth=3
	v_and_b32_e32 v4, 3, v11
	v_and_b32_e32 v28, 0x7c, v11
	v_cmp_eq_u32_e32 vcc, s85, v28
	v_ffbh_u32_e32 v28, v4
	v_min_u32_e32 v28, 32, v28
	v_subrev_u32_e32 v29, 29, v28
	v_lshlrev_b64 v[48:49], v29, v[1:2]
	v_bfe_u32 v26, v11, 2, 5
	v_cmp_eq_u32_e64 s[40:41], 0, v26
	v_sub_u32_e32 v2, 30, v28
	v_and_b32_e32 v28, 3, v48
	v_cndmask_b32_e64 v2, v26, v2, s[40:41]
	v_cndmask_b32_e64 v26, v4, v28, s[40:41]
	v_lshlrev_b32_e32 v28, 24, v11
	v_and_b32_e32 v28, 0x80000000, v28
	v_lshl_add_u32 v2, v2, 23, v28
	v_cmp_eq_u32_e64 s[40:41], 0, v4
	v_mov_b32_e32 v4, -1
	v_lshl_or_b32 v2, v26, 21, v2
	v_cmp_gt_i16_sdwa s[42:43], sext(v11), v4 src0_sel:BYTE_0 src1_sel:DWORD
	v_mov_b32_e32 v4, 0xff800000
	v_mov_b32_e32 v26, 0x7f800000
	v_cndmask_b32_e64 v4, v4, v26, s[42:43]
	v_mov_b32_e32 v26, 0x7f800001
	v_add_u32_e32 v2, 0x38000000, v2
	v_cndmask_b32_e64 v4, v26, v4, s[40:41]
	v_cndmask_b32_e32 v4, v2, v4, vcc
.LBB4_10603:                            ;   in Loop: Header=BB4_9739 Depth=3
	s_or_b64 exec, exec, s[38:39]
	v_add_f32_e32 v31, v3, v4
	v_and_b32_e32 v3, 0x7f800000, v31
	v_mov_b32_e32 v4, v17
	v_cmp_ne_u64_e32 vcc, s[76:77], v[3:4]
	v_and_b32_e32 v2, 0x7fffff, v31
	v_mov_b32_e32 v3, v17
                                        ; implicit-def: $vgpr4
	s_and_saveexec_b64 s[40:41], vcc
	s_xor_b64 s[42:43], exec, s[40:41]
	s_cbranch_execz .LBB4_10617
; %bb.10604:                            ;   in Loop: Header=BB4_9739 Depth=3
	v_and_b32_e32 v48, 0x7fffffff, v31
	v_mov_b32_e32 v49, v17
	v_cmp_gt_u64_e32 vcc, s[78:79], v[48:49]
	v_and_b32_sdwa v26, v31, s96 dst_sel:DWORD dst_unused:UNUSED_PAD src0_sel:BYTE_3 src1_sel:DWORD
                                        ; implicit-def: $vgpr4
	s_and_saveexec_b64 s[40:41], vcc
	s_xor_b64 s[38:39], exec, s[40:41]
	s_cbranch_execz .LBB4_10614
; %bb.10605:                            ;   in Loop: Header=BB4_9739 Depth=3
	v_mov_b32_e32 v4, 0
	v_cmp_ne_u32_e32 vcc, 0, v31
	s_and_saveexec_b64 s[48:49], vcc
	s_cbranch_execz .LBB4_10613
; %bb.10606:                            ;   in Loop: Header=BB4_9739 Depth=3
	v_bfe_u32 v31, v31, 23, 8
	v_cmp_gt_u32_e64 s[40:41], s46, v31
	v_sub_u32_e32 v4, 0x71, v31
	v_cmp_eq_u32_e32 vcc, 0, v31
	v_cndmask_b32_e64 v4, 0, v4, s[40:41]
	v_mov_b32_e32 v29, 0x70
	v_cndmask_b32_e32 v33, v4, v29, vcc
	v_add_u32_e32 v4, 21, v33
	v_or_b32_e32 v28, 0x800000, v2
	v_lshlrev_b64 v[48:49], v4, -1
	v_cndmask_b32_e32 v2, v28, v2, vcc
	v_add_u32_e32 v4, 20, v33
	v_bfi_b32 v48, v48, 0, v2
	v_lshlrev_b64 v[53:54], v4, 1
	v_lshrrev_b64 v[2:3], v33, v[2:3]
	v_bfi_b32 v49, v49, 0, 0
	v_cmp_eq_u64_e64 s[40:41], v[48:49], v[53:54]
	v_mov_b32_e32 v4, v3
	v_mov_b32_e32 v3, v2
	s_and_saveexec_b64 s[50:51], s[40:41]
; %bb.10607:                            ;   in Loop: Header=BB4_9739 Depth=3
	v_bfe_u32 v3, v2, 21, 1
	v_add_co_u32_e64 v3, s[40:41], v2, v3
	v_add_co_u32_e64 v3, s[40:41], -1, v3
; %bb.10608:                            ;   in Loop: Header=BB4_9739 Depth=3
	s_or_b64 exec, exec, s[50:51]
	v_add_u32_e32 v4, 0xffffff81, v31
	v_mov_b32_e32 v28, 0xffffff82
	v_cndmask_b32_e32 v4, v4, v28, vcc
	v_lshrrev_b32_e32 v28, 23, v2
	v_add3_u32 v33, v33, v4, v28
	v_add_u32_e32 v31, 14, v33
	v_and_b32_e32 v3, 0x1fffff, v3
	v_add_u32_e32 v2, v3, v2
	v_mov_b32_e32 v3, v17
	v_cmp_ne_u32_e32 vcc, 0, v31
                                        ; implicit-def: $vgpr4
	s_and_saveexec_b64 s[40:41], vcc
	s_xor_b64 s[40:41], exec, s[40:41]
; %bb.10609:                            ;   in Loop: Header=BB4_9739 Depth=3
	v_cmp_lt_u64_e32 vcc, s[88:89], v[2:3]
	v_add_u32_e32 v4, 15, v33
	v_cndmask_b32_e64 v28, 0, 1, vcc
	v_cndmask_b32_e32 v4, v31, v4, vcc
	v_lshrrev_b64 v[2:3], v28, v[2:3]
; %bb.10610:                            ;   in Loop: Header=BB4_9739 Depth=3
	s_andn2_saveexec_b64 s[40:41], s[40:41]
; %bb.10611:                            ;   in Loop: Header=BB4_9739 Depth=3
	v_bfe_u32 v4, v2, 23, 1
; %bb.10612:                            ;   in Loop: Header=BB4_9739 Depth=3
	s_or_b64 exec, exec, s[40:41]
	v_lshrrev_b64 v[2:3], 21, v[2:3]
	v_cmp_gt_i32_e32 vcc, 32, v4
	v_cndmask_b32_e32 v3, 0, v3, vcc
	v_cndmask_b32_e32 v2, 3, v2, vcc
	v_cmp_eq_u64_e64 s[40:41], 0, v[2:3]
	v_min_i32_e32 v3, 31, v4
	v_lshlrev_b32_e32 v3, 2, v3
	v_cmp_eq_u32_e32 vcc, 0, v4
	v_and_b32_e32 v3, 0xfc, v3
	v_and_or_b32 v2, v2, 3, v3
	s_and_b64 s[40:41], vcc, s[40:41]
	v_cndmask_b32_e64 v2, v2, 0, s[40:41]
	v_or_b32_e32 v4, v2, v26
.LBB4_10613:                            ;   in Loop: Header=BB4_9739 Depth=3
	s_or_b64 exec, exec, s[48:49]
                                        ; implicit-def: $vgpr26
.LBB4_10614:                            ;   in Loop: Header=BB4_9739 Depth=3
	s_andn2_saveexec_b64 s[40:41], s[38:39]
; %bb.10615:                            ;   in Loop: Header=BB4_9739 Depth=3
	v_or_b32_e32 v4, 0x7b, v26
; %bb.10616:                            ;   in Loop: Header=BB4_9739 Depth=3
	s_or_b64 exec, exec, s[40:41]
                                        ; implicit-def: $vgpr31
                                        ; implicit-def: $vgpr2_vgpr3
.LBB4_10617:                            ;   in Loop: Header=BB4_9739 Depth=3
	s_andn2_saveexec_b64 s[40:41], s[42:43]
	s_cbranch_execz .LBB4_10623
; %bb.10618:                            ;   in Loop: Header=BB4_9739 Depth=3
	v_cmp_ne_u64_e32 vcc, 0, v[2:3]
                                        ; implicit-def: $vgpr4
	s_and_saveexec_b64 s[42:43], vcc
	s_xor_b64 s[42:43], exec, s[42:43]
; %bb.10619:                            ;   in Loop: Header=BB4_9739 Depth=3
	v_or_b32_sdwa v4, v31, s47 dst_sel:DWORD dst_unused:UNUSED_PAD src0_sel:BYTE_3 src1_sel:DWORD
                                        ; implicit-def: $vgpr31
; %bb.10620:                            ;   in Loop: Header=BB4_9739 Depth=3
	s_andn2_saveexec_b64 s[42:43], s[42:43]
; %bb.10621:                            ;   in Loop: Header=BB4_9739 Depth=3
	v_cmp_lt_i32_e32 vcc, -1, v31
	v_bfrev_b32_e32 v2, 0.5
	v_cndmask_b32_e32 v4, v2, v52, vcc
; %bb.10622:                            ;   in Loop: Header=BB4_9739 Depth=3
	s_or_b64 exec, exec, s[42:43]
.LBB4_10623:                            ;   in Loop: Header=BB4_9739 Depth=3
	s_or_b64 exec, exec, s[40:41]
	v_lshrrev_b16_e32 v2, 8, v9
	v_cmp_ne_u16_e32 vcc, 0, v2
	v_mov_b32_e32 v26, 0
	s_and_saveexec_b64 s[40:41], vcc
	s_cbranch_execz .LBB4_10631
; %bb.10624:                            ;   in Loop: Header=BB4_9739 Depth=3
	v_cmp_ne_u16_e32 vcc, s96, v2
	v_bfrev_b32_e32 v26, 1
	s_and_saveexec_b64 s[42:43], vcc
	s_cbranch_execz .LBB4_10630
; %bb.10625:                            ;   in Loop: Header=BB4_9739 Depth=3
	v_and_b32_e32 v3, 0x7c, v2
	v_and_b32_e32 v31, 3, v2
	v_cmp_ne_u32_e32 vcc, s85, v3
                                        ; implicit-def: $vgpr26
	s_and_saveexec_b64 s[38:39], vcc
	s_xor_b64 s[38:39], exec, s[38:39]
	s_cbranch_execz .LBB4_10627
; %bb.10626:                            ;   in Loop: Header=BB4_9739 Depth=3
	v_ffbh_u32_e32 v28, v31
	v_min_u32_e32 v28, 32, v28
	v_mov_b32_e32 v3, v17
	v_subrev_u32_e32 v29, 29, v28
	v_bfe_u32 v26, v2, 2, 5
	v_lshlrev_b64 v[2:3], v29, v[2:3]
	v_sub_u32_e32 v3, 30, v28
	v_cmp_eq_u32_e32 vcc, 0, v26
	v_lshlrev_b32_e32 v9, 16, v9
	v_and_b32_e32 v2, 3, v2
	v_cndmask_b32_e32 v3, v26, v3, vcc
	v_and_b32_e32 v9, 0x80000000, v9
	v_cndmask_b32_e32 v2, v31, v2, vcc
	v_lshl_add_u32 v3, v3, 23, v9
	v_lshl_or_b32 v2, v2, 21, v3
	v_add_u32_e32 v26, 0x38000000, v2
                                        ; implicit-def: $vgpr31
                                        ; implicit-def: $vgpr9
.LBB4_10627:                            ;   in Loop: Header=BB4_9739 Depth=3
	s_andn2_saveexec_b64 s[38:39], s[38:39]
; %bb.10628:                            ;   in Loop: Header=BB4_9739 Depth=3
	v_cmp_lt_i16_e32 vcc, -1, v9
	v_mov_b32_e32 v2, 0xff800000
	v_mov_b32_e32 v3, 0x7f800000
	v_cndmask_b32_e32 v2, v2, v3, vcc
	v_cmp_eq_u32_e32 vcc, 0, v31
	v_mov_b32_e32 v3, 0x7f800001
	v_cndmask_b32_e32 v26, v3, v2, vcc
; %bb.10629:                            ;   in Loop: Header=BB4_9739 Depth=3
	s_or_b64 exec, exec, s[38:39]
.LBB4_10630:                            ;   in Loop: Header=BB4_9739 Depth=3
	s_or_b64 exec, exec, s[42:43]
.LBB4_10631:                            ;   in Loop: Header=BB4_9739 Depth=3
	s_or_b64 exec, exec, s[40:41]
	v_lshrrev_b16_e32 v2, 8, v1
	v_cmp_lt_i16_e32 vcc, s47, v2
	s_mov_b64 s[40:41], 0
	s_and_saveexec_b64 s[42:43], vcc
	s_xor_b64 s[42:43], exec, s[42:43]
	s_cbranch_execz .LBB4_10738
; %bb.10632:                            ;   in Loop: Header=BB4_9739 Depth=3
	v_cmp_eq_u16_e32 vcc, s96, v2
	s_mov_b64 s[40:41], -1
	s_and_saveexec_b64 s[38:39], vcc
; %bb.10633:                            ;   in Loop: Header=BB4_9739 Depth=3
	s_xor_b64 s[40:41], exec, -1
; %bb.10634:                            ;   in Loop: Header=BB4_9739 Depth=3
	s_or_b64 exec, exec, s[38:39]
	s_and_b64 s[40:41], s[40:41], exec
	s_or_saveexec_b64 s[42:43], s[42:43]
	v_bfrev_b32_e32 v3, 1
	s_xor_b64 exec, exec, s[42:43]
	s_cbranch_execnz .LBB4_10739
.LBB4_10635:                            ;   in Loop: Header=BB4_9739 Depth=3
	s_or_b64 exec, exec, s[42:43]
	s_and_saveexec_b64 s[38:39], s[40:41]
	s_cbranch_execz .LBB4_10637
.LBB4_10636:                            ;   in Loop: Header=BB4_9739 Depth=3
	v_and_b32_e32 v9, 3, v2
	v_and_b32_e32 v29, 0x7c, v2
	v_cmp_eq_u32_e32 vcc, s85, v29
	v_ffbh_u32_e32 v29, v9
	v_min_u32_e32 v29, 32, v29
	v_mov_b32_e32 v3, v17
	v_subrev_u32_e32 v31, 29, v29
	v_bfe_u32 v28, v2, 2, 5
	v_lshlrev_b64 v[48:49], v31, v[2:3]
	v_cmp_eq_u32_e64 s[40:41], 0, v28
	v_sub_u32_e32 v3, 30, v29
	v_lshlrev_b32_e32 v2, 24, v2
	v_and_b32_e32 v29, 3, v48
	v_cndmask_b32_e64 v3, v28, v3, s[40:41]
	v_and_b32_e32 v2, 0x80000000, v2
	v_cndmask_b32_e64 v28, v9, v29, s[40:41]
	v_lshl_add_u32 v2, v3, 23, v2
	v_cmp_lt_i16_e64 s[42:43], -1, v1
	v_mov_b32_e32 v1, 0xff800000
	v_mov_b32_e32 v3, 0x7f800000
	v_lshl_or_b32 v2, v28, 21, v2
	v_cmp_eq_u32_e64 s[40:41], 0, v9
	v_cndmask_b32_e64 v1, v1, v3, s[42:43]
	v_mov_b32_e32 v3, 0x7f800001
	v_add_u32_e32 v2, 0x38000000, v2
	v_cndmask_b32_e64 v1, v3, v1, s[40:41]
	v_cndmask_b32_e32 v3, v2, v1, vcc
.LBB4_10637:                            ;   in Loop: Header=BB4_9739 Depth=3
	s_or_b64 exec, exec, s[38:39]
	v_add_f32_e32 v3, v26, v3
	v_and_b32_e32 v48, 0x7f800000, v3
	v_mov_b32_e32 v49, v17
	v_cmp_ne_u64_e32 vcc, s[76:77], v[48:49]
	v_and_b32_e32 v1, 0x7fffff, v3
	v_mov_b32_e32 v2, v17
                                        ; implicit-def: $vgpr26
	s_and_saveexec_b64 s[40:41], vcc
	s_xor_b64 s[42:43], exec, s[40:41]
	s_cbranch_execz .LBB4_10651
; %bb.10638:                            ;   in Loop: Header=BB4_9739 Depth=3
	v_and_b32_e32 v48, 0x7fffffff, v3
	v_mov_b32_e32 v49, v17
	v_cmp_gt_u64_e32 vcc, s[78:79], v[48:49]
	v_and_b32_sdwa v9, v3, s96 dst_sel:DWORD dst_unused:UNUSED_PAD src0_sel:BYTE_3 src1_sel:DWORD
                                        ; implicit-def: $vgpr26
	s_and_saveexec_b64 s[40:41], vcc
	s_xor_b64 s[38:39], exec, s[40:41]
	s_cbranch_execz .LBB4_10648
; %bb.10639:                            ;   in Loop: Header=BB4_9739 Depth=3
	v_mov_b32_e32 v26, 0
	v_cmp_ne_u32_e32 vcc, 0, v3
	s_and_saveexec_b64 s[48:49], vcc
	s_cbranch_execz .LBB4_10647
; %bb.10640:                            ;   in Loop: Header=BB4_9739 Depth=3
	v_bfe_u32 v26, v3, 23, 8
	v_cmp_gt_u32_e64 s[40:41], s46, v26
	v_sub_u32_e32 v3, 0x71, v26
	v_cmp_eq_u32_e32 vcc, 0, v26
	v_cndmask_b32_e64 v3, 0, v3, s[40:41]
	v_mov_b32_e32 v29, 0x70
	v_cndmask_b32_e32 v31, v3, v29, vcc
	v_add_u32_e32 v3, 21, v31
	v_or_b32_e32 v28, 0x800000, v1
	v_lshlrev_b64 v[48:49], v3, -1
	v_cndmask_b32_e32 v1, v28, v1, vcc
	v_add_u32_e32 v3, 20, v31
	v_bfi_b32 v48, v48, 0, v1
	v_lshlrev_b64 v[53:54], v3, 1
	v_lshrrev_b64 v[1:2], v31, v[1:2]
	v_bfi_b32 v49, v49, 0, 0
	v_cmp_eq_u64_e64 s[40:41], v[48:49], v[53:54]
	v_mov_b32_e32 v3, v2
	v_mov_b32_e32 v2, v1
	s_and_saveexec_b64 s[50:51], s[40:41]
; %bb.10641:                            ;   in Loop: Header=BB4_9739 Depth=3
	v_bfe_u32 v2, v1, 21, 1
	v_add_co_u32_e64 v2, s[40:41], v1, v2
	v_add_co_u32_e64 v2, s[40:41], -1, v2
; %bb.10642:                            ;   in Loop: Header=BB4_9739 Depth=3
	s_or_b64 exec, exec, s[50:51]
	v_add_u32_e32 v3, 0xffffff81, v26
	v_mov_b32_e32 v26, 0xffffff82
	v_cndmask_b32_e32 v3, v3, v26, vcc
	v_lshrrev_b32_e32 v26, 23, v1
	v_add3_u32 v31, v31, v3, v26
	v_add_u32_e32 v26, 14, v31
	v_and_b32_e32 v2, 0x1fffff, v2
	v_add_u32_e32 v1, v2, v1
	v_mov_b32_e32 v2, v17
	v_cmp_ne_u32_e32 vcc, 0, v26
                                        ; implicit-def: $vgpr3
	s_and_saveexec_b64 s[40:41], vcc
	s_xor_b64 s[40:41], exec, s[40:41]
; %bb.10643:                            ;   in Loop: Header=BB4_9739 Depth=3
	v_cmp_lt_u64_e32 vcc, s[88:89], v[1:2]
	v_add_u32_e32 v3, 15, v31
	v_cndmask_b32_e32 v3, v26, v3, vcc
	v_cndmask_b32_e64 v26, 0, 1, vcc
	v_lshrrev_b64 v[1:2], v26, v[1:2]
; %bb.10644:                            ;   in Loop: Header=BB4_9739 Depth=3
	s_andn2_saveexec_b64 s[40:41], s[40:41]
; %bb.10645:                            ;   in Loop: Header=BB4_9739 Depth=3
	v_bfe_u32 v3, v1, 23, 1
; %bb.10646:                            ;   in Loop: Header=BB4_9739 Depth=3
	s_or_b64 exec, exec, s[40:41]
	v_lshrrev_b64 v[1:2], 21, v[1:2]
	v_cmp_gt_i32_e32 vcc, 32, v3
	v_cndmask_b32_e32 v2, 0, v2, vcc
	v_cndmask_b32_e32 v1, 3, v1, vcc
	v_cmp_eq_u64_e64 s[40:41], 0, v[1:2]
	v_min_i32_e32 v2, 31, v3
	v_lshlrev_b32_e32 v2, 2, v2
	v_cmp_eq_u32_e32 vcc, 0, v3
	v_and_b32_e32 v2, 0xfc, v2
	v_and_or_b32 v1, v1, 3, v2
	s_and_b64 s[40:41], vcc, s[40:41]
	v_cndmask_b32_e64 v1, v1, 0, s[40:41]
	v_or_b32_e32 v26, v1, v9
.LBB4_10647:                            ;   in Loop: Header=BB4_9739 Depth=3
	s_or_b64 exec, exec, s[48:49]
                                        ; implicit-def: $vgpr9
.LBB4_10648:                            ;   in Loop: Header=BB4_9739 Depth=3
	s_andn2_saveexec_b64 s[40:41], s[38:39]
; %bb.10649:                            ;   in Loop: Header=BB4_9739 Depth=3
	v_or_b32_e32 v26, 0x7b, v9
; %bb.10650:                            ;   in Loop: Header=BB4_9739 Depth=3
	s_or_b64 exec, exec, s[40:41]
                                        ; implicit-def: $vgpr3
                                        ; implicit-def: $vgpr1_vgpr2
.LBB4_10651:                            ;   in Loop: Header=BB4_9739 Depth=3
	s_andn2_saveexec_b64 s[40:41], s[42:43]
	s_cbranch_execz .LBB4_10657
; %bb.10652:                            ;   in Loop: Header=BB4_9739 Depth=3
	v_cmp_ne_u64_e32 vcc, 0, v[1:2]
                                        ; implicit-def: $vgpr26
	s_and_saveexec_b64 s[42:43], vcc
	s_xor_b64 s[42:43], exec, s[42:43]
; %bb.10653:                            ;   in Loop: Header=BB4_9739 Depth=3
	v_or_b32_sdwa v26, v3, s47 dst_sel:DWORD dst_unused:UNUSED_PAD src0_sel:BYTE_3 src1_sel:DWORD
                                        ; implicit-def: $vgpr3
; %bb.10654:                            ;   in Loop: Header=BB4_9739 Depth=3
	s_andn2_saveexec_b64 s[42:43], s[42:43]
; %bb.10655:                            ;   in Loop: Header=BB4_9739 Depth=3
	v_cmp_lt_i32_e32 vcc, -1, v3
	v_bfrev_b32_e32 v1, 0.5
	v_cndmask_b32_e32 v26, v1, v52, vcc
; %bb.10656:                            ;   in Loop: Header=BB4_9739 Depth=3
	s_or_b64 exec, exec, s[42:43]
.LBB4_10657:                            ;   in Loop: Header=BB4_9739 Depth=3
	s_or_b64 exec, exec, s[40:41]
	v_and_b32_sdwa v3, v0, s87 dst_sel:DWORD dst_unused:UNUSED_PAD src0_sel:WORD_1 src1_sel:DWORD
	v_lshrrev_b32_e32 v1, 16, v0
	v_cmp_ne_u16_e32 vcc, 0, v3
	v_mov_b32_e32 v2, 0
	s_and_saveexec_b64 s[40:41], vcc
	s_cbranch_execz .LBB4_10665
; %bb.10658:                            ;   in Loop: Header=BB4_9739 Depth=3
	v_cmp_ne_u16_e32 vcc, s96, v3
	v_bfrev_b32_e32 v2, 1
	s_and_saveexec_b64 s[42:43], vcc
	s_cbranch_execz .LBB4_10664
; %bb.10659:                            ;   in Loop: Header=BB4_9739 Depth=3
	v_and_b32_e32 v2, 0x7c0000, v0
	v_bfe_u32 v3, v0, 16, 2
	v_cmp_ne_u32_e32 vcc, s44, v2
                                        ; implicit-def: $vgpr2
	s_and_saveexec_b64 s[38:39], vcc
	s_xor_b64 s[38:39], exec, s[38:39]
	s_cbranch_execz .LBB4_10661
; %bb.10660:                            ;   in Loop: Header=BB4_9739 Depth=3
	v_ffbh_u32_e32 v2, v3
	v_min_u32_e32 v28, 32, v2
	v_subrev_u32_e32 v2, 29, v28
	v_lshlrev_b64 v[1:2], v2, v[1:2]
	v_bfe_u32 v9, v0, 18, 5
	v_and_b32_e32 v1, 3, v1
	v_cmp_eq_u32_e32 vcc, 0, v9
	v_sub_u32_e32 v2, 30, v28
	v_cndmask_b32_e32 v1, v3, v1, vcc
	v_lshlrev_b32_e32 v3, 8, v0
	v_cndmask_b32_e32 v2, v9, v2, vcc
	v_and_b32_e32 v3, 0x80000000, v3
	v_lshl_add_u32 v2, v2, 23, v3
	v_lshl_or_b32 v1, v1, 21, v2
	v_add_u32_e32 v2, 0x38000000, v1
                                        ; implicit-def: $vgpr3
                                        ; implicit-def: $vgpr1
.LBB4_10661:                            ;   in Loop: Header=BB4_9739 Depth=3
	s_andn2_saveexec_b64 s[38:39], s[38:39]
; %bb.10662:                            ;   in Loop: Header=BB4_9739 Depth=3
	v_mov_b32_e32 v2, -1
	v_cmp_gt_i16_sdwa vcc, sext(v1), v2 src0_sel:BYTE_0 src1_sel:DWORD
	v_mov_b32_e32 v1, 0xff800000
	v_mov_b32_e32 v2, 0x7f800000
	v_cndmask_b32_e32 v1, v1, v2, vcc
	v_cmp_eq_u32_e32 vcc, 0, v3
	v_mov_b32_e32 v2, 0x7f800001
	v_cndmask_b32_e32 v2, v2, v1, vcc
; %bb.10663:                            ;   in Loop: Header=BB4_9739 Depth=3
	s_or_b64 exec, exec, s[38:39]
.LBB4_10664:                            ;   in Loop: Header=BB4_9739 Depth=3
	s_or_b64 exec, exec, s[42:43]
.LBB4_10665:                            ;   in Loop: Header=BB4_9739 Depth=3
	s_or_b64 exec, exec, s[40:41]
	v_lshrrev_b32_e32 v1, 16, v11
	v_cmp_gt_i16_sdwa s[42:43], v1, s47 src0_sel:BYTE_0 src1_sel:DWORD
	s_mov_b64 s[40:41], 0
	s_and_saveexec_b64 vcc, s[42:43]
	s_xor_b64 s[42:43], exec, vcc
	s_cbranch_execz .LBB4_10740
; %bb.10666:                            ;   in Loop: Header=BB4_9739 Depth=3
	v_cmp_eq_u16_sdwa s[38:39], v1, s96 src0_sel:BYTE_0 src1_sel:DWORD
	s_mov_b64 s[40:41], -1
	s_and_saveexec_b64 vcc, s[38:39]
; %bb.10667:                            ;   in Loop: Header=BB4_9739 Depth=3
	s_xor_b64 s[40:41], exec, -1
; %bb.10668:                            ;   in Loop: Header=BB4_9739 Depth=3
	s_or_b64 exec, exec, vcc
	s_and_b64 s[40:41], s[40:41], exec
	s_or_saveexec_b64 s[42:43], s[42:43]
	v_bfrev_b32_e32 v3, 1
	s_xor_b64 exec, exec, s[42:43]
	s_cbranch_execnz .LBB4_10741
.LBB4_10669:                            ;   in Loop: Header=BB4_9739 Depth=3
	s_or_b64 exec, exec, s[42:43]
	s_and_saveexec_b64 s[38:39], s[40:41]
	s_cbranch_execz .LBB4_10671
.LBB4_10670:                            ;   in Loop: Header=BB4_9739 Depth=3
	v_and_b32_e32 v3, 3, v1
	v_and_b32_e32 v28, 0x7c0000, v11
	v_cmp_eq_u32_e32 vcc, s44, v28
	v_ffbh_u32_e32 v28, v3
	v_min_u32_e32 v28, 32, v28
	v_subrev_u32_e32 v29, 29, v28
	v_lshlrev_b64 v[48:49], v29, v[1:2]
	v_bfe_u32 v9, v11, 18, 5
	v_cmp_eq_u32_e64 s[40:41], 0, v9
	v_sub_u32_e32 v28, 30, v28
	v_and_b32_e32 v29, 3, v48
	v_cndmask_b32_e64 v9, v9, v28, s[40:41]
	v_cndmask_b32_e64 v28, v3, v29, s[40:41]
	v_lshlrev_b32_e32 v29, 24, v1
	v_and_b32_e32 v29, 0x80000000, v29
	v_cmp_eq_u32_e64 s[40:41], 0, v3
	v_mov_b32_e32 v3, -1
	v_lshl_add_u32 v9, v9, 23, v29
	v_cmp_gt_i16_sdwa s[42:43], sext(v1), v3 src0_sel:BYTE_0 src1_sel:DWORD
	v_mov_b32_e32 v1, 0xff800000
	v_mov_b32_e32 v3, 0x7f800000
	v_lshl_or_b32 v9, v28, 21, v9
	v_cndmask_b32_e64 v1, v1, v3, s[42:43]
	v_mov_b32_e32 v3, 0x7f800001
	v_add_u32_e32 v9, 0x38000000, v9
	v_cndmask_b32_e64 v1, v3, v1, s[40:41]
	v_cndmask_b32_e32 v3, v9, v1, vcc
.LBB4_10671:                            ;   in Loop: Header=BB4_9739 Depth=3
	s_or_b64 exec, exec, s[38:39]
	v_add_f32_e32 v31, v2, v3
	v_and_b32_e32 v2, 0x7f800000, v31
	v_mov_b32_e32 v3, v17
	v_cmp_ne_u64_e32 vcc, s[76:77], v[2:3]
	v_and_b32_e32 v1, 0x7fffff, v31
	v_mov_b32_e32 v2, v17
                                        ; implicit-def: $vgpr3
	s_and_saveexec_b64 s[40:41], vcc
	s_xor_b64 s[42:43], exec, s[40:41]
	s_cbranch_execz .LBB4_10685
; %bb.10672:                            ;   in Loop: Header=BB4_9739 Depth=3
	v_and_b32_e32 v48, 0x7fffffff, v31
	v_mov_b32_e32 v49, v17
	v_cmp_gt_u64_e32 vcc, s[78:79], v[48:49]
	v_and_b32_sdwa v9, v31, s96 dst_sel:DWORD dst_unused:UNUSED_PAD src0_sel:BYTE_3 src1_sel:DWORD
                                        ; implicit-def: $vgpr3
	s_and_saveexec_b64 s[40:41], vcc
	s_xor_b64 s[38:39], exec, s[40:41]
	s_cbranch_execz .LBB4_10682
; %bb.10673:                            ;   in Loop: Header=BB4_9739 Depth=3
	v_mov_b32_e32 v3, 0
	v_cmp_ne_u32_e32 vcc, 0, v31
	s_and_saveexec_b64 s[48:49], vcc
	s_cbranch_execz .LBB4_10681
; %bb.10674:                            ;   in Loop: Header=BB4_9739 Depth=3
	v_bfe_u32 v31, v31, 23, 8
	v_cmp_gt_u32_e64 s[40:41], s46, v31
	v_sub_u32_e32 v3, 0x71, v31
	v_cmp_eq_u32_e32 vcc, 0, v31
	v_cndmask_b32_e64 v3, 0, v3, s[40:41]
	v_mov_b32_e32 v29, 0x70
	v_cndmask_b32_e32 v33, v3, v29, vcc
	v_add_u32_e32 v3, 21, v33
	v_or_b32_e32 v28, 0x800000, v1
	v_lshlrev_b64 v[48:49], v3, -1
	v_cndmask_b32_e32 v1, v28, v1, vcc
	v_add_u32_e32 v3, 20, v33
	v_bfi_b32 v48, v48, 0, v1
	v_lshlrev_b64 v[53:54], v3, 1
	v_lshrrev_b64 v[1:2], v33, v[1:2]
	v_bfi_b32 v49, v49, 0, 0
	v_cmp_eq_u64_e64 s[40:41], v[48:49], v[53:54]
	v_mov_b32_e32 v3, v2
	v_mov_b32_e32 v2, v1
	s_and_saveexec_b64 s[50:51], s[40:41]
; %bb.10675:                            ;   in Loop: Header=BB4_9739 Depth=3
	v_bfe_u32 v2, v1, 21, 1
	v_add_co_u32_e64 v2, s[40:41], v1, v2
	v_add_co_u32_e64 v2, s[40:41], -1, v2
; %bb.10676:                            ;   in Loop: Header=BB4_9739 Depth=3
	s_or_b64 exec, exec, s[50:51]
	v_add_u32_e32 v3, 0xffffff81, v31
	v_mov_b32_e32 v28, 0xffffff82
	v_cndmask_b32_e32 v3, v3, v28, vcc
	v_lshrrev_b32_e32 v28, 23, v1
	v_add3_u32 v33, v33, v3, v28
	v_add_u32_e32 v31, 14, v33
	v_and_b32_e32 v2, 0x1fffff, v2
	v_add_u32_e32 v1, v2, v1
	v_mov_b32_e32 v2, v17
	v_cmp_ne_u32_e32 vcc, 0, v31
                                        ; implicit-def: $vgpr3
	s_and_saveexec_b64 s[40:41], vcc
	s_xor_b64 s[40:41], exec, s[40:41]
; %bb.10677:                            ;   in Loop: Header=BB4_9739 Depth=3
	v_cmp_lt_u64_e32 vcc, s[88:89], v[1:2]
	v_add_u32_e32 v3, 15, v33
	v_cndmask_b32_e64 v28, 0, 1, vcc
	v_cndmask_b32_e32 v3, v31, v3, vcc
	v_lshrrev_b64 v[1:2], v28, v[1:2]
; %bb.10678:                            ;   in Loop: Header=BB4_9739 Depth=3
	s_andn2_saveexec_b64 s[40:41], s[40:41]
; %bb.10679:                            ;   in Loop: Header=BB4_9739 Depth=3
	v_bfe_u32 v3, v1, 23, 1
; %bb.10680:                            ;   in Loop: Header=BB4_9739 Depth=3
	s_or_b64 exec, exec, s[40:41]
	v_lshrrev_b64 v[1:2], 21, v[1:2]
	v_cmp_gt_i32_e32 vcc, 32, v3
	v_cndmask_b32_e32 v2, 0, v2, vcc
	v_cndmask_b32_e32 v1, 3, v1, vcc
	v_cmp_eq_u64_e64 s[40:41], 0, v[1:2]
	v_min_i32_e32 v2, 31, v3
	v_lshlrev_b32_e32 v2, 2, v2
	v_cmp_eq_u32_e32 vcc, 0, v3
	v_and_b32_e32 v2, 0xfc, v2
	v_and_or_b32 v1, v1, 3, v2
	s_and_b64 s[40:41], vcc, s[40:41]
	v_cndmask_b32_e64 v1, v1, 0, s[40:41]
	v_or_b32_e32 v3, v1, v9
.LBB4_10681:                            ;   in Loop: Header=BB4_9739 Depth=3
	s_or_b64 exec, exec, s[48:49]
                                        ; implicit-def: $vgpr9
.LBB4_10682:                            ;   in Loop: Header=BB4_9739 Depth=3
	s_andn2_saveexec_b64 s[40:41], s[38:39]
; %bb.10683:                            ;   in Loop: Header=BB4_9739 Depth=3
	v_or_b32_e32 v3, 0x7b, v9
; %bb.10684:                            ;   in Loop: Header=BB4_9739 Depth=3
	s_or_b64 exec, exec, s[40:41]
                                        ; implicit-def: $vgpr31
                                        ; implicit-def: $vgpr1_vgpr2
.LBB4_10685:                            ;   in Loop: Header=BB4_9739 Depth=3
	s_andn2_saveexec_b64 s[40:41], s[42:43]
	s_cbranch_execz .LBB4_10691
; %bb.10686:                            ;   in Loop: Header=BB4_9739 Depth=3
	v_cmp_ne_u64_e32 vcc, 0, v[1:2]
                                        ; implicit-def: $vgpr3
	s_and_saveexec_b64 s[42:43], vcc
	s_xor_b64 s[42:43], exec, s[42:43]
; %bb.10687:                            ;   in Loop: Header=BB4_9739 Depth=3
	v_or_b32_sdwa v3, v31, s47 dst_sel:DWORD dst_unused:UNUSED_PAD src0_sel:BYTE_3 src1_sel:DWORD
                                        ; implicit-def: $vgpr31
; %bb.10688:                            ;   in Loop: Header=BB4_9739 Depth=3
	s_andn2_saveexec_b64 s[42:43], s[42:43]
; %bb.10689:                            ;   in Loop: Header=BB4_9739 Depth=3
	v_cmp_lt_i32_e32 vcc, -1, v31
	v_bfrev_b32_e32 v1, 0.5
	v_cndmask_b32_e32 v3, v1, v52, vcc
; %bb.10690:                            ;   in Loop: Header=BB4_9739 Depth=3
	s_or_b64 exec, exec, s[42:43]
.LBB4_10691:                            ;   in Loop: Header=BB4_9739 Depth=3
	s_or_b64 exec, exec, s[40:41]
	v_cmp_lt_u32_e32 vcc, s57, v0
	v_mov_b32_e32 v2, 0
	s_and_saveexec_b64 s[40:41], vcc
	s_cbranch_execz .LBB4_10699
; %bb.10692:                            ;   in Loop: Header=BB4_9739 Depth=3
	v_lshrrev_b32_e32 v1, 24, v0
	v_cmp_ne_u32_e32 vcc, s96, v1
	v_bfrev_b32_e32 v2, 1
	s_and_saveexec_b64 s[42:43], vcc
	s_cbranch_execz .LBB4_10698
; %bb.10693:                            ;   in Loop: Header=BB4_9739 Depth=3
	v_and_b32_e32 v2, 0x7c000000, v0
	v_bfe_u32 v9, v0, 24, 2
	v_cmp_ne_u32_e32 vcc, s45, v2
                                        ; implicit-def: $vgpr2
	s_and_saveexec_b64 s[38:39], vcc
	s_xor_b64 s[38:39], exec, s[38:39]
	s_cbranch_execz .LBB4_10695
; %bb.10694:                            ;   in Loop: Header=BB4_9739 Depth=3
	v_ffbh_u32_e32 v2, v9
	v_min_u32_e32 v29, 32, v2
	v_subrev_u32_e32 v2, 29, v29
	v_bfe_u32 v28, v0, 26, 5
	v_lshlrev_b64 v[1:2], v2, v[1:2]
	v_sub_u32_e32 v2, 30, v29
	v_cmp_eq_u32_e32 vcc, 0, v28
	v_and_b32_e32 v1, 3, v1
	v_cndmask_b32_e32 v2, v28, v2, vcc
	v_and_b32_e32 v0, 0x80000000, v0
	v_cndmask_b32_e32 v1, v9, v1, vcc
	v_lshl_add_u32 v0, v2, 23, v0
	v_lshl_or_b32 v0, v1, 21, v0
	v_add_u32_e32 v2, 0x38000000, v0
                                        ; implicit-def: $vgpr9
                                        ; implicit-def: $vgpr0_vgpr1
.LBB4_10695:                            ;   in Loop: Header=BB4_9739 Depth=3
	s_andn2_saveexec_b64 s[38:39], s[38:39]
; %bb.10696:                            ;   in Loop: Header=BB4_9739 Depth=3
	v_cmp_lt_i32_e32 vcc, -1, v0
	v_mov_b32_e32 v0, 0xff800000
	v_mov_b32_e32 v1, 0x7f800000
	v_cndmask_b32_e32 v0, v0, v1, vcc
	v_cmp_eq_u32_e32 vcc, 0, v9
	v_mov_b32_e32 v1, 0x7f800001
	v_cndmask_b32_e32 v2, v1, v0, vcc
; %bb.10697:                            ;   in Loop: Header=BB4_9739 Depth=3
	s_or_b64 exec, exec, s[38:39]
.LBB4_10698:                            ;   in Loop: Header=BB4_9739 Depth=3
	s_or_b64 exec, exec, s[42:43]
.LBB4_10699:                            ;   in Loop: Header=BB4_9739 Depth=3
	s_or_b64 exec, exec, s[40:41]
	v_bfe_u32 v1, v11, 24, 2
	v_and_b32_e32 v28, 0x7c000000, v11
	v_cmp_eq_u32_e32 vcc, s45, v28
	v_ffbh_u32_e32 v28, v1
	v_min_u32_e32 v28, 32, v28
	v_lshrrev_b32_e32 v0, 24, v11
	v_subrev_u32_e32 v29, 29, v28
	v_lshlrev_b64 v[48:49], v29, v[0:1]
	v_bfe_u32 v9, v11, 26, 5
	v_cmp_eq_u32_e64 s[40:41], 0, v9
	v_sub_u32_e32 v28, 30, v28
	v_and_b32_e32 v29, 3, v48
	v_cndmask_b32_e64 v9, v9, v28, s[40:41]
	v_cndmask_b32_e64 v28, v1, v29, s[40:41]
	v_and_b32_e32 v29, 0x80000000, v11
	v_lshl_add_u32 v9, v9, 23, v29
	v_cmp_lt_i64_e64 s[42:43], -1, v[10:11]
	v_lshl_or_b32 v9, v28, 21, v9
	v_cmp_eq_u32_e64 s[40:41], 0, v1
	v_mov_b32_e32 v1, 0xff800000
	v_mov_b32_e32 v28, 0x7f800000
	v_cndmask_b32_e64 v1, v1, v28, s[42:43]
	v_mov_b32_e32 v28, 0x7f800001
	v_add_u32_e32 v9, 0x38000000, v9
	v_cndmask_b32_e64 v1, v28, v1, s[40:41]
	v_cndmask_b32_e32 v1, v9, v1, vcc
	v_cmp_ne_u32_e32 vcc, s96, v0
	v_bfrev_b32_e32 v0, 1
	v_cndmask_b32_e32 v0, v0, v1, vcc
	v_cmp_lt_u64_e32 vcc, s[56:57], v[10:11]
	v_mov_b32_e32 v49, v17
	v_cndmask_b32_e32 v0, 0, v0, vcc
	v_add_f32_e32 v10, v0, v2
	v_and_b32_e32 v48, 0x7f800000, v10
	v_cmp_ne_u64_e32 vcc, s[76:77], v[48:49]
	v_and_b32_e32 v0, 0x7fffff, v10
	v_mov_b32_e32 v1, v17
                                        ; implicit-def: $vgpr2
	s_and_saveexec_b64 s[40:41], vcc
	s_xor_b64 s[42:43], exec, s[40:41]
	s_cbranch_execz .LBB4_10713
; %bb.10700:                            ;   in Loop: Header=BB4_9739 Depth=3
	v_and_b32_e32 v48, 0x7fffffff, v10
	v_mov_b32_e32 v49, v17
	v_cmp_gt_u64_e32 vcc, s[78:79], v[48:49]
	v_and_b32_sdwa v9, v10, s96 dst_sel:DWORD dst_unused:UNUSED_PAD src0_sel:BYTE_3 src1_sel:DWORD
                                        ; implicit-def: $vgpr2
	s_and_saveexec_b64 s[40:41], vcc
	s_xor_b64 s[38:39], exec, s[40:41]
	s_cbranch_execz .LBB4_10710
; %bb.10701:                            ;   in Loop: Header=BB4_9739 Depth=3
	v_mov_b32_e32 v2, 0
	v_cmp_ne_u32_e32 vcc, 0, v10
	s_and_saveexec_b64 s[48:49], vcc
	s_cbranch_execz .LBB4_10709
; %bb.10702:                            ;   in Loop: Header=BB4_9739 Depth=3
	v_bfe_u32 v10, v10, 23, 8
	v_cmp_gt_u32_e64 s[40:41], s46, v10
	v_sub_u32_e32 v2, 0x71, v10
	v_cmp_eq_u32_e32 vcc, 0, v10
	v_cndmask_b32_e64 v2, 0, v2, s[40:41]
	v_mov_b32_e32 v11, 0x70
	v_cndmask_b32_e32 v11, v2, v11, vcc
	v_add_u32_e32 v2, 21, v11
	v_or_b32_e32 v28, 0x800000, v0
	v_lshlrev_b64 v[48:49], v2, -1
	v_cndmask_b32_e32 v0, v28, v0, vcc
	v_add_u32_e32 v2, 20, v11
	v_bfi_b32 v48, v48, 0, v0
	v_lshlrev_b64 v[53:54], v2, 1
	v_lshrrev_b64 v[0:1], v11, v[0:1]
	v_bfi_b32 v49, v49, 0, 0
	v_cmp_eq_u64_e64 s[40:41], v[48:49], v[53:54]
	v_mov_b32_e32 v2, v1
	v_mov_b32_e32 v1, v0
	s_and_saveexec_b64 s[50:51], s[40:41]
; %bb.10703:                            ;   in Loop: Header=BB4_9739 Depth=3
	v_bfe_u32 v1, v0, 21, 1
	v_add_co_u32_e64 v1, s[40:41], v0, v1
	v_add_co_u32_e64 v1, s[40:41], -1, v1
; %bb.10704:                            ;   in Loop: Header=BB4_9739 Depth=3
	s_or_b64 exec, exec, s[50:51]
	v_add_u32_e32 v2, 0xffffff81, v10
	v_mov_b32_e32 v10, 0xffffff82
	v_cndmask_b32_e32 v2, v2, v10, vcc
	v_lshrrev_b32_e32 v10, 23, v0
	v_add3_u32 v11, v11, v2, v10
	v_add_u32_e32 v10, 14, v11
	v_and_b32_e32 v1, 0x1fffff, v1
	v_add_u32_e32 v0, v1, v0
	v_mov_b32_e32 v1, v17
	v_cmp_ne_u32_e32 vcc, 0, v10
                                        ; implicit-def: $vgpr2
	s_and_saveexec_b64 s[40:41], vcc
	s_xor_b64 s[40:41], exec, s[40:41]
; %bb.10705:                            ;   in Loop: Header=BB4_9739 Depth=3
	v_cmp_lt_u64_e32 vcc, s[88:89], v[0:1]
	v_add_u32_e32 v2, 15, v11
	v_cndmask_b32_e32 v2, v10, v2, vcc
	v_cndmask_b32_e64 v10, 0, 1, vcc
	v_lshrrev_b64 v[0:1], v10, v[0:1]
; %bb.10706:                            ;   in Loop: Header=BB4_9739 Depth=3
	s_andn2_saveexec_b64 s[40:41], s[40:41]
; %bb.10707:                            ;   in Loop: Header=BB4_9739 Depth=3
	v_bfe_u32 v2, v0, 23, 1
; %bb.10708:                            ;   in Loop: Header=BB4_9739 Depth=3
	s_or_b64 exec, exec, s[40:41]
	v_lshrrev_b64 v[0:1], 21, v[0:1]
	v_cmp_gt_i32_e32 vcc, 32, v2
	v_cndmask_b32_e32 v1, 0, v1, vcc
	v_cndmask_b32_e32 v0, 3, v0, vcc
	v_cmp_eq_u64_e64 s[40:41], 0, v[0:1]
	v_min_i32_e32 v1, 31, v2
	v_lshlrev_b32_e32 v1, 2, v1
	v_cmp_eq_u32_e32 vcc, 0, v2
	v_and_b32_e32 v1, 0xfc, v1
	v_and_or_b32 v0, v0, 3, v1
	s_and_b64 s[40:41], vcc, s[40:41]
	v_cndmask_b32_e64 v0, v0, 0, s[40:41]
	v_or_b32_e32 v2, v0, v9
.LBB4_10709:                            ;   in Loop: Header=BB4_9739 Depth=3
	s_or_b64 exec, exec, s[48:49]
                                        ; implicit-def: $vgpr9
.LBB4_10710:                            ;   in Loop: Header=BB4_9739 Depth=3
	s_andn2_saveexec_b64 s[40:41], s[38:39]
; %bb.10711:                            ;   in Loop: Header=BB4_9739 Depth=3
	v_or_b32_e32 v2, 0x7b, v9
; %bb.10712:                            ;   in Loop: Header=BB4_9739 Depth=3
	s_or_b64 exec, exec, s[40:41]
                                        ; implicit-def: $vgpr10
                                        ; implicit-def: $vgpr0_vgpr1
.LBB4_10713:                            ;   in Loop: Header=BB4_9739 Depth=3
	s_andn2_saveexec_b64 s[40:41], s[42:43]
	s_cbranch_execz .LBB4_10719
; %bb.10714:                            ;   in Loop: Header=BB4_9739 Depth=3
	v_cmp_ne_u64_e32 vcc, 0, v[0:1]
                                        ; implicit-def: $vgpr2
	s_and_saveexec_b64 s[42:43], vcc
	s_xor_b64 s[42:43], exec, s[42:43]
; %bb.10715:                            ;   in Loop: Header=BB4_9739 Depth=3
	v_or_b32_sdwa v2, v10, s47 dst_sel:DWORD dst_unused:UNUSED_PAD src0_sel:BYTE_3 src1_sel:DWORD
                                        ; implicit-def: $vgpr10
; %bb.10716:                            ;   in Loop: Header=BB4_9739 Depth=3
	s_andn2_saveexec_b64 s[42:43], s[42:43]
; %bb.10717:                            ;   in Loop: Header=BB4_9739 Depth=3
	v_cmp_lt_i32_e32 vcc, -1, v10
	v_bfrev_b32_e32 v0, 0.5
	v_cndmask_b32_e32 v2, v0, v52, vcc
; %bb.10718:                            ;   in Loop: Header=BB4_9739 Depth=3
	s_or_b64 exec, exec, s[42:43]
.LBB4_10719:                            ;   in Loop: Header=BB4_9739 Depth=3
	s_or_b64 exec, exec, s[40:41]
	v_lshl_or_b32 v0, v50, 8, v38
	v_lshlrev_b32_e32 v1, 16, v51
	v_lshlrev_b32_e32 v8, 24, v8
	v_or3_b32 v9, v0, v1, v8
	v_lshl_or_b32 v0, v27, 8, v25
	v_lshlrev_b32_e32 v1, 16, v32
	v_lshlrev_b32_e32 v8, 24, v35
	v_or3_b32 v8, v0, v1, v8
	;; [unrolled: 4-line block ×3, first 2 shown]
	v_lshlrev_b32_e32 v0, 24, v2
	v_lshlrev_b32_e32 v1, 16, v3
	v_lshl_or_b32 v2, v26, 8, v4
	v_or3_b32 v11, v2, v1, v0
	s_mov_b64 s[48:49], 0
	s_mov_b64 s[38:39], -1
.LBB4_10720:                            ;   Parent Loop BB4_47 Depth=1
                                        ;     Parent Loop BB4_7595 Depth=2
                                        ;       Parent Loop BB4_9739 Depth=3
                                        ; =>      This Inner Loop Header: Depth=4
	s_cmp_eq_u32 s48, 1
	s_cselect_b64 s[40:41], -1, 0
	v_cndmask_b32_e64 v1, v21, v23, s[40:41]
	v_cndmask_b32_e64 v0, v20, v22, s[40:41]
	global_store_dwordx4 v[0:1], v[8:11], off glc slc
	v_add_co_u32_e32 v0, vcc, 0x400, v0
	s_cmp_eq_u32 s48, 0
	v_addc_co_u32_e32 v1, vcc, 0, v1, vcc
	s_cselect_b64 vcc, -1, 0
	s_and_b64 s[42:43], exec, s[38:39]
	s_mov_b64 s[48:49], 1
	v_cndmask_b32_e64 v22, v22, v0, s[40:41]
	s_mov_b64 s[38:39], 0
	v_cndmask_b32_e64 v23, v23, v1, s[40:41]
	v_cndmask_b32_e32 v21, v21, v1, vcc
	v_cndmask_b32_e32 v20, v20, v0, vcc
	s_mov_b64 vcc, s[42:43]
	s_cbranch_vccnz .LBB4_10720
; %bb.10721:                            ;   in Loop: Header=BB4_9739 Depth=3
	buffer_load_dword v0, off, s[0:3], s33 offset:188 ; 4-byte Folded Reload
	buffer_load_dword v1, off, s[0:3], s33 offset:192 ; 4-byte Folded Reload
	s_waitcnt vmcnt(1)
	v_add_co_u32_e32 v12, vcc, v12, v0
	s_waitcnt vmcnt(0)
	v_addc_co_u32_e32 v13, vcc, v13, v1, vcc
	v_add_co_u32_e32 v14, vcc, v14, v0
	buffer_load_dword v0, off, s[0:3], s33 offset:180 ; 4-byte Folded Reload
	v_addc_co_u32_e32 v15, vcc, v15, v1, vcc
	buffer_load_dword v1, off, s[0:3], s33 offset:184 ; 4-byte Folded Reload
	s_waitcnt vmcnt(1)
	v_add_co_u32_e32 v20, vcc, v20, v0
	s_waitcnt vmcnt(0)
	v_addc_co_u32_e32 v21, vcc, v21, v1, vcc
	v_add_co_u32_e32 v22, vcc, v22, v0
	buffer_load_dword v0, off, s[0:3], s33 offset:96 ; 4-byte Folded Reload
	v_addc_co_u32_e32 v23, vcc, v23, v1, vcc
	s_waitcnt vmcnt(0)
	v_sub_u32_e32 v19, v19, v0
	buffer_load_dword v0, off, s[0:3], s33 offset:92 ; 4-byte Folded Reload
	v_cmp_gt_i32_e32 vcc, 16, v19
	s_or_b64 s[36:37], vcc, s[36:37]
	s_waitcnt vmcnt(0)
	v_sub_u32_e32 v18, v18, v0
	s_andn2_b64 exec, exec, s[36:37]
	s_cbranch_execnz .LBB4_9739
	s_branch .LBB4_10742
.LBB4_10722:                            ;   in Loop: Header=BB4_9739 Depth=3
	s_or_saveexec_b64 s[42:43], s[42:43]
	v_bfrev_b32_e32 v1, 1
	s_xor_b64 exec, exec, s[42:43]
	s_cbranch_execz .LBB4_10207
.LBB4_10723:                            ;   in Loop: Header=BB4_9739 Depth=3
	v_cmp_ne_u16_sdwa vcc, v8, v17 src0_sel:BYTE_0 src1_sel:DWORD
	s_andn2_b64 s[40:41], s[40:41], exec
	s_and_b64 vcc, vcc, exec
	v_mov_b32_e32 v1, 0
	s_or_b64 s[40:41], s[40:41], vcc
	s_or_b64 exec, exec, s[42:43]
	s_and_saveexec_b64 s[38:39], s[40:41]
	s_cbranch_execnz .LBB4_10208
	s_branch .LBB4_10209
.LBB4_10724:                            ;   in Loop: Header=BB4_9739 Depth=3
	s_or_saveexec_b64 s[42:43], s[42:43]
	v_bfrev_b32_e32 v2, 1
	s_xor_b64 exec, exec, s[42:43]
	s_cbranch_execz .LBB4_10241
.LBB4_10725:                            ;   in Loop: Header=BB4_9739 Depth=3
	v_cmp_ne_u16_e32 vcc, 0, v1
	s_andn2_b64 s[40:41], s[40:41], exec
	s_and_b64 vcc, vcc, exec
	v_mov_b32_e32 v2, 0
	s_or_b64 s[40:41], s[40:41], vcc
	s_or_b64 exec, exec, s[42:43]
	s_and_saveexec_b64 s[38:39], s[40:41]
	s_cbranch_execnz .LBB4_10242
	s_branch .LBB4_10243
.LBB4_10726:                            ;   in Loop: Header=BB4_9739 Depth=3
	s_or_saveexec_b64 s[42:43], s[42:43]
	v_bfrev_b32_e32 v3, 1
	s_xor_b64 exec, exec, s[42:43]
	s_cbranch_execz .LBB4_10275
.LBB4_10727:                            ;   in Loop: Header=BB4_9739 Depth=3
	v_cmp_ne_u16_sdwa vcc, v1, v17 src0_sel:BYTE_0 src1_sel:DWORD
	s_andn2_b64 s[40:41], s[40:41], exec
	s_and_b64 vcc, vcc, exec
	v_mov_b32_e32 v3, 0
	s_or_b64 s[40:41], s[40:41], vcc
	s_or_b64 exec, exec, s[42:43]
	s_and_saveexec_b64 s[38:39], s[40:41]
	s_cbranch_execnz .LBB4_10276
	s_branch .LBB4_10277
.LBB4_10728:                            ;   in Loop: Header=BB4_9739 Depth=3
	s_or_saveexec_b64 s[42:43], s[42:43]
	v_bfrev_b32_e32 v3, 1
	s_xor_b64 exec, exec, s[42:43]
	s_cbranch_execz .LBB4_10373
.LBB4_10729:                            ;   in Loop: Header=BB4_9739 Depth=3
	v_cmp_ne_u16_e32 vcc, 0, v2
	s_andn2_b64 s[40:41], s[40:41], exec
	s_and_b64 vcc, vcc, exec
	v_mov_b32_e32 v3, 0
	s_or_b64 s[40:41], s[40:41], vcc
	s_or_b64 exec, exec, s[42:43]
	s_and_saveexec_b64 s[38:39], s[40:41]
	s_cbranch_execnz .LBB4_10374
	s_branch .LBB4_10375
.LBB4_10730:                            ;   in Loop: Header=BB4_9739 Depth=3
	s_or_saveexec_b64 s[42:43], s[42:43]
	v_bfrev_b32_e32 v3, 1
	s_xor_b64 exec, exec, s[42:43]
	s_cbranch_execz .LBB4_10407
.LBB4_10731:                            ;   in Loop: Header=BB4_9739 Depth=3
	v_cmp_ne_u16_sdwa vcc, v1, v17 src0_sel:BYTE_0 src1_sel:DWORD
	s_andn2_b64 s[40:41], s[40:41], exec
	s_and_b64 vcc, vcc, exec
	v_mov_b32_e32 v3, 0
	s_or_b64 s[40:41], s[40:41], vcc
	s_or_b64 exec, exec, s[42:43]
	s_and_saveexec_b64 s[38:39], s[40:41]
	s_cbranch_execnz .LBB4_10408
	s_branch .LBB4_10409
.LBB4_10732:                            ;   in Loop: Header=BB4_9739 Depth=3
	s_or_saveexec_b64 s[42:43], s[42:43]
	v_bfrev_b32_e32 v1, 1
	s_xor_b64 exec, exec, s[42:43]
	s_cbranch_execz .LBB4_10469
.LBB4_10733:                            ;   in Loop: Header=BB4_9739 Depth=3
	v_cmp_ne_u16_sdwa vcc, v10, v17 src0_sel:BYTE_0 src1_sel:DWORD
	s_andn2_b64 s[40:41], s[40:41], exec
	s_and_b64 vcc, vcc, exec
	v_mov_b32_e32 v1, 0
	s_or_b64 s[40:41], s[40:41], vcc
	s_or_b64 exec, exec, s[42:43]
	s_and_saveexec_b64 s[38:39], s[40:41]
	s_cbranch_execnz .LBB4_10470
	s_branch .LBB4_10471
.LBB4_10734:                            ;   in Loop: Header=BB4_9739 Depth=3
	s_or_saveexec_b64 s[42:43], s[42:43]
	v_bfrev_b32_e32 v2, 1
	s_xor_b64 exec, exec, s[42:43]
	s_cbranch_execz .LBB4_10503
.LBB4_10735:                            ;   in Loop: Header=BB4_9739 Depth=3
	v_cmp_ne_u16_e32 vcc, 0, v1
	s_andn2_b64 s[40:41], s[40:41], exec
	s_and_b64 vcc, vcc, exec
	v_mov_b32_e32 v2, 0
	s_or_b64 s[40:41], s[40:41], vcc
	s_or_b64 exec, exec, s[42:43]
	s_and_saveexec_b64 s[38:39], s[40:41]
	s_cbranch_execnz .LBB4_10504
	s_branch .LBB4_10505
.LBB4_10736:                            ;   in Loop: Header=BB4_9739 Depth=3
	s_or_saveexec_b64 s[42:43], s[42:43]
	v_bfrev_b32_e32 v3, 1
	s_xor_b64 exec, exec, s[42:43]
	s_cbranch_execz .LBB4_10537
.LBB4_10737:                            ;   in Loop: Header=BB4_9739 Depth=3
	v_cmp_ne_u16_sdwa vcc, v1, v17 src0_sel:BYTE_0 src1_sel:DWORD
	s_andn2_b64 s[40:41], s[40:41], exec
	s_and_b64 vcc, vcc, exec
	v_mov_b32_e32 v3, 0
	s_or_b64 s[40:41], s[40:41], vcc
	s_or_b64 exec, exec, s[42:43]
	s_and_saveexec_b64 s[38:39], s[40:41]
	s_cbranch_execnz .LBB4_10538
	s_branch .LBB4_10539
.LBB4_10738:                            ;   in Loop: Header=BB4_9739 Depth=3
	s_or_saveexec_b64 s[42:43], s[42:43]
	v_bfrev_b32_e32 v3, 1
	s_xor_b64 exec, exec, s[42:43]
	s_cbranch_execz .LBB4_10635
.LBB4_10739:                            ;   in Loop: Header=BB4_9739 Depth=3
	v_cmp_ne_u16_e32 vcc, 0, v2
	s_andn2_b64 s[40:41], s[40:41], exec
	s_and_b64 vcc, vcc, exec
	v_mov_b32_e32 v3, 0
	s_or_b64 s[40:41], s[40:41], vcc
	s_or_b64 exec, exec, s[42:43]
	s_and_saveexec_b64 s[38:39], s[40:41]
	s_cbranch_execnz .LBB4_10636
	s_branch .LBB4_10637
.LBB4_10740:                            ;   in Loop: Header=BB4_9739 Depth=3
	s_or_saveexec_b64 s[42:43], s[42:43]
	v_bfrev_b32_e32 v3, 1
	s_xor_b64 exec, exec, s[42:43]
	s_cbranch_execz .LBB4_10669
.LBB4_10741:                            ;   in Loop: Header=BB4_9739 Depth=3
	v_cmp_ne_u16_sdwa vcc, v1, v17 src0_sel:BYTE_0 src1_sel:DWORD
	s_andn2_b64 s[40:41], s[40:41], exec
	s_and_b64 vcc, vcc, exec
	v_mov_b32_e32 v3, 0
	s_or_b64 s[40:41], s[40:41], vcc
	s_or_b64 exec, exec, s[42:43]
	s_and_saveexec_b64 s[38:39], s[40:41]
	s_cbranch_execnz .LBB4_10670
	s_branch .LBB4_10671
.LBB4_10742:                            ;   in Loop: Header=BB4_7595 Depth=2
	s_or_b64 exec, exec, s[36:37]
.LBB4_10743:                            ;   in Loop: Header=BB4_7595 Depth=2
	s_or_b64 exec, exec, s[34:35]
	buffer_load_dword v0, off, s[0:3], s33 offset:204 ; 4-byte Folded Reload
	v_cmp_lt_i32_e32 vcc, 0, v18
	s_waitcnt vmcnt(0)
	v_and_b32_e32 v0, 15, v0
	v_sub_u32_e32 v1, v16, v0
	v_cndmask_b32_e64 v23, v16, v0, s[28:29]
	buffer_load_dword v0, off, s[0:3], s33 offset:92 ; 4-byte Folded Reload
	v_cndmask_b32_e64 v1, 0, v1, s[28:29]
	v_add3_u32 v7, v7, v5, v1
	s_waitcnt vmcnt(0)
	v_cndmask_b32_e32 v0, 0, v0, vcc
	v_sub_u32_e32 v0, v0, v18
	v_cmp_ne_u32_e32 vcc, 0, v23
	v_lshl_add_u32 v3, v0, 6, v6
	s_and_b64 s[28:29], vcc, exec
.LBB4_10744:                            ;   in Loop: Header=BB4_7595 Depth=2
	s_or_b64 exec, exec, s[30:31]
	s_and_saveexec_b64 s[42:43], s[28:29]
	s_cbranch_execz .LBB4_11991
.LBB4_10745:                            ;   in Loop: Header=BB4_7595 Depth=2
	s_waitcnt vmcnt(0)
	v_ashrrev_i32_e32 v0, 31, v3
	v_ashrrev_i32_e32 v1, 31, v23
	v_lshrrev_b32_e32 v0, 26, v0
	v_lshrrev_b32_e32 v1, 22, v1
	v_add_u32_e32 v0, v3, v0
	v_add_u32_e32 v1, v23, v1
	v_ashrrev_i32_e32 v2, 6, v0
	v_ashrrev_i32_e32 v1, 10, v1
	v_sub_u32_e32 v16, v1, v2
	v_cmp_lt_i32_e32 vcc, 0, v16
	s_and_saveexec_b64 s[40:41], vcc
	s_cbranch_execz .LBB4_11907
; %bb.10746:                            ;   in Loop: Header=BB4_7595 Depth=2
	v_and_b32_e32 v0, 0xffffffc0, v0
	buffer_store_dword v1, off, s[0:3], s33 offset:268 ; 4-byte Folded Spill
	buffer_store_dword v3, off, s[0:3], s33 offset:272 ; 4-byte Folded Spill
	v_sub_u32_e32 v0, v3, v0
	buffer_store_dword v2, off, s[0:3], s33 offset:264 ; 4-byte Folded Spill
	v_lshlrev_b32_e32 v1, 10, v2
	buffer_store_dword v7, off, s[0:3], s33 offset:260 ; 4-byte Folded Spill
	v_add3_u32 v2, v7, v0, v1
	buffer_load_dword v0, off, s[0:3], s33 offset:228 ; 4-byte Folded Reload
	buffer_load_dword v1, off, s[0:3], s33 offset:232 ; 4-byte Folded Reload
	v_ashrrev_i32_e32 v3, 31, v2
	s_mov_b64 s[30:31], 0
	s_waitcnt vmcnt(1)
	v_add_co_u32_e32 v8, vcc, v2, v0
	s_waitcnt vmcnt(0)
	v_addc_co_u32_e32 v9, vcc, v3, v1, vcc
	buffer_load_dword v0, off, s[0:3], s33 offset:252 ; 4-byte Folded Reload
	buffer_load_dword v1, off, s[0:3], s33 offset:256 ; 4-byte Folded Reload
	s_trap 2
	s_waitcnt vmcnt(1)
	v_add_co_u32_e32 v10, vcc, v2, v0
	s_waitcnt vmcnt(0)
	v_addc_co_u32_e32 v11, vcc, v3, v1, vcc
	ds_read_b64 v[0:1], v0
	buffer_load_dword v4, off, s[0:3], s33 offset:212 ; 4-byte Folded Reload
	buffer_load_dword v5, off, s[0:3], s33 offset:216 ; 4-byte Folded Reload
	s_waitcnt vmcnt(1)
	v_add_co_u32_e32 v12, vcc, v2, v4
	s_waitcnt vmcnt(0)
	v_addc_co_u32_e32 v13, vcc, v3, v5, vcc
	s_waitcnt lgkmcnt(0)
	v_add_co_u32_e32 v14, vcc, v0, v2
	v_addc_co_u32_e32 v15, vcc, v1, v3, vcc
	s_branch .LBB4_10749
.LBB4_10747:                            ;   in Loop: Header=BB4_10749 Depth=3
	s_or_b64 exec, exec, s[34:35]
.LBB4_10748:                            ;   in Loop: Header=BB4_10749 Depth=3
	s_or_b64 exec, exec, s[28:29]
	flat_store_byte v[8:9], v50 glc slc
	flat_store_byte v[8:9], v33 offset:64 glc slc
	flat_store_byte v[8:9], v32 offset:128 glc slc
	;; [unrolled: 1-line block ×15, first 2 shown]
	flat_store_byte v[10:11], v50 glc slc
	flat_store_byte v[10:11], v33 offset:64 glc slc
	flat_store_byte v[10:11], v32 offset:128 glc slc
	;; [unrolled: 1-line block ×15, first 2 shown]
	buffer_load_dword v1, off, s[0:3], s33 offset:96 ; 4-byte Folded Reload
	buffer_load_dword v0, off, s[0:3], s33 offset:92 ; 4-byte Folded Reload
	s_waitcnt vmcnt(0)
	v_add_co_u32_e32 v12, vcc, v12, v1
	v_addc_co_u32_e32 v13, vcc, 0, v13, vcc
	v_add_co_u32_e32 v14, vcc, v14, v1
	v_addc_co_u32_e32 v15, vcc, 0, v15, vcc
	;; [unrolled: 2-line block ×3, first 2 shown]
	v_sub_u32_e32 v16, v16, v0
	v_cmp_gt_i32_e32 vcc, 1, v16
	s_or_b64 s[30:31], vcc, s[30:31]
	v_add_co_u32_e32 v10, vcc, v10, v1
	v_addc_co_u32_e32 v11, vcc, 0, v11, vcc
	s_andn2_b64 exec, exec, s[30:31]
	s_cbranch_execz .LBB4_11906
.LBB4_10749:                            ;   Parent Loop BB4_47 Depth=1
                                        ;     Parent Loop BB4_7595 Depth=2
                                        ; =>    This Inner Loop Header: Depth=3
	s_trap 2
	ds_read_b64 v[0:1], v0
	v_mov_b32_e32 v7, 0
	s_waitcnt lgkmcnt(0)
	v_cmp_eq_u32_sdwa vcc, v0, v17 src0_sel:BYTE_0 src1_sel:DWORD
	v_readfirstlane_b32 s28, v0
	v_readfirstlane_b32 s29, v1
	v_mov_b32_e32 v1, 0
	s_and_b64 vcc, exec, vcc
	s_cbranch_vccnz .LBB4_10755
; %bb.10750:                            ;   in Loop: Header=BB4_10749 Depth=3
	s_bfe_i32 s35, s28, 0x80000
	s_and_b32 vcc_lo, 0xffff, s35
	s_cmpk_eq_u32 vcc_lo, 0xff80
	v_bfrev_b32_e32 v7, 1
	s_cbranch_scc1 .LBB4_10755
; %bb.10751:                            ;   in Loop: Header=BB4_10749 Depth=3
	s_and_b32 s34, s28, 3
	s_and_b32 s36, s28, 0x7c
	s_mov_b64 vcc, -1
	s_cmpk_lg_i32 s36, 0x7c
	s_sext_i32_i16 s35, s35
                                        ; implicit-def: $sgpr36
	s_cbranch_scc0 .LBB4_10753
; %bb.10752:                            ;   in Loop: Header=BB4_10749 Depth=3
	s_flbit_i32_b32 vcc_hi, s34
	s_min_u32 vcc_hi, vcc_hi, 32
	s_sub_i32 s36, vcc_hi, 29
	s_bfe_u32 vcc_lo, s28, 0x50002
	s_lshl_b64 s[28:29], s[28:29], s36
	s_sub_i32 s29, 30, vcc_hi
	s_and_b32 s28, s28, 3
	s_cmp_eq_u32 vcc_lo, 0
	s_cselect_b32 s29, s29, vcc_lo
	s_cselect_b32 s28, s28, s34
	s_and_b32 vcc_lo, s35, 0x80000000
	s_lshl_b32 s29, s29, 23
	s_add_i32 s29, s29, vcc_lo
	s_lshl_b32 s28, s28, 21
	s_or_b32 s28, s29, s28
	s_add_i32 s36, s28, 0x38000000
	s_mov_b64 vcc, 0
.LBB4_10753:                            ;   in Loop: Header=BB4_10749 Depth=3
	s_andn2_b64 vcc, exec, vcc
	v_mov_b32_e32 v7, s36
	s_cbranch_vccnz .LBB4_10755
; %bb.10754:                            ;   in Loop: Header=BB4_10749 Depth=3
	s_cmp_eq_u32 s34, 0
	s_cselect_b64 vcc, -1, 0
	s_cmp_gt_i32 s35, -1
	s_cselect_b64 s[28:29], -1, 0
	v_mov_b32_e32 v0, 0xff800000
	v_mov_b32_e32 v2, 0x7f800000
	v_cndmask_b32_e64 v0, v0, v2, s[28:29]
	v_mov_b32_e32 v2, 0x7f800001
	v_cndmask_b32_e32 v7, v2, v0, vcc
.LBB4_10755:                            ;   in Loop: Header=BB4_10749 Depth=3
	flat_load_sbyte v0, v[12:13] glc slc
	s_waitcnt vmcnt(0) lgkmcnt(0)
	v_cmp_ne_u16_e32 vcc, 0, v0
	s_and_saveexec_b64 s[28:29], vcc
	s_cbranch_execz .LBB4_10763
; %bb.10756:                            ;   in Loop: Header=BB4_10749 Depth=3
	v_cmp_ne_u16_e32 vcc, s97, v0
	v_bfrev_b32_e32 v1, 1
	s_and_saveexec_b64 s[34:35], vcc
	s_cbranch_execz .LBB4_10762
; %bb.10757:                            ;   in Loop: Header=BB4_10749 Depth=3
	v_and_b32_e32 v1, 0x7c, v0
	v_and_b32_e32 v2, 3, v0
	v_cmp_ne_u32_e32 vcc, s85, v1
                                        ; implicit-def: $vgpr1
	s_and_saveexec_b64 s[36:37], vcc
	s_xor_b64 s[36:37], exec, s[36:37]
	s_cbranch_execz .LBB4_10759
; %bb.10758:                            ;   in Loop: Header=BB4_10749 Depth=3
	v_and_b32_e32 v3, 0xff, v0
	v_bfe_u32 v5, v3, 2, 5
	v_ffbh_u32_e32 v3, v2
	v_min_u32_e32 v6, 32, v3
	v_mov_b32_e32 v1, v17
	v_subrev_u32_e32 v3, 29, v6
	v_lshlrev_b64 v[3:4], v3, v[0:1]
	v_sub_u32_e32 v1, 30, v6
	v_cmp_eq_u32_e32 vcc, 0, v5
	v_and_b32_e32 v3, 3, v3
	v_cndmask_b32_e32 v1, v5, v1, vcc
	v_and_b32_sdwa v0, sext(v0), s86 dst_sel:DWORD dst_unused:UNUSED_PAD src0_sel:WORD_0 src1_sel:DWORD
	v_cndmask_b32_e32 v2, v2, v3, vcc
	v_lshl_add_u32 v0, v1, 23, v0
	v_lshl_or_b32 v0, v2, 21, v0
	v_add_u32_e32 v1, 0x38000000, v0
                                        ; implicit-def: $vgpr2
                                        ; implicit-def: $vgpr0
.LBB4_10759:                            ;   in Loop: Header=BB4_10749 Depth=3
	s_andn2_saveexec_b64 s[36:37], s[36:37]
; %bb.10760:                            ;   in Loop: Header=BB4_10749 Depth=3
	v_cmp_lt_i16_e32 vcc, -1, v0
	v_mov_b32_e32 v0, 0xff800000
	v_mov_b32_e32 v1, 0x7f800000
	v_cndmask_b32_e32 v0, v0, v1, vcc
	v_cmp_eq_u32_e32 vcc, 0, v2
	v_mov_b32_e32 v1, 0x7f800001
	v_cndmask_b32_e32 v1, v1, v0, vcc
; %bb.10761:                            ;   in Loop: Header=BB4_10749 Depth=3
	s_or_b64 exec, exec, s[36:37]
.LBB4_10762:                            ;   in Loop: Header=BB4_10749 Depth=3
	s_or_b64 exec, exec, s[34:35]
.LBB4_10763:                            ;   in Loop: Header=BB4_10749 Depth=3
	s_or_b64 exec, exec, s[28:29]
	v_mul_f32_e32 v2, v7, v1
	v_and_b32_e32 v3, 0x7f800000, v2
	v_mov_b32_e32 v4, v17
	v_cmp_ne_u64_e32 vcc, s[76:77], v[3:4]
	v_and_b32_e32 v0, 0x7fffff, v2
	v_mov_b32_e32 v1, v17
                                        ; implicit-def: $vgpr50
	s_and_saveexec_b64 s[28:29], vcc
	s_xor_b64 s[34:35], exec, s[28:29]
	s_cbranch_execz .LBB4_10781
; %bb.10764:                            ;   in Loop: Header=BB4_10749 Depth=3
	v_and_b32_e32 v3, 0x7fffffff, v2
	v_mov_b32_e32 v4, v17
	v_cmp_gt_u64_e32 vcc, s[78:79], v[3:4]
	v_and_b32_sdwa v3, v2, s96 dst_sel:DWORD dst_unused:UNUSED_PAD src0_sel:BYTE_3 src1_sel:DWORD
                                        ; implicit-def: $vgpr50
	s_and_saveexec_b64 s[28:29], vcc
	s_xor_b64 s[36:37], exec, s[28:29]
	s_cbranch_execz .LBB4_10778
; %bb.10765:                            ;   in Loop: Header=BB4_10749 Depth=3
	v_cmp_ne_u32_e32 vcc, 0, v2
	v_mov_b32_e32 v50, 0
	s_and_saveexec_b64 s[38:39], vcc
	s_cbranch_execz .LBB4_10777
; %bb.10766:                            ;   in Loop: Header=BB4_10749 Depth=3
	v_bfe_u32 v4, v2, 23, 8
	v_cmp_gt_u32_e64 s[28:29], s46, v4
	v_sub_u32_e32 v2, 0x71, v4
	v_cmp_eq_u32_e32 vcc, 0, v4
	v_cndmask_b32_e64 v2, 0, v2, s[28:29]
	v_mov_b32_e32 v5, 0x70
	v_cndmask_b32_e32 v5, v2, v5, vcc
	v_add_u32_e32 v2, 21, v5
	v_or_b32_e32 v6, 0x800000, v0
	v_lshlrev_b64 v[18:19], v2, -1
	v_cndmask_b32_e32 v0, v6, v0, vcc
	v_add_u32_e32 v2, 20, v5
	v_bfi_b32 v18, v18, 0, v0
	v_lshlrev_b64 v[20:21], v2, 1
	v_lshrrev_b64 v[0:1], v5, v[0:1]
	v_bfi_b32 v19, v19, 0, 0
	v_cmp_eq_u64_e64 s[28:29], v[18:19], v[20:21]
	v_mov_b32_e32 v2, v1
	v_mov_b32_e32 v1, v0
	s_and_saveexec_b64 s[48:49], s[28:29]
; %bb.10767:                            ;   in Loop: Header=BB4_10749 Depth=3
	v_bfe_u32 v1, v0, 21, 1
	v_add_co_u32_e64 v1, s[28:29], v0, v1
	v_add_co_u32_e64 v1, s[28:29], -1, v1
; %bb.10768:                            ;   in Loop: Header=BB4_10749 Depth=3
	s_or_b64 exec, exec, s[48:49]
	v_add_u32_e32 v2, 0xffffff81, v4
	v_mov_b32_e32 v4, 0xffffff82
	v_cndmask_b32_e32 v2, v2, v4, vcc
	v_lshrrev_b32_e32 v4, 23, v0
	v_add3_u32 v5, v5, v2, v4
	v_add_u32_e32 v4, 14, v5
	v_and_b32_e32 v1, 0x1fffff, v1
	v_add_u32_e32 v0, v1, v0
	v_mov_b32_e32 v1, v17
	v_cmp_ne_u32_e32 vcc, 0, v4
                                        ; implicit-def: $vgpr2
	s_and_saveexec_b64 s[28:29], vcc
	s_xor_b64 s[28:29], exec, s[28:29]
; %bb.10769:                            ;   in Loop: Header=BB4_10749 Depth=3
	v_cmp_lt_u64_e32 vcc, s[88:89], v[0:1]
	v_add_u32_e32 v2, 15, v5
	v_cndmask_b32_e32 v2, v4, v2, vcc
	v_cndmask_b32_e64 v4, 0, 1, vcc
	v_lshrrev_b64 v[0:1], v4, v[0:1]
; %bb.10770:                            ;   in Loop: Header=BB4_10749 Depth=3
	s_andn2_saveexec_b64 s[28:29], s[28:29]
; %bb.10771:                            ;   in Loop: Header=BB4_10749 Depth=3
	v_bfe_u32 v2, v0, 23, 1
; %bb.10772:                            ;   in Loop: Header=BB4_10749 Depth=3
	s_or_b64 exec, exec, s[28:29]
	v_lshrrev_b64 v[0:1], 21, v[0:1]
	v_cmp_gt_i32_e32 vcc, 32, v2
	v_cndmask_b32_e32 v1, 0, v1, vcc
	v_cndmask_b32_e32 v0, 3, v0, vcc
	v_cmp_ne_u64_e32 vcc, 0, v[0:1]
	v_cmp_ne_u32_e64 s[28:29], 0, v2
	s_or_b64 s[28:29], s[28:29], vcc
                                        ; implicit-def: $vgpr50
	s_and_saveexec_b64 vcc, s[28:29]
	s_xor_b64 s[28:29], exec, vcc
; %bb.10773:                            ;   in Loop: Header=BB4_10749 Depth=3
	v_min_i32_e32 v1, 31, v2
	v_lshl_or_b32 v1, v1, 2, v3
	v_and_or_b32 v50, v0, 3, v1
                                        ; implicit-def: $vgpr3
; %bb.10774:                            ;   in Loop: Header=BB4_10749 Depth=3
	s_andn2_saveexec_b64 s[28:29], s[28:29]
; %bb.10775:                            ;   in Loop: Header=BB4_10749 Depth=3
	v_mov_b32_e32 v50, v3
; %bb.10776:                            ;   in Loop: Header=BB4_10749 Depth=3
	s_or_b64 exec, exec, s[28:29]
.LBB4_10777:                            ;   in Loop: Header=BB4_10749 Depth=3
	s_or_b64 exec, exec, s[38:39]
                                        ; implicit-def: $vgpr3
.LBB4_10778:                            ;   in Loop: Header=BB4_10749 Depth=3
	s_andn2_saveexec_b64 s[28:29], s[36:37]
; %bb.10779:                            ;   in Loop: Header=BB4_10749 Depth=3
	v_or_b32_e32 v50, 0x7b, v3
; %bb.10780:                            ;   in Loop: Header=BB4_10749 Depth=3
	s_or_b64 exec, exec, s[28:29]
                                        ; implicit-def: $vgpr2
                                        ; implicit-def: $vgpr0_vgpr1
.LBB4_10781:                            ;   in Loop: Header=BB4_10749 Depth=3
	s_andn2_saveexec_b64 s[28:29], s[34:35]
	s_cbranch_execz .LBB4_10787
; %bb.10782:                            ;   in Loop: Header=BB4_10749 Depth=3
	v_cmp_ne_u64_e32 vcc, 0, v[0:1]
                                        ; implicit-def: $vgpr50
	s_and_saveexec_b64 s[34:35], vcc
	s_xor_b64 vcc, exec, s[34:35]
; %bb.10783:                            ;   in Loop: Header=BB4_10749 Depth=3
	v_or_b32_sdwa v50, v2, s47 dst_sel:DWORD dst_unused:UNUSED_PAD src0_sel:BYTE_3 src1_sel:DWORD
                                        ; implicit-def: $vgpr2
; %bb.10784:                            ;   in Loop: Header=BB4_10749 Depth=3
	s_andn2_saveexec_b64 s[34:35], vcc
; %bb.10785:                            ;   in Loop: Header=BB4_10749 Depth=3
	v_cmp_lt_i32_e32 vcc, -1, v2
	v_cndmask_b32_e32 v50, -4, v52, vcc
; %bb.10786:                            ;   in Loop: Header=BB4_10749 Depth=3
	s_or_b64 exec, exec, s[34:35]
.LBB4_10787:                            ;   in Loop: Header=BB4_10749 Depth=3
	s_or_b64 exec, exec, s[28:29]
	flat_load_sbyte v0, v[12:13] offset:64 glc slc
	v_mov_b32_e32 v1, 0
	s_waitcnt vmcnt(0) lgkmcnt(0)
	v_cmp_ne_u16_e32 vcc, 0, v0
	s_and_saveexec_b64 s[28:29], vcc
	s_cbranch_execz .LBB4_10795
; %bb.10788:                            ;   in Loop: Header=BB4_10749 Depth=3
	v_cmp_ne_u16_e32 vcc, s97, v0
	v_bfrev_b32_e32 v1, 1
	s_and_saveexec_b64 s[34:35], vcc
	s_cbranch_execz .LBB4_10794
; %bb.10789:                            ;   in Loop: Header=BB4_10749 Depth=3
	v_and_b32_e32 v1, 0x7c, v0
	v_and_b32_e32 v2, 3, v0
	v_cmp_ne_u32_e32 vcc, s85, v1
                                        ; implicit-def: $vgpr1
	s_and_saveexec_b64 s[36:37], vcc
	s_xor_b64 s[36:37], exec, s[36:37]
	s_cbranch_execz .LBB4_10791
; %bb.10790:                            ;   in Loop: Header=BB4_10749 Depth=3
	v_and_b32_e32 v3, 0xff, v0
	v_bfe_u32 v5, v3, 2, 5
	v_ffbh_u32_e32 v3, v2
	v_min_u32_e32 v6, 32, v3
	v_mov_b32_e32 v1, v17
	v_subrev_u32_e32 v3, 29, v6
	v_lshlrev_b64 v[3:4], v3, v[0:1]
	v_sub_u32_e32 v1, 30, v6
	v_cmp_eq_u32_e32 vcc, 0, v5
	v_and_b32_e32 v3, 3, v3
	v_cndmask_b32_e32 v1, v5, v1, vcc
	v_and_b32_sdwa v0, sext(v0), s86 dst_sel:DWORD dst_unused:UNUSED_PAD src0_sel:WORD_0 src1_sel:DWORD
	v_cndmask_b32_e32 v2, v2, v3, vcc
	v_lshl_add_u32 v0, v1, 23, v0
	v_lshl_or_b32 v0, v2, 21, v0
	v_add_u32_e32 v1, 0x38000000, v0
                                        ; implicit-def: $vgpr2
                                        ; implicit-def: $vgpr0
.LBB4_10791:                            ;   in Loop: Header=BB4_10749 Depth=3
	s_andn2_saveexec_b64 s[36:37], s[36:37]
; %bb.10792:                            ;   in Loop: Header=BB4_10749 Depth=3
	v_cmp_lt_i16_e32 vcc, -1, v0
	v_mov_b32_e32 v0, 0xff800000
	v_mov_b32_e32 v1, 0x7f800000
	v_cndmask_b32_e32 v0, v0, v1, vcc
	v_cmp_eq_u32_e32 vcc, 0, v2
	v_mov_b32_e32 v1, 0x7f800001
	v_cndmask_b32_e32 v1, v1, v0, vcc
; %bb.10793:                            ;   in Loop: Header=BB4_10749 Depth=3
	s_or_b64 exec, exec, s[36:37]
.LBB4_10794:                            ;   in Loop: Header=BB4_10749 Depth=3
	s_or_b64 exec, exec, s[34:35]
.LBB4_10795:                            ;   in Loop: Header=BB4_10749 Depth=3
	s_or_b64 exec, exec, s[28:29]
	v_mul_f32_e32 v2, v7, v1
	v_and_b32_e32 v3, 0x7f800000, v2
	v_mov_b32_e32 v4, v17
	v_cmp_ne_u64_e32 vcc, s[76:77], v[3:4]
	v_and_b32_e32 v0, 0x7fffff, v2
	v_mov_b32_e32 v1, v17
                                        ; implicit-def: $vgpr53
	s_and_saveexec_b64 s[28:29], vcc
	s_xor_b64 s[34:35], exec, s[28:29]
	s_cbranch_execz .LBB4_10813
; %bb.10796:                            ;   in Loop: Header=BB4_10749 Depth=3
	v_and_b32_e32 v3, 0x7fffffff, v2
	v_mov_b32_e32 v4, v17
	v_cmp_gt_u64_e32 vcc, s[78:79], v[3:4]
	v_and_b32_sdwa v3, v2, s96 dst_sel:DWORD dst_unused:UNUSED_PAD src0_sel:BYTE_3 src1_sel:DWORD
                                        ; implicit-def: $vgpr53
	s_and_saveexec_b64 s[28:29], vcc
	s_xor_b64 s[36:37], exec, s[28:29]
	s_cbranch_execz .LBB4_10810
; %bb.10797:                            ;   in Loop: Header=BB4_10749 Depth=3
	v_cmp_ne_u32_e32 vcc, 0, v2
	v_mov_b32_e32 v53, 0
	s_and_saveexec_b64 s[38:39], vcc
	s_cbranch_execz .LBB4_10809
; %bb.10798:                            ;   in Loop: Header=BB4_10749 Depth=3
	v_bfe_u32 v4, v2, 23, 8
	v_cmp_gt_u32_e64 s[28:29], s46, v4
	v_sub_u32_e32 v2, 0x71, v4
	v_cmp_eq_u32_e32 vcc, 0, v4
	v_cndmask_b32_e64 v2, 0, v2, s[28:29]
	v_mov_b32_e32 v5, 0x70
	v_cndmask_b32_e32 v5, v2, v5, vcc
	v_add_u32_e32 v2, 21, v5
	v_or_b32_e32 v6, 0x800000, v0
	v_lshlrev_b64 v[18:19], v2, -1
	v_cndmask_b32_e32 v0, v6, v0, vcc
	v_add_u32_e32 v2, 20, v5
	v_bfi_b32 v18, v18, 0, v0
	v_lshlrev_b64 v[20:21], v2, 1
	v_lshrrev_b64 v[0:1], v5, v[0:1]
	v_bfi_b32 v19, v19, 0, 0
	v_cmp_eq_u64_e64 s[28:29], v[18:19], v[20:21]
	v_mov_b32_e32 v2, v1
	v_mov_b32_e32 v1, v0
	s_and_saveexec_b64 s[48:49], s[28:29]
; %bb.10799:                            ;   in Loop: Header=BB4_10749 Depth=3
	v_bfe_u32 v1, v0, 21, 1
	v_add_co_u32_e64 v1, s[28:29], v0, v1
	v_add_co_u32_e64 v1, s[28:29], -1, v1
; %bb.10800:                            ;   in Loop: Header=BB4_10749 Depth=3
	s_or_b64 exec, exec, s[48:49]
	v_add_u32_e32 v2, 0xffffff81, v4
	v_mov_b32_e32 v4, 0xffffff82
	v_cndmask_b32_e32 v2, v2, v4, vcc
	v_lshrrev_b32_e32 v4, 23, v0
	v_add3_u32 v5, v5, v2, v4
	v_add_u32_e32 v4, 14, v5
	v_and_b32_e32 v1, 0x1fffff, v1
	v_add_u32_e32 v0, v1, v0
	v_mov_b32_e32 v1, v17
	v_cmp_ne_u32_e32 vcc, 0, v4
                                        ; implicit-def: $vgpr2
	s_and_saveexec_b64 s[28:29], vcc
	s_xor_b64 s[28:29], exec, s[28:29]
; %bb.10801:                            ;   in Loop: Header=BB4_10749 Depth=3
	v_cmp_lt_u64_e32 vcc, s[88:89], v[0:1]
	v_add_u32_e32 v2, 15, v5
	v_cndmask_b32_e32 v2, v4, v2, vcc
	v_cndmask_b32_e64 v4, 0, 1, vcc
	v_lshrrev_b64 v[0:1], v4, v[0:1]
; %bb.10802:                            ;   in Loop: Header=BB4_10749 Depth=3
	s_andn2_saveexec_b64 s[28:29], s[28:29]
; %bb.10803:                            ;   in Loop: Header=BB4_10749 Depth=3
	v_bfe_u32 v2, v0, 23, 1
; %bb.10804:                            ;   in Loop: Header=BB4_10749 Depth=3
	s_or_b64 exec, exec, s[28:29]
	v_lshrrev_b64 v[0:1], 21, v[0:1]
	v_cmp_gt_i32_e32 vcc, 32, v2
	v_cndmask_b32_e32 v1, 0, v1, vcc
	v_cndmask_b32_e32 v0, 3, v0, vcc
	v_cmp_ne_u64_e32 vcc, 0, v[0:1]
	v_cmp_ne_u32_e64 s[28:29], 0, v2
	s_or_b64 s[28:29], s[28:29], vcc
                                        ; implicit-def: $vgpr53
	s_and_saveexec_b64 vcc, s[28:29]
	s_xor_b64 s[28:29], exec, vcc
; %bb.10805:                            ;   in Loop: Header=BB4_10749 Depth=3
	v_min_i32_e32 v1, 31, v2
	v_lshl_or_b32 v1, v1, 2, v3
	v_and_or_b32 v53, v0, 3, v1
                                        ; implicit-def: $vgpr3
; %bb.10806:                            ;   in Loop: Header=BB4_10749 Depth=3
	s_andn2_saveexec_b64 s[28:29], s[28:29]
; %bb.10807:                            ;   in Loop: Header=BB4_10749 Depth=3
	v_mov_b32_e32 v53, v3
; %bb.10808:                            ;   in Loop: Header=BB4_10749 Depth=3
	s_or_b64 exec, exec, s[28:29]
.LBB4_10809:                            ;   in Loop: Header=BB4_10749 Depth=3
	s_or_b64 exec, exec, s[38:39]
                                        ; implicit-def: $vgpr3
.LBB4_10810:                            ;   in Loop: Header=BB4_10749 Depth=3
	s_andn2_saveexec_b64 s[28:29], s[36:37]
; %bb.10811:                            ;   in Loop: Header=BB4_10749 Depth=3
	v_or_b32_e32 v53, 0x7b, v3
; %bb.10812:                            ;   in Loop: Header=BB4_10749 Depth=3
	s_or_b64 exec, exec, s[28:29]
                                        ; implicit-def: $vgpr2
                                        ; implicit-def: $vgpr0_vgpr1
.LBB4_10813:                            ;   in Loop: Header=BB4_10749 Depth=3
	s_andn2_saveexec_b64 s[28:29], s[34:35]
	s_cbranch_execz .LBB4_10819
; %bb.10814:                            ;   in Loop: Header=BB4_10749 Depth=3
	v_cmp_ne_u64_e32 vcc, 0, v[0:1]
                                        ; implicit-def: $vgpr53
	s_and_saveexec_b64 s[34:35], vcc
	s_xor_b64 vcc, exec, s[34:35]
; %bb.10815:                            ;   in Loop: Header=BB4_10749 Depth=3
	v_or_b32_sdwa v53, v2, s47 dst_sel:DWORD dst_unused:UNUSED_PAD src0_sel:BYTE_3 src1_sel:DWORD
                                        ; implicit-def: $vgpr2
; %bb.10816:                            ;   in Loop: Header=BB4_10749 Depth=3
	s_andn2_saveexec_b64 s[34:35], vcc
; %bb.10817:                            ;   in Loop: Header=BB4_10749 Depth=3
	v_cmp_lt_i32_e32 vcc, -1, v2
	v_cndmask_b32_e32 v53, -4, v52, vcc
; %bb.10818:                            ;   in Loop: Header=BB4_10749 Depth=3
	s_or_b64 exec, exec, s[34:35]
.LBB4_10819:                            ;   in Loop: Header=BB4_10749 Depth=3
	s_or_b64 exec, exec, s[28:29]
	flat_load_sbyte v0, v[12:13] offset:128 glc slc
	v_mov_b32_e32 v1, 0
	s_waitcnt vmcnt(0) lgkmcnt(0)
	v_cmp_ne_u16_e32 vcc, 0, v0
	s_and_saveexec_b64 s[28:29], vcc
	s_cbranch_execz .LBB4_10827
; %bb.10820:                            ;   in Loop: Header=BB4_10749 Depth=3
	v_cmp_ne_u16_e32 vcc, s97, v0
	v_bfrev_b32_e32 v1, 1
	s_and_saveexec_b64 s[34:35], vcc
	s_cbranch_execz .LBB4_10826
; %bb.10821:                            ;   in Loop: Header=BB4_10749 Depth=3
	v_and_b32_e32 v1, 0x7c, v0
	v_and_b32_e32 v2, 3, v0
	v_cmp_ne_u32_e32 vcc, s85, v1
                                        ; implicit-def: $vgpr1
	s_and_saveexec_b64 s[36:37], vcc
	s_xor_b64 s[36:37], exec, s[36:37]
	s_cbranch_execz .LBB4_10823
; %bb.10822:                            ;   in Loop: Header=BB4_10749 Depth=3
	v_and_b32_e32 v3, 0xff, v0
	v_bfe_u32 v5, v3, 2, 5
	v_ffbh_u32_e32 v3, v2
	v_min_u32_e32 v6, 32, v3
	v_mov_b32_e32 v1, v17
	v_subrev_u32_e32 v3, 29, v6
	v_lshlrev_b64 v[3:4], v3, v[0:1]
	v_sub_u32_e32 v1, 30, v6
	v_cmp_eq_u32_e32 vcc, 0, v5
	v_and_b32_e32 v3, 3, v3
	v_cndmask_b32_e32 v1, v5, v1, vcc
	v_and_b32_sdwa v0, sext(v0), s86 dst_sel:DWORD dst_unused:UNUSED_PAD src0_sel:WORD_0 src1_sel:DWORD
	v_cndmask_b32_e32 v2, v2, v3, vcc
	v_lshl_add_u32 v0, v1, 23, v0
	v_lshl_or_b32 v0, v2, 21, v0
	v_add_u32_e32 v1, 0x38000000, v0
                                        ; implicit-def: $vgpr2
                                        ; implicit-def: $vgpr0
.LBB4_10823:                            ;   in Loop: Header=BB4_10749 Depth=3
	s_andn2_saveexec_b64 s[36:37], s[36:37]
; %bb.10824:                            ;   in Loop: Header=BB4_10749 Depth=3
	v_cmp_lt_i16_e32 vcc, -1, v0
	v_mov_b32_e32 v0, 0xff800000
	v_mov_b32_e32 v1, 0x7f800000
	v_cndmask_b32_e32 v0, v0, v1, vcc
	v_cmp_eq_u32_e32 vcc, 0, v2
	v_mov_b32_e32 v1, 0x7f800001
	v_cndmask_b32_e32 v1, v1, v0, vcc
; %bb.10825:                            ;   in Loop: Header=BB4_10749 Depth=3
	s_or_b64 exec, exec, s[36:37]
.LBB4_10826:                            ;   in Loop: Header=BB4_10749 Depth=3
	s_or_b64 exec, exec, s[34:35]
.LBB4_10827:                            ;   in Loop: Header=BB4_10749 Depth=3
	s_or_b64 exec, exec, s[28:29]
	v_mul_f32_e32 v4, v7, v1
	v_and_b32_e32 v1, 0x7f800000, v4
	v_mov_b32_e32 v2, v17
	v_cmp_ne_u64_e32 vcc, s[76:77], v[1:2]
	v_and_b32_e32 v0, 0x7fffff, v4
	v_mov_b32_e32 v1, v17
                                        ; implicit-def: $vgpr2
	s_and_saveexec_b64 s[28:29], vcc
	s_xor_b64 s[34:35], exec, s[28:29]
	s_cbranch_execz .LBB4_10845
; %bb.10828:                            ;   in Loop: Header=BB4_10749 Depth=3
	v_and_b32_e32 v2, 0x7fffffff, v4
	v_mov_b32_e32 v3, v17
	v_cmp_gt_u64_e32 vcc, s[78:79], v[2:3]
	v_and_b32_sdwa v3, v4, s96 dst_sel:DWORD dst_unused:UNUSED_PAD src0_sel:BYTE_3 src1_sel:DWORD
                                        ; implicit-def: $vgpr2
	s_and_saveexec_b64 s[28:29], vcc
	s_xor_b64 s[36:37], exec, s[28:29]
	s_cbranch_execz .LBB4_10842
; %bb.10829:                            ;   in Loop: Header=BB4_10749 Depth=3
	v_cmp_ne_u32_e32 vcc, 0, v4
	v_mov_b32_e32 v2, 0
	s_and_saveexec_b64 s[38:39], vcc
	s_cbranch_execz .LBB4_10841
; %bb.10830:                            ;   in Loop: Header=BB4_10749 Depth=3
	v_bfe_u32 v4, v4, 23, 8
	v_cmp_gt_u32_e64 s[28:29], s46, v4
	v_sub_u32_e32 v2, 0x71, v4
	v_cmp_eq_u32_e32 vcc, 0, v4
	v_cndmask_b32_e64 v2, 0, v2, s[28:29]
	v_mov_b32_e32 v5, 0x70
	v_cndmask_b32_e32 v5, v2, v5, vcc
	v_add_u32_e32 v2, 21, v5
	v_or_b32_e32 v6, 0x800000, v0
	v_lshlrev_b64 v[18:19], v2, -1
	v_cndmask_b32_e32 v0, v6, v0, vcc
	v_add_u32_e32 v2, 20, v5
	v_bfi_b32 v18, v18, 0, v0
	v_lshlrev_b64 v[20:21], v2, 1
	v_lshrrev_b64 v[0:1], v5, v[0:1]
	v_bfi_b32 v19, v19, 0, 0
	v_cmp_eq_u64_e64 s[28:29], v[18:19], v[20:21]
	v_mov_b32_e32 v2, v1
	v_mov_b32_e32 v1, v0
	s_and_saveexec_b64 s[48:49], s[28:29]
; %bb.10831:                            ;   in Loop: Header=BB4_10749 Depth=3
	v_bfe_u32 v1, v0, 21, 1
	v_add_co_u32_e64 v1, s[28:29], v0, v1
	v_add_co_u32_e64 v1, s[28:29], -1, v1
; %bb.10832:                            ;   in Loop: Header=BB4_10749 Depth=3
	s_or_b64 exec, exec, s[48:49]
	v_add_u32_e32 v2, 0xffffff81, v4
	v_mov_b32_e32 v4, 0xffffff82
	v_cndmask_b32_e32 v2, v2, v4, vcc
	v_lshrrev_b32_e32 v4, 23, v0
	v_add3_u32 v5, v5, v2, v4
	v_add_u32_e32 v2, 14, v5
	v_and_b32_e32 v1, 0x1fffff, v1
	v_add_u32_e32 v0, v1, v0
	v_mov_b32_e32 v1, v17
	v_cmp_ne_u32_e32 vcc, 0, v2
                                        ; implicit-def: $vgpr4
	s_and_saveexec_b64 s[28:29], vcc
	s_xor_b64 s[28:29], exec, s[28:29]
; %bb.10833:                            ;   in Loop: Header=BB4_10749 Depth=3
	v_cmp_lt_u64_e32 vcc, s[88:89], v[0:1]
	v_add_u32_e32 v4, 15, v5
	v_cndmask_b32_e32 v4, v2, v4, vcc
	v_cndmask_b32_e64 v2, 0, 1, vcc
	v_lshrrev_b64 v[0:1], v2, v[0:1]
; %bb.10834:                            ;   in Loop: Header=BB4_10749 Depth=3
	s_andn2_saveexec_b64 s[28:29], s[28:29]
; %bb.10835:                            ;   in Loop: Header=BB4_10749 Depth=3
	v_bfe_u32 v4, v0, 23, 1
; %bb.10836:                            ;   in Loop: Header=BB4_10749 Depth=3
	s_or_b64 exec, exec, s[28:29]
	v_lshrrev_b64 v[0:1], 21, v[0:1]
	v_cmp_gt_i32_e32 vcc, 32, v4
	v_cndmask_b32_e32 v1, 0, v1, vcc
	v_cndmask_b32_e32 v0, 3, v0, vcc
	v_cmp_ne_u64_e32 vcc, 0, v[0:1]
	v_cmp_ne_u32_e64 s[28:29], 0, v4
	s_or_b64 s[28:29], s[28:29], vcc
                                        ; implicit-def: $vgpr2
	s_and_saveexec_b64 vcc, s[28:29]
	s_xor_b64 s[28:29], exec, vcc
; %bb.10837:                            ;   in Loop: Header=BB4_10749 Depth=3
	v_min_i32_e32 v1, 31, v4
	v_lshl_or_b32 v1, v1, 2, v3
	v_and_or_b32 v2, v0, 3, v1
                                        ; implicit-def: $vgpr3
; %bb.10838:                            ;   in Loop: Header=BB4_10749 Depth=3
	s_andn2_saveexec_b64 s[28:29], s[28:29]
; %bb.10839:                            ;   in Loop: Header=BB4_10749 Depth=3
	v_mov_b32_e32 v2, v3
; %bb.10840:                            ;   in Loop: Header=BB4_10749 Depth=3
	s_or_b64 exec, exec, s[28:29]
.LBB4_10841:                            ;   in Loop: Header=BB4_10749 Depth=3
	s_or_b64 exec, exec, s[38:39]
                                        ; implicit-def: $vgpr3
.LBB4_10842:                            ;   in Loop: Header=BB4_10749 Depth=3
	s_andn2_saveexec_b64 s[28:29], s[36:37]
; %bb.10843:                            ;   in Loop: Header=BB4_10749 Depth=3
	v_or_b32_e32 v2, 0x7b, v3
; %bb.10844:                            ;   in Loop: Header=BB4_10749 Depth=3
	s_or_b64 exec, exec, s[28:29]
                                        ; implicit-def: $vgpr4
                                        ; implicit-def: $vgpr0_vgpr1
.LBB4_10845:                            ;   in Loop: Header=BB4_10749 Depth=3
	s_andn2_saveexec_b64 s[28:29], s[34:35]
	s_cbranch_execz .LBB4_10851
; %bb.10846:                            ;   in Loop: Header=BB4_10749 Depth=3
	v_cmp_ne_u64_e32 vcc, 0, v[0:1]
                                        ; implicit-def: $vgpr2
	s_and_saveexec_b64 s[34:35], vcc
	s_xor_b64 vcc, exec, s[34:35]
; %bb.10847:                            ;   in Loop: Header=BB4_10749 Depth=3
	v_or_b32_sdwa v2, v4, s47 dst_sel:DWORD dst_unused:UNUSED_PAD src0_sel:BYTE_3 src1_sel:DWORD
                                        ; implicit-def: $vgpr4
; %bb.10848:                            ;   in Loop: Header=BB4_10749 Depth=3
	s_andn2_saveexec_b64 s[34:35], vcc
; %bb.10849:                            ;   in Loop: Header=BB4_10749 Depth=3
	v_cmp_lt_i32_e32 vcc, -1, v4
	v_cndmask_b32_e32 v2, -4, v52, vcc
; %bb.10850:                            ;   in Loop: Header=BB4_10749 Depth=3
	s_or_b64 exec, exec, s[34:35]
.LBB4_10851:                            ;   in Loop: Header=BB4_10749 Depth=3
	s_or_b64 exec, exec, s[28:29]
	flat_load_sbyte v0, v[12:13] offset:192 glc slc
	v_mov_b32_e32 v1, 0
	s_waitcnt vmcnt(0) lgkmcnt(0)
	v_cmp_ne_u16_e32 vcc, 0, v0
	s_and_saveexec_b64 s[28:29], vcc
	s_cbranch_execz .LBB4_10859
; %bb.10852:                            ;   in Loop: Header=BB4_10749 Depth=3
	v_cmp_ne_u16_e32 vcc, s97, v0
	v_bfrev_b32_e32 v1, 1
	s_and_saveexec_b64 s[34:35], vcc
	s_cbranch_execz .LBB4_10858
; %bb.10853:                            ;   in Loop: Header=BB4_10749 Depth=3
	v_and_b32_e32 v1, 0x7c, v0
	v_and_b32_e32 v3, 3, v0
	v_cmp_ne_u32_e32 vcc, s85, v1
                                        ; implicit-def: $vgpr1
	s_and_saveexec_b64 s[36:37], vcc
	s_xor_b64 s[36:37], exec, s[36:37]
	s_cbranch_execz .LBB4_10855
; %bb.10854:                            ;   in Loop: Header=BB4_10749 Depth=3
	v_and_b32_e32 v4, 0xff, v0
	v_bfe_u32 v6, v4, 2, 5
	v_ffbh_u32_e32 v4, v3
	v_min_u32_e32 v18, 32, v4
	v_mov_b32_e32 v1, v17
	v_subrev_u32_e32 v4, 29, v18
	v_lshlrev_b64 v[4:5], v4, v[0:1]
	v_sub_u32_e32 v1, 30, v18
	v_cmp_eq_u32_e32 vcc, 0, v6
	v_and_b32_e32 v4, 3, v4
	v_cndmask_b32_e32 v1, v6, v1, vcc
	v_and_b32_sdwa v0, sext(v0), s86 dst_sel:DWORD dst_unused:UNUSED_PAD src0_sel:WORD_0 src1_sel:DWORD
	v_cndmask_b32_e32 v3, v3, v4, vcc
	v_lshl_add_u32 v0, v1, 23, v0
	v_lshl_or_b32 v0, v3, 21, v0
	v_add_u32_e32 v1, 0x38000000, v0
                                        ; implicit-def: $vgpr3
                                        ; implicit-def: $vgpr0
.LBB4_10855:                            ;   in Loop: Header=BB4_10749 Depth=3
	s_andn2_saveexec_b64 s[36:37], s[36:37]
; %bb.10856:                            ;   in Loop: Header=BB4_10749 Depth=3
	v_cmp_lt_i16_e32 vcc, -1, v0
	v_mov_b32_e32 v0, 0xff800000
	v_mov_b32_e32 v1, 0x7f800000
	v_cndmask_b32_e32 v0, v0, v1, vcc
	v_cmp_eq_u32_e32 vcc, 0, v3
	v_mov_b32_e32 v1, 0x7f800001
	v_cndmask_b32_e32 v1, v1, v0, vcc
; %bb.10857:                            ;   in Loop: Header=BB4_10749 Depth=3
	s_or_b64 exec, exec, s[36:37]
.LBB4_10858:                            ;   in Loop: Header=BB4_10749 Depth=3
	s_or_b64 exec, exec, s[34:35]
.LBB4_10859:                            ;   in Loop: Header=BB4_10749 Depth=3
	s_or_b64 exec, exec, s[28:29]
	v_mul_f32_e32 v3, v7, v1
	v_and_b32_e32 v4, 0x7f800000, v3
	v_mov_b32_e32 v5, v17
	v_cmp_ne_u64_e32 vcc, s[76:77], v[4:5]
	v_and_b32_e32 v0, 0x7fffff, v3
	v_mov_b32_e32 v1, v17
                                        ; implicit-def: $vgpr4
	s_and_saveexec_b64 s[28:29], vcc
	s_xor_b64 s[34:35], exec, s[28:29]
	s_cbranch_execz .LBB4_10877
; %bb.10860:                            ;   in Loop: Header=BB4_10749 Depth=3
	v_and_b32_e32 v4, 0x7fffffff, v3
	v_mov_b32_e32 v5, v17
	v_cmp_gt_u64_e32 vcc, s[78:79], v[4:5]
	v_and_b32_sdwa v5, v3, s96 dst_sel:DWORD dst_unused:UNUSED_PAD src0_sel:BYTE_3 src1_sel:DWORD
                                        ; implicit-def: $vgpr4
	s_and_saveexec_b64 s[28:29], vcc
	s_xor_b64 s[36:37], exec, s[28:29]
	s_cbranch_execz .LBB4_10874
; %bb.10861:                            ;   in Loop: Header=BB4_10749 Depth=3
	v_cmp_ne_u32_e32 vcc, 0, v3
	v_mov_b32_e32 v4, 0
	s_and_saveexec_b64 s[38:39], vcc
	s_cbranch_execz .LBB4_10873
; %bb.10862:                            ;   in Loop: Header=BB4_10749 Depth=3
	v_bfe_u32 v6, v3, 23, 8
	v_cmp_gt_u32_e64 s[28:29], s46, v6
	v_sub_u32_e32 v3, 0x71, v6
	v_cmp_eq_u32_e32 vcc, 0, v6
	v_cndmask_b32_e64 v3, 0, v3, s[28:29]
	v_mov_b32_e32 v18, 0x70
	v_cndmask_b32_e32 v18, v3, v18, vcc
	v_or_b32_e32 v4, 0x800000, v0
	v_add_u32_e32 v3, 21, v18
	v_cndmask_b32_e32 v0, v4, v0, vcc
	v_lshlrev_b64 v[3:4], v3, -1
	v_add_u32_e32 v19, 20, v18
	v_bfi_b32 v3, v3, 0, v0
	v_lshlrev_b64 v[19:20], v19, 1
	v_lshrrev_b64 v[0:1], v18, v[0:1]
	v_bfi_b32 v4, v4, 0, 0
	v_cmp_eq_u64_e64 s[28:29], v[3:4], v[19:20]
	v_mov_b32_e32 v4, v1
	v_mov_b32_e32 v3, v0
	s_and_saveexec_b64 s[48:49], s[28:29]
; %bb.10863:                            ;   in Loop: Header=BB4_10749 Depth=3
	v_bfe_u32 v1, v0, 21, 1
	v_add_co_u32_e64 v1, s[28:29], v0, v1
	v_add_co_u32_e64 v3, s[28:29], -1, v1
; %bb.10864:                            ;   in Loop: Header=BB4_10749 Depth=3
	s_or_b64 exec, exec, s[48:49]
	v_add_u32_e32 v1, 0xffffff81, v6
	v_mov_b32_e32 v4, 0xffffff82
	v_cndmask_b32_e32 v1, v1, v4, vcc
	v_lshrrev_b32_e32 v4, 23, v0
	v_add3_u32 v6, v18, v1, v4
	v_add_u32_e32 v4, 14, v6
	v_and_b32_e32 v1, 0x1fffff, v3
	v_add_u32_e32 v0, v1, v0
	v_mov_b32_e32 v1, v17
	v_cmp_ne_u32_e32 vcc, 0, v4
                                        ; implicit-def: $vgpr3
	s_and_saveexec_b64 s[28:29], vcc
	s_xor_b64 s[28:29], exec, s[28:29]
; %bb.10865:                            ;   in Loop: Header=BB4_10749 Depth=3
	v_cmp_lt_u64_e32 vcc, s[88:89], v[0:1]
	v_add_u32_e32 v3, 15, v6
	v_cndmask_b32_e32 v3, v4, v3, vcc
	v_cndmask_b32_e64 v4, 0, 1, vcc
	v_lshrrev_b64 v[0:1], v4, v[0:1]
; %bb.10866:                            ;   in Loop: Header=BB4_10749 Depth=3
	s_andn2_saveexec_b64 s[28:29], s[28:29]
; %bb.10867:                            ;   in Loop: Header=BB4_10749 Depth=3
	v_bfe_u32 v3, v0, 23, 1
; %bb.10868:                            ;   in Loop: Header=BB4_10749 Depth=3
	s_or_b64 exec, exec, s[28:29]
	v_lshrrev_b64 v[0:1], 21, v[0:1]
	v_cmp_gt_i32_e32 vcc, 32, v3
	v_cndmask_b32_e32 v1, 0, v1, vcc
	v_cndmask_b32_e32 v0, 3, v0, vcc
	v_cmp_ne_u64_e32 vcc, 0, v[0:1]
	v_cmp_ne_u32_e64 s[28:29], 0, v3
	s_or_b64 s[28:29], s[28:29], vcc
                                        ; implicit-def: $vgpr4
	s_and_saveexec_b64 vcc, s[28:29]
	s_xor_b64 s[28:29], exec, vcc
; %bb.10869:                            ;   in Loop: Header=BB4_10749 Depth=3
	v_min_i32_e32 v1, 31, v3
	v_lshl_or_b32 v1, v1, 2, v5
	v_and_or_b32 v4, v0, 3, v1
                                        ; implicit-def: $vgpr5
; %bb.10870:                            ;   in Loop: Header=BB4_10749 Depth=3
	s_andn2_saveexec_b64 s[28:29], s[28:29]
; %bb.10871:                            ;   in Loop: Header=BB4_10749 Depth=3
	v_mov_b32_e32 v4, v5
; %bb.10872:                            ;   in Loop: Header=BB4_10749 Depth=3
	s_or_b64 exec, exec, s[28:29]
.LBB4_10873:                            ;   in Loop: Header=BB4_10749 Depth=3
	s_or_b64 exec, exec, s[38:39]
                                        ; implicit-def: $vgpr5
.LBB4_10874:                            ;   in Loop: Header=BB4_10749 Depth=3
	s_andn2_saveexec_b64 s[28:29], s[36:37]
; %bb.10875:                            ;   in Loop: Header=BB4_10749 Depth=3
	v_or_b32_e32 v4, 0x7b, v5
; %bb.10876:                            ;   in Loop: Header=BB4_10749 Depth=3
	s_or_b64 exec, exec, s[28:29]
                                        ; implicit-def: $vgpr3
                                        ; implicit-def: $vgpr0_vgpr1
.LBB4_10877:                            ;   in Loop: Header=BB4_10749 Depth=3
	s_andn2_saveexec_b64 s[28:29], s[34:35]
	s_cbranch_execz .LBB4_10883
; %bb.10878:                            ;   in Loop: Header=BB4_10749 Depth=3
	v_cmp_ne_u64_e32 vcc, 0, v[0:1]
                                        ; implicit-def: $vgpr4
	s_and_saveexec_b64 s[34:35], vcc
	s_xor_b64 vcc, exec, s[34:35]
; %bb.10879:                            ;   in Loop: Header=BB4_10749 Depth=3
	v_or_b32_sdwa v4, v3, s47 dst_sel:DWORD dst_unused:UNUSED_PAD src0_sel:BYTE_3 src1_sel:DWORD
                                        ; implicit-def: $vgpr3
; %bb.10880:                            ;   in Loop: Header=BB4_10749 Depth=3
	s_andn2_saveexec_b64 s[34:35], vcc
; %bb.10881:                            ;   in Loop: Header=BB4_10749 Depth=3
	v_cmp_lt_i32_e32 vcc, -1, v3
	v_cndmask_b32_e32 v4, -4, v52, vcc
; %bb.10882:                            ;   in Loop: Header=BB4_10749 Depth=3
	s_or_b64 exec, exec, s[34:35]
.LBB4_10883:                            ;   in Loop: Header=BB4_10749 Depth=3
	s_or_b64 exec, exec, s[28:29]
	flat_load_sbyte v0, v[12:13] offset:256 glc slc
	v_mov_b32_e32 v1, 0
	s_waitcnt vmcnt(0) lgkmcnt(0)
	v_cmp_ne_u16_e32 vcc, 0, v0
	s_and_saveexec_b64 s[28:29], vcc
	s_cbranch_execz .LBB4_10891
; %bb.10884:                            ;   in Loop: Header=BB4_10749 Depth=3
	v_cmp_ne_u16_e32 vcc, s97, v0
	v_bfrev_b32_e32 v1, 1
	s_and_saveexec_b64 s[34:35], vcc
	s_cbranch_execz .LBB4_10890
; %bb.10885:                            ;   in Loop: Header=BB4_10749 Depth=3
	v_and_b32_e32 v1, 0x7c, v0
	v_and_b32_e32 v3, 3, v0
	v_cmp_ne_u32_e32 vcc, s85, v1
                                        ; implicit-def: $vgpr1
	s_and_saveexec_b64 s[36:37], vcc
	s_xor_b64 s[36:37], exec, s[36:37]
	s_cbranch_execz .LBB4_10887
; %bb.10886:                            ;   in Loop: Header=BB4_10749 Depth=3
	v_and_b32_e32 v5, 0xff, v0
	v_bfe_u32 v18, v5, 2, 5
	v_ffbh_u32_e32 v5, v3
	v_min_u32_e32 v19, 32, v5
	v_mov_b32_e32 v1, v17
	v_subrev_u32_e32 v5, 29, v19
	v_lshlrev_b64 v[5:6], v5, v[0:1]
	v_sub_u32_e32 v1, 30, v19
	v_cmp_eq_u32_e32 vcc, 0, v18
	v_and_b32_e32 v5, 3, v5
	v_cndmask_b32_e32 v1, v18, v1, vcc
	v_and_b32_sdwa v0, sext(v0), s86 dst_sel:DWORD dst_unused:UNUSED_PAD src0_sel:WORD_0 src1_sel:DWORD
	v_cndmask_b32_e32 v3, v3, v5, vcc
	v_lshl_add_u32 v0, v1, 23, v0
	v_lshl_or_b32 v0, v3, 21, v0
	v_add_u32_e32 v1, 0x38000000, v0
                                        ; implicit-def: $vgpr3
                                        ; implicit-def: $vgpr0
.LBB4_10887:                            ;   in Loop: Header=BB4_10749 Depth=3
	s_andn2_saveexec_b64 s[36:37], s[36:37]
; %bb.10888:                            ;   in Loop: Header=BB4_10749 Depth=3
	v_cmp_lt_i16_e32 vcc, -1, v0
	v_mov_b32_e32 v0, 0xff800000
	v_mov_b32_e32 v1, 0x7f800000
	v_cndmask_b32_e32 v0, v0, v1, vcc
	v_cmp_eq_u32_e32 vcc, 0, v3
	v_mov_b32_e32 v1, 0x7f800001
	v_cndmask_b32_e32 v1, v1, v0, vcc
; %bb.10889:                            ;   in Loop: Header=BB4_10749 Depth=3
	s_or_b64 exec, exec, s[36:37]
.LBB4_10890:                            ;   in Loop: Header=BB4_10749 Depth=3
	s_or_b64 exec, exec, s[34:35]
.LBB4_10891:                            ;   in Loop: Header=BB4_10749 Depth=3
	s_or_b64 exec, exec, s[28:29]
	v_mul_f32_e32 v5, v7, v1
	v_and_b32_e32 v18, 0x7f800000, v5
	v_mov_b32_e32 v19, v17
	v_cmp_ne_u64_e32 vcc, s[76:77], v[18:19]
	v_and_b32_e32 v0, 0x7fffff, v5
	v_mov_b32_e32 v1, v17
                                        ; implicit-def: $vgpr36
	s_and_saveexec_b64 s[28:29], vcc
	s_xor_b64 s[34:35], exec, s[28:29]
	s_cbranch_execz .LBB4_10909
; %bb.10892:                            ;   in Loop: Header=BB4_10749 Depth=3
	v_and_b32_e32 v18, 0x7fffffff, v5
	v_mov_b32_e32 v19, v17
	v_cmp_gt_u64_e32 vcc, s[78:79], v[18:19]
	v_and_b32_sdwa v3, v5, s96 dst_sel:DWORD dst_unused:UNUSED_PAD src0_sel:BYTE_3 src1_sel:DWORD
                                        ; implicit-def: $vgpr36
	s_and_saveexec_b64 s[28:29], vcc
	s_xor_b64 s[36:37], exec, s[28:29]
	s_cbranch_execz .LBB4_10906
; %bb.10893:                            ;   in Loop: Header=BB4_10749 Depth=3
	v_cmp_ne_u32_e32 vcc, 0, v5
	v_mov_b32_e32 v36, 0
	s_and_saveexec_b64 s[38:39], vcc
	s_cbranch_execz .LBB4_10905
; %bb.10894:                            ;   in Loop: Header=BB4_10749 Depth=3
	v_bfe_u32 v18, v5, 23, 8
	v_cmp_gt_u32_e64 s[28:29], s46, v18
	v_sub_u32_e32 v5, 0x71, v18
	v_cmp_eq_u32_e32 vcc, 0, v18
	v_cndmask_b32_e64 v5, 0, v5, s[28:29]
	v_mov_b32_e32 v19, 0x70
	v_cndmask_b32_e32 v19, v5, v19, vcc
	v_or_b32_e32 v6, 0x800000, v0
	v_add_u32_e32 v5, 21, v19
	v_cndmask_b32_e32 v0, v6, v0, vcc
	v_lshlrev_b64 v[5:6], v5, -1
	v_add_u32_e32 v20, 20, v19
	v_bfi_b32 v5, v5, 0, v0
	v_lshlrev_b64 v[20:21], v20, 1
	v_lshrrev_b64 v[0:1], v19, v[0:1]
	v_bfi_b32 v6, v6, 0, 0
	v_cmp_eq_u64_e64 s[28:29], v[5:6], v[20:21]
	v_mov_b32_e32 v6, v1
	v_mov_b32_e32 v5, v0
	s_and_saveexec_b64 s[48:49], s[28:29]
; %bb.10895:                            ;   in Loop: Header=BB4_10749 Depth=3
	v_bfe_u32 v1, v0, 21, 1
	v_add_co_u32_e64 v1, s[28:29], v0, v1
	v_add_co_u32_e64 v5, s[28:29], -1, v1
; %bb.10896:                            ;   in Loop: Header=BB4_10749 Depth=3
	s_or_b64 exec, exec, s[48:49]
	v_add_u32_e32 v1, 0xffffff81, v18
	v_mov_b32_e32 v6, 0xffffff82
	v_cndmask_b32_e32 v1, v1, v6, vcc
	v_lshrrev_b32_e32 v6, 23, v0
	v_add3_u32 v18, v19, v1, v6
	v_add_u32_e32 v6, 14, v18
	v_and_b32_e32 v1, 0x1fffff, v5
	v_add_u32_e32 v0, v1, v0
	v_mov_b32_e32 v1, v17
	v_cmp_ne_u32_e32 vcc, 0, v6
                                        ; implicit-def: $vgpr5
	s_and_saveexec_b64 s[28:29], vcc
	s_xor_b64 s[28:29], exec, s[28:29]
; %bb.10897:                            ;   in Loop: Header=BB4_10749 Depth=3
	v_cmp_lt_u64_e32 vcc, s[88:89], v[0:1]
	v_add_u32_e32 v5, 15, v18
	v_cndmask_b32_e32 v5, v6, v5, vcc
	v_cndmask_b32_e64 v6, 0, 1, vcc
	v_lshrrev_b64 v[0:1], v6, v[0:1]
; %bb.10898:                            ;   in Loop: Header=BB4_10749 Depth=3
	s_andn2_saveexec_b64 s[28:29], s[28:29]
; %bb.10899:                            ;   in Loop: Header=BB4_10749 Depth=3
	v_bfe_u32 v5, v0, 23, 1
; %bb.10900:                            ;   in Loop: Header=BB4_10749 Depth=3
	s_or_b64 exec, exec, s[28:29]
	v_lshrrev_b64 v[0:1], 21, v[0:1]
	v_cmp_gt_i32_e32 vcc, 32, v5
	v_cndmask_b32_e32 v1, 0, v1, vcc
	v_cndmask_b32_e32 v0, 3, v0, vcc
	v_cmp_ne_u64_e32 vcc, 0, v[0:1]
	v_cmp_ne_u32_e64 s[28:29], 0, v5
	s_or_b64 s[28:29], s[28:29], vcc
                                        ; implicit-def: $vgpr36
	s_and_saveexec_b64 vcc, s[28:29]
	s_xor_b64 s[28:29], exec, vcc
; %bb.10901:                            ;   in Loop: Header=BB4_10749 Depth=3
	v_min_i32_e32 v1, 31, v5
	v_lshl_or_b32 v1, v1, 2, v3
	v_and_or_b32 v36, v0, 3, v1
                                        ; implicit-def: $vgpr3
; %bb.10902:                            ;   in Loop: Header=BB4_10749 Depth=3
	s_andn2_saveexec_b64 s[28:29], s[28:29]
; %bb.10903:                            ;   in Loop: Header=BB4_10749 Depth=3
	v_mov_b32_e32 v36, v3
; %bb.10904:                            ;   in Loop: Header=BB4_10749 Depth=3
	s_or_b64 exec, exec, s[28:29]
.LBB4_10905:                            ;   in Loop: Header=BB4_10749 Depth=3
	s_or_b64 exec, exec, s[38:39]
                                        ; implicit-def: $vgpr3
.LBB4_10906:                            ;   in Loop: Header=BB4_10749 Depth=3
	s_andn2_saveexec_b64 s[28:29], s[36:37]
; %bb.10907:                            ;   in Loop: Header=BB4_10749 Depth=3
	v_or_b32_e32 v36, 0x7b, v3
; %bb.10908:                            ;   in Loop: Header=BB4_10749 Depth=3
	s_or_b64 exec, exec, s[28:29]
                                        ; implicit-def: $vgpr5
                                        ; implicit-def: $vgpr0_vgpr1
.LBB4_10909:                            ;   in Loop: Header=BB4_10749 Depth=3
	s_andn2_saveexec_b64 s[28:29], s[34:35]
	s_cbranch_execz .LBB4_10915
; %bb.10910:                            ;   in Loop: Header=BB4_10749 Depth=3
	v_cmp_ne_u64_e32 vcc, 0, v[0:1]
                                        ; implicit-def: $vgpr36
	s_and_saveexec_b64 s[34:35], vcc
	s_xor_b64 vcc, exec, s[34:35]
; %bb.10911:                            ;   in Loop: Header=BB4_10749 Depth=3
	v_or_b32_sdwa v36, v5, s47 dst_sel:DWORD dst_unused:UNUSED_PAD src0_sel:BYTE_3 src1_sel:DWORD
                                        ; implicit-def: $vgpr5
; %bb.10912:                            ;   in Loop: Header=BB4_10749 Depth=3
	s_andn2_saveexec_b64 s[34:35], vcc
; %bb.10913:                            ;   in Loop: Header=BB4_10749 Depth=3
	v_cmp_lt_i32_e32 vcc, -1, v5
	v_cndmask_b32_e32 v36, -4, v52, vcc
; %bb.10914:                            ;   in Loop: Header=BB4_10749 Depth=3
	s_or_b64 exec, exec, s[34:35]
.LBB4_10915:                            ;   in Loop: Header=BB4_10749 Depth=3
	s_or_b64 exec, exec, s[28:29]
	flat_load_sbyte v0, v[12:13] offset:320 glc slc
	v_mov_b32_e32 v1, 0
	s_waitcnt vmcnt(0) lgkmcnt(0)
	v_cmp_ne_u16_e32 vcc, 0, v0
	s_and_saveexec_b64 s[28:29], vcc
	s_cbranch_execz .LBB4_10923
; %bb.10916:                            ;   in Loop: Header=BB4_10749 Depth=3
	v_cmp_ne_u16_e32 vcc, s97, v0
	v_bfrev_b32_e32 v1, 1
	s_and_saveexec_b64 s[34:35], vcc
	s_cbranch_execz .LBB4_10922
; %bb.10917:                            ;   in Loop: Header=BB4_10749 Depth=3
	v_and_b32_e32 v1, 0x7c, v0
	v_and_b32_e32 v3, 3, v0
	v_cmp_ne_u32_e32 vcc, s85, v1
                                        ; implicit-def: $vgpr1
	s_and_saveexec_b64 s[36:37], vcc
	s_xor_b64 s[36:37], exec, s[36:37]
	s_cbranch_execz .LBB4_10919
; %bb.10918:                            ;   in Loop: Header=BB4_10749 Depth=3
	v_and_b32_e32 v5, 0xff, v0
	v_bfe_u32 v18, v5, 2, 5
	v_ffbh_u32_e32 v5, v3
	v_min_u32_e32 v19, 32, v5
	v_mov_b32_e32 v1, v17
	v_subrev_u32_e32 v5, 29, v19
	v_lshlrev_b64 v[5:6], v5, v[0:1]
	v_sub_u32_e32 v1, 30, v19
	v_cmp_eq_u32_e32 vcc, 0, v18
	v_and_b32_e32 v5, 3, v5
	v_cndmask_b32_e32 v1, v18, v1, vcc
	v_and_b32_sdwa v0, sext(v0), s86 dst_sel:DWORD dst_unused:UNUSED_PAD src0_sel:WORD_0 src1_sel:DWORD
	v_cndmask_b32_e32 v3, v3, v5, vcc
	v_lshl_add_u32 v0, v1, 23, v0
	v_lshl_or_b32 v0, v3, 21, v0
	v_add_u32_e32 v1, 0x38000000, v0
                                        ; implicit-def: $vgpr3
                                        ; implicit-def: $vgpr0
.LBB4_10919:                            ;   in Loop: Header=BB4_10749 Depth=3
	s_andn2_saveexec_b64 s[36:37], s[36:37]
; %bb.10920:                            ;   in Loop: Header=BB4_10749 Depth=3
	v_cmp_lt_i16_e32 vcc, -1, v0
	v_mov_b32_e32 v0, 0xff800000
	v_mov_b32_e32 v1, 0x7f800000
	v_cndmask_b32_e32 v0, v0, v1, vcc
	v_cmp_eq_u32_e32 vcc, 0, v3
	v_mov_b32_e32 v1, 0x7f800001
	v_cndmask_b32_e32 v1, v1, v0, vcc
; %bb.10921:                            ;   in Loop: Header=BB4_10749 Depth=3
	s_or_b64 exec, exec, s[36:37]
.LBB4_10922:                            ;   in Loop: Header=BB4_10749 Depth=3
	s_or_b64 exec, exec, s[34:35]
.LBB4_10923:                            ;   in Loop: Header=BB4_10749 Depth=3
	s_or_b64 exec, exec, s[28:29]
	v_mul_f32_e32 v5, v7, v1
	v_and_b32_e32 v18, 0x7f800000, v5
	v_mov_b32_e32 v19, v17
	v_cmp_ne_u64_e32 vcc, s[76:77], v[18:19]
	v_and_b32_e32 v0, 0x7fffff, v5
	v_mov_b32_e32 v1, v17
                                        ; implicit-def: $vgpr30
	s_and_saveexec_b64 s[28:29], vcc
	s_xor_b64 s[34:35], exec, s[28:29]
	s_cbranch_execz .LBB4_10941
; %bb.10924:                            ;   in Loop: Header=BB4_10749 Depth=3
	v_and_b32_e32 v18, 0x7fffffff, v5
	v_mov_b32_e32 v19, v17
	v_cmp_gt_u64_e32 vcc, s[78:79], v[18:19]
	v_and_b32_sdwa v3, v5, s96 dst_sel:DWORD dst_unused:UNUSED_PAD src0_sel:BYTE_3 src1_sel:DWORD
                                        ; implicit-def: $vgpr30
	s_and_saveexec_b64 s[28:29], vcc
	s_xor_b64 s[36:37], exec, s[28:29]
	s_cbranch_execz .LBB4_10938
; %bb.10925:                            ;   in Loop: Header=BB4_10749 Depth=3
	v_cmp_ne_u32_e32 vcc, 0, v5
	v_mov_b32_e32 v30, 0
	s_and_saveexec_b64 s[38:39], vcc
	s_cbranch_execz .LBB4_10937
; %bb.10926:                            ;   in Loop: Header=BB4_10749 Depth=3
	v_bfe_u32 v18, v5, 23, 8
	v_cmp_gt_u32_e64 s[28:29], s46, v18
	v_sub_u32_e32 v5, 0x71, v18
	v_cmp_eq_u32_e32 vcc, 0, v18
	v_cndmask_b32_e64 v5, 0, v5, s[28:29]
	v_mov_b32_e32 v19, 0x70
	v_cndmask_b32_e32 v19, v5, v19, vcc
	v_or_b32_e32 v6, 0x800000, v0
	v_add_u32_e32 v5, 21, v19
	v_cndmask_b32_e32 v0, v6, v0, vcc
	v_lshlrev_b64 v[5:6], v5, -1
	v_add_u32_e32 v20, 20, v19
	v_bfi_b32 v5, v5, 0, v0
	v_lshlrev_b64 v[20:21], v20, 1
	v_lshrrev_b64 v[0:1], v19, v[0:1]
	v_bfi_b32 v6, v6, 0, 0
	v_cmp_eq_u64_e64 s[28:29], v[5:6], v[20:21]
	v_mov_b32_e32 v6, v1
	v_mov_b32_e32 v5, v0
	s_and_saveexec_b64 s[48:49], s[28:29]
; %bb.10927:                            ;   in Loop: Header=BB4_10749 Depth=3
	v_bfe_u32 v1, v0, 21, 1
	v_add_co_u32_e64 v1, s[28:29], v0, v1
	v_add_co_u32_e64 v5, s[28:29], -1, v1
; %bb.10928:                            ;   in Loop: Header=BB4_10749 Depth=3
	s_or_b64 exec, exec, s[48:49]
	v_add_u32_e32 v1, 0xffffff81, v18
	v_mov_b32_e32 v6, 0xffffff82
	v_cndmask_b32_e32 v1, v1, v6, vcc
	v_lshrrev_b32_e32 v6, 23, v0
	v_add3_u32 v18, v19, v1, v6
	v_add_u32_e32 v6, 14, v18
	v_and_b32_e32 v1, 0x1fffff, v5
	v_add_u32_e32 v0, v1, v0
	v_mov_b32_e32 v1, v17
	v_cmp_ne_u32_e32 vcc, 0, v6
                                        ; implicit-def: $vgpr5
	s_and_saveexec_b64 s[28:29], vcc
	s_xor_b64 s[28:29], exec, s[28:29]
; %bb.10929:                            ;   in Loop: Header=BB4_10749 Depth=3
	v_cmp_lt_u64_e32 vcc, s[88:89], v[0:1]
	v_add_u32_e32 v5, 15, v18
	v_cndmask_b32_e32 v5, v6, v5, vcc
	v_cndmask_b32_e64 v6, 0, 1, vcc
	v_lshrrev_b64 v[0:1], v6, v[0:1]
; %bb.10930:                            ;   in Loop: Header=BB4_10749 Depth=3
	s_andn2_saveexec_b64 s[28:29], s[28:29]
; %bb.10931:                            ;   in Loop: Header=BB4_10749 Depth=3
	v_bfe_u32 v5, v0, 23, 1
; %bb.10932:                            ;   in Loop: Header=BB4_10749 Depth=3
	s_or_b64 exec, exec, s[28:29]
	v_lshrrev_b64 v[0:1], 21, v[0:1]
	v_cmp_gt_i32_e32 vcc, 32, v5
	v_cndmask_b32_e32 v1, 0, v1, vcc
	v_cndmask_b32_e32 v0, 3, v0, vcc
	v_cmp_ne_u64_e32 vcc, 0, v[0:1]
	v_cmp_ne_u32_e64 s[28:29], 0, v5
	s_or_b64 s[28:29], s[28:29], vcc
                                        ; implicit-def: $vgpr30
	s_and_saveexec_b64 vcc, s[28:29]
	s_xor_b64 s[28:29], exec, vcc
; %bb.10933:                            ;   in Loop: Header=BB4_10749 Depth=3
	v_min_i32_e32 v1, 31, v5
	v_lshl_or_b32 v1, v1, 2, v3
	v_and_or_b32 v30, v0, 3, v1
                                        ; implicit-def: $vgpr3
; %bb.10934:                            ;   in Loop: Header=BB4_10749 Depth=3
	s_andn2_saveexec_b64 s[28:29], s[28:29]
; %bb.10935:                            ;   in Loop: Header=BB4_10749 Depth=3
	v_mov_b32_e32 v30, v3
; %bb.10936:                            ;   in Loop: Header=BB4_10749 Depth=3
	s_or_b64 exec, exec, s[28:29]
.LBB4_10937:                            ;   in Loop: Header=BB4_10749 Depth=3
	s_or_b64 exec, exec, s[38:39]
                                        ; implicit-def: $vgpr3
.LBB4_10938:                            ;   in Loop: Header=BB4_10749 Depth=3
	s_andn2_saveexec_b64 s[28:29], s[36:37]
; %bb.10939:                            ;   in Loop: Header=BB4_10749 Depth=3
	v_or_b32_e32 v30, 0x7b, v3
; %bb.10940:                            ;   in Loop: Header=BB4_10749 Depth=3
	s_or_b64 exec, exec, s[28:29]
                                        ; implicit-def: $vgpr5
                                        ; implicit-def: $vgpr0_vgpr1
.LBB4_10941:                            ;   in Loop: Header=BB4_10749 Depth=3
	s_andn2_saveexec_b64 s[28:29], s[34:35]
	s_cbranch_execz .LBB4_10947
; %bb.10942:                            ;   in Loop: Header=BB4_10749 Depth=3
	v_cmp_ne_u64_e32 vcc, 0, v[0:1]
                                        ; implicit-def: $vgpr30
	s_and_saveexec_b64 s[34:35], vcc
	s_xor_b64 vcc, exec, s[34:35]
; %bb.10943:                            ;   in Loop: Header=BB4_10749 Depth=3
	v_or_b32_sdwa v30, v5, s47 dst_sel:DWORD dst_unused:UNUSED_PAD src0_sel:BYTE_3 src1_sel:DWORD
                                        ; implicit-def: $vgpr5
; %bb.10944:                            ;   in Loop: Header=BB4_10749 Depth=3
	s_andn2_saveexec_b64 s[34:35], vcc
; %bb.10945:                            ;   in Loop: Header=BB4_10749 Depth=3
	v_cmp_lt_i32_e32 vcc, -1, v5
	v_cndmask_b32_e32 v30, -4, v52, vcc
; %bb.10946:                            ;   in Loop: Header=BB4_10749 Depth=3
	s_or_b64 exec, exec, s[34:35]
.LBB4_10947:                            ;   in Loop: Header=BB4_10749 Depth=3
	s_or_b64 exec, exec, s[28:29]
	flat_load_sbyte v0, v[12:13] offset:384 glc slc
	v_mov_b32_e32 v1, 0
	s_waitcnt vmcnt(0) lgkmcnt(0)
	v_cmp_ne_u16_e32 vcc, 0, v0
	s_and_saveexec_b64 s[28:29], vcc
	s_cbranch_execz .LBB4_10955
; %bb.10948:                            ;   in Loop: Header=BB4_10749 Depth=3
	v_cmp_ne_u16_e32 vcc, s97, v0
	v_bfrev_b32_e32 v1, 1
	s_and_saveexec_b64 s[34:35], vcc
	s_cbranch_execz .LBB4_10954
; %bb.10949:                            ;   in Loop: Header=BB4_10749 Depth=3
	v_and_b32_e32 v1, 0x7c, v0
	v_and_b32_e32 v3, 3, v0
	v_cmp_ne_u32_e32 vcc, s85, v1
                                        ; implicit-def: $vgpr1
	s_and_saveexec_b64 s[36:37], vcc
	s_xor_b64 s[36:37], exec, s[36:37]
	s_cbranch_execz .LBB4_10951
; %bb.10950:                            ;   in Loop: Header=BB4_10749 Depth=3
	v_and_b32_e32 v5, 0xff, v0
	v_bfe_u32 v18, v5, 2, 5
	v_ffbh_u32_e32 v5, v3
	v_min_u32_e32 v19, 32, v5
	v_mov_b32_e32 v1, v17
	v_subrev_u32_e32 v5, 29, v19
	v_lshlrev_b64 v[5:6], v5, v[0:1]
	v_sub_u32_e32 v1, 30, v19
	v_cmp_eq_u32_e32 vcc, 0, v18
	v_and_b32_e32 v5, 3, v5
	v_cndmask_b32_e32 v1, v18, v1, vcc
	v_and_b32_sdwa v0, sext(v0), s86 dst_sel:DWORD dst_unused:UNUSED_PAD src0_sel:WORD_0 src1_sel:DWORD
	v_cndmask_b32_e32 v3, v3, v5, vcc
	v_lshl_add_u32 v0, v1, 23, v0
	v_lshl_or_b32 v0, v3, 21, v0
	v_add_u32_e32 v1, 0x38000000, v0
                                        ; implicit-def: $vgpr3
                                        ; implicit-def: $vgpr0
.LBB4_10951:                            ;   in Loop: Header=BB4_10749 Depth=3
	s_andn2_saveexec_b64 s[36:37], s[36:37]
; %bb.10952:                            ;   in Loop: Header=BB4_10749 Depth=3
	v_cmp_lt_i16_e32 vcc, -1, v0
	v_mov_b32_e32 v0, 0xff800000
	v_mov_b32_e32 v1, 0x7f800000
	v_cndmask_b32_e32 v0, v0, v1, vcc
	v_cmp_eq_u32_e32 vcc, 0, v3
	v_mov_b32_e32 v1, 0x7f800001
	v_cndmask_b32_e32 v1, v1, v0, vcc
; %bb.10953:                            ;   in Loop: Header=BB4_10749 Depth=3
	s_or_b64 exec, exec, s[36:37]
.LBB4_10954:                            ;   in Loop: Header=BB4_10749 Depth=3
	s_or_b64 exec, exec, s[34:35]
.LBB4_10955:                            ;   in Loop: Header=BB4_10749 Depth=3
	s_or_b64 exec, exec, s[28:29]
	v_mul_f32_e32 v5, v7, v1
	v_and_b32_e32 v18, 0x7f800000, v5
	v_mov_b32_e32 v19, v17
	v_cmp_ne_u64_e32 vcc, s[76:77], v[18:19]
	v_and_b32_e32 v0, 0x7fffff, v5
	v_mov_b32_e32 v1, v17
                                        ; implicit-def: $vgpr20
	s_and_saveexec_b64 s[28:29], vcc
	s_xor_b64 s[34:35], exec, s[28:29]
	s_cbranch_execz .LBB4_10973
; %bb.10956:                            ;   in Loop: Header=BB4_10749 Depth=3
	v_and_b32_e32 v18, 0x7fffffff, v5
	v_mov_b32_e32 v19, v17
	v_cmp_gt_u64_e32 vcc, s[78:79], v[18:19]
	v_and_b32_sdwa v3, v5, s96 dst_sel:DWORD dst_unused:UNUSED_PAD src0_sel:BYTE_3 src1_sel:DWORD
                                        ; implicit-def: $vgpr20
	s_and_saveexec_b64 s[28:29], vcc
	s_xor_b64 s[36:37], exec, s[28:29]
	s_cbranch_execz .LBB4_10970
; %bb.10957:                            ;   in Loop: Header=BB4_10749 Depth=3
	v_cmp_ne_u32_e32 vcc, 0, v5
	v_mov_b32_e32 v20, 0
	s_and_saveexec_b64 s[38:39], vcc
	s_cbranch_execz .LBB4_10969
; %bb.10958:                            ;   in Loop: Header=BB4_10749 Depth=3
	v_bfe_u32 v18, v5, 23, 8
	v_cmp_gt_u32_e64 s[28:29], s46, v18
	v_sub_u32_e32 v5, 0x71, v18
	v_cmp_eq_u32_e32 vcc, 0, v18
	v_cndmask_b32_e64 v5, 0, v5, s[28:29]
	v_mov_b32_e32 v19, 0x70
	v_cndmask_b32_e32 v19, v5, v19, vcc
	v_or_b32_e32 v6, 0x800000, v0
	v_add_u32_e32 v5, 21, v19
	v_cndmask_b32_e32 v0, v6, v0, vcc
	v_lshlrev_b64 v[5:6], v5, -1
	v_add_u32_e32 v20, 20, v19
	v_bfi_b32 v5, v5, 0, v0
	v_lshlrev_b64 v[20:21], v20, 1
	v_lshrrev_b64 v[0:1], v19, v[0:1]
	v_bfi_b32 v6, v6, 0, 0
	v_cmp_eq_u64_e64 s[28:29], v[5:6], v[20:21]
	v_mov_b32_e32 v6, v1
	v_mov_b32_e32 v5, v0
	s_and_saveexec_b64 s[48:49], s[28:29]
; %bb.10959:                            ;   in Loop: Header=BB4_10749 Depth=3
	v_bfe_u32 v1, v0, 21, 1
	v_add_co_u32_e64 v1, s[28:29], v0, v1
	v_add_co_u32_e64 v5, s[28:29], -1, v1
; %bb.10960:                            ;   in Loop: Header=BB4_10749 Depth=3
	s_or_b64 exec, exec, s[48:49]
	v_add_u32_e32 v1, 0xffffff81, v18
	v_mov_b32_e32 v6, 0xffffff82
	v_cndmask_b32_e32 v1, v1, v6, vcc
	v_lshrrev_b32_e32 v6, 23, v0
	v_add3_u32 v18, v19, v1, v6
	v_add_u32_e32 v6, 14, v18
	v_and_b32_e32 v1, 0x1fffff, v5
	v_add_u32_e32 v0, v1, v0
	v_mov_b32_e32 v1, v17
	v_cmp_ne_u32_e32 vcc, 0, v6
                                        ; implicit-def: $vgpr5
	s_and_saveexec_b64 s[28:29], vcc
	s_xor_b64 s[28:29], exec, s[28:29]
; %bb.10961:                            ;   in Loop: Header=BB4_10749 Depth=3
	v_cmp_lt_u64_e32 vcc, s[88:89], v[0:1]
	v_add_u32_e32 v5, 15, v18
	v_cndmask_b32_e32 v5, v6, v5, vcc
	v_cndmask_b32_e64 v6, 0, 1, vcc
	v_lshrrev_b64 v[0:1], v6, v[0:1]
; %bb.10962:                            ;   in Loop: Header=BB4_10749 Depth=3
	s_andn2_saveexec_b64 s[28:29], s[28:29]
; %bb.10963:                            ;   in Loop: Header=BB4_10749 Depth=3
	v_bfe_u32 v5, v0, 23, 1
; %bb.10964:                            ;   in Loop: Header=BB4_10749 Depth=3
	s_or_b64 exec, exec, s[28:29]
	v_lshrrev_b64 v[0:1], 21, v[0:1]
	v_cmp_gt_i32_e32 vcc, 32, v5
	v_cndmask_b32_e32 v1, 0, v1, vcc
	v_cndmask_b32_e32 v0, 3, v0, vcc
	v_cmp_ne_u64_e32 vcc, 0, v[0:1]
	v_cmp_ne_u32_e64 s[28:29], 0, v5
	s_or_b64 s[28:29], s[28:29], vcc
                                        ; implicit-def: $vgpr20
	s_and_saveexec_b64 vcc, s[28:29]
	s_xor_b64 s[28:29], exec, vcc
; %bb.10965:                            ;   in Loop: Header=BB4_10749 Depth=3
	v_min_i32_e32 v1, 31, v5
	v_lshl_or_b32 v1, v1, 2, v3
	v_and_or_b32 v20, v0, 3, v1
                                        ; implicit-def: $vgpr3
; %bb.10966:                            ;   in Loop: Header=BB4_10749 Depth=3
	s_andn2_saveexec_b64 s[28:29], s[28:29]
; %bb.10967:                            ;   in Loop: Header=BB4_10749 Depth=3
	v_mov_b32_e32 v20, v3
; %bb.10968:                            ;   in Loop: Header=BB4_10749 Depth=3
	s_or_b64 exec, exec, s[28:29]
.LBB4_10969:                            ;   in Loop: Header=BB4_10749 Depth=3
	s_or_b64 exec, exec, s[38:39]
                                        ; implicit-def: $vgpr3
.LBB4_10970:                            ;   in Loop: Header=BB4_10749 Depth=3
	s_andn2_saveexec_b64 s[28:29], s[36:37]
; %bb.10971:                            ;   in Loop: Header=BB4_10749 Depth=3
	v_or_b32_e32 v20, 0x7b, v3
; %bb.10972:                            ;   in Loop: Header=BB4_10749 Depth=3
	s_or_b64 exec, exec, s[28:29]
                                        ; implicit-def: $vgpr5
                                        ; implicit-def: $vgpr0_vgpr1
.LBB4_10973:                            ;   in Loop: Header=BB4_10749 Depth=3
	s_andn2_saveexec_b64 s[28:29], s[34:35]
	s_cbranch_execz .LBB4_10979
; %bb.10974:                            ;   in Loop: Header=BB4_10749 Depth=3
	v_cmp_ne_u64_e32 vcc, 0, v[0:1]
                                        ; implicit-def: $vgpr20
	s_and_saveexec_b64 s[34:35], vcc
	s_xor_b64 vcc, exec, s[34:35]
; %bb.10975:                            ;   in Loop: Header=BB4_10749 Depth=3
	v_or_b32_sdwa v20, v5, s47 dst_sel:DWORD dst_unused:UNUSED_PAD src0_sel:BYTE_3 src1_sel:DWORD
                                        ; implicit-def: $vgpr5
; %bb.10976:                            ;   in Loop: Header=BB4_10749 Depth=3
	s_andn2_saveexec_b64 s[34:35], vcc
; %bb.10977:                            ;   in Loop: Header=BB4_10749 Depth=3
	v_cmp_lt_i32_e32 vcc, -1, v5
	v_cndmask_b32_e32 v20, -4, v52, vcc
; %bb.10978:                            ;   in Loop: Header=BB4_10749 Depth=3
	s_or_b64 exec, exec, s[34:35]
.LBB4_10979:                            ;   in Loop: Header=BB4_10749 Depth=3
	s_or_b64 exec, exec, s[28:29]
	flat_load_sbyte v0, v[12:13] offset:448 glc slc
	v_mov_b32_e32 v1, 0
	s_waitcnt vmcnt(0) lgkmcnt(0)
	v_cmp_ne_u16_e32 vcc, 0, v0
	s_and_saveexec_b64 s[28:29], vcc
	s_cbranch_execz .LBB4_10987
; %bb.10980:                            ;   in Loop: Header=BB4_10749 Depth=3
	v_cmp_ne_u16_e32 vcc, s97, v0
	v_bfrev_b32_e32 v1, 1
	s_and_saveexec_b64 s[34:35], vcc
	s_cbranch_execz .LBB4_10986
; %bb.10981:                            ;   in Loop: Header=BB4_10749 Depth=3
	v_and_b32_e32 v1, 0x7c, v0
	v_and_b32_e32 v3, 3, v0
	v_cmp_ne_u32_e32 vcc, s85, v1
                                        ; implicit-def: $vgpr1
	s_and_saveexec_b64 s[36:37], vcc
	s_xor_b64 s[36:37], exec, s[36:37]
	s_cbranch_execz .LBB4_10983
; %bb.10982:                            ;   in Loop: Header=BB4_10749 Depth=3
	v_and_b32_e32 v5, 0xff, v0
	v_bfe_u32 v18, v5, 2, 5
	v_ffbh_u32_e32 v5, v3
	v_min_u32_e32 v19, 32, v5
	v_mov_b32_e32 v1, v17
	v_subrev_u32_e32 v5, 29, v19
	v_lshlrev_b64 v[5:6], v5, v[0:1]
	v_sub_u32_e32 v1, 30, v19
	v_cmp_eq_u32_e32 vcc, 0, v18
	v_and_b32_e32 v5, 3, v5
	v_cndmask_b32_e32 v1, v18, v1, vcc
	v_and_b32_sdwa v0, sext(v0), s86 dst_sel:DWORD dst_unused:UNUSED_PAD src0_sel:WORD_0 src1_sel:DWORD
	v_cndmask_b32_e32 v3, v3, v5, vcc
	v_lshl_add_u32 v0, v1, 23, v0
	v_lshl_or_b32 v0, v3, 21, v0
	v_add_u32_e32 v1, 0x38000000, v0
                                        ; implicit-def: $vgpr3
                                        ; implicit-def: $vgpr0
.LBB4_10983:                            ;   in Loop: Header=BB4_10749 Depth=3
	s_andn2_saveexec_b64 s[36:37], s[36:37]
; %bb.10984:                            ;   in Loop: Header=BB4_10749 Depth=3
	v_cmp_lt_i16_e32 vcc, -1, v0
	v_mov_b32_e32 v0, 0xff800000
	v_mov_b32_e32 v1, 0x7f800000
	v_cndmask_b32_e32 v0, v0, v1, vcc
	v_cmp_eq_u32_e32 vcc, 0, v3
	v_mov_b32_e32 v1, 0x7f800001
	v_cndmask_b32_e32 v1, v1, v0, vcc
; %bb.10985:                            ;   in Loop: Header=BB4_10749 Depth=3
	s_or_b64 exec, exec, s[36:37]
.LBB4_10986:                            ;   in Loop: Header=BB4_10749 Depth=3
	s_or_b64 exec, exec, s[34:35]
.LBB4_10987:                            ;   in Loop: Header=BB4_10749 Depth=3
	s_or_b64 exec, exec, s[28:29]
	v_mul_f32_e32 v5, v7, v1
	v_and_b32_e32 v18, 0x7f800000, v5
	v_mov_b32_e32 v19, v17
	v_cmp_ne_u64_e32 vcc, s[76:77], v[18:19]
	v_and_b32_e32 v0, 0x7fffff, v5
	v_mov_b32_e32 v1, v17
                                        ; implicit-def: $vgpr19
	s_and_saveexec_b64 s[28:29], vcc
	s_xor_b64 s[34:35], exec, s[28:29]
	s_cbranch_execz .LBB4_11005
; %bb.10988:                            ;   in Loop: Header=BB4_10749 Depth=3
	v_and_b32_e32 v18, 0x7fffffff, v5
	v_mov_b32_e32 v19, v17
	v_cmp_gt_u64_e32 vcc, s[78:79], v[18:19]
	v_and_b32_sdwa v3, v5, s96 dst_sel:DWORD dst_unused:UNUSED_PAD src0_sel:BYTE_3 src1_sel:DWORD
                                        ; implicit-def: $vgpr19
	s_and_saveexec_b64 s[28:29], vcc
	s_xor_b64 s[36:37], exec, s[28:29]
	s_cbranch_execz .LBB4_11002
; %bb.10989:                            ;   in Loop: Header=BB4_10749 Depth=3
	v_cmp_ne_u32_e32 vcc, 0, v5
	v_mov_b32_e32 v19, 0
	s_and_saveexec_b64 s[38:39], vcc
	s_cbranch_execz .LBB4_11001
; %bb.10990:                            ;   in Loop: Header=BB4_10749 Depth=3
	v_bfe_u32 v18, v5, 23, 8
	v_cmp_gt_u32_e64 s[28:29], s46, v18
	v_sub_u32_e32 v5, 0x71, v18
	v_cmp_eq_u32_e32 vcc, 0, v18
	v_cndmask_b32_e64 v5, 0, v5, s[28:29]
	v_mov_b32_e32 v19, 0x70
	v_cndmask_b32_e32 v19, v5, v19, vcc
	v_or_b32_e32 v6, 0x800000, v0
	v_add_u32_e32 v5, 21, v19
	v_cndmask_b32_e32 v0, v6, v0, vcc
	v_lshlrev_b64 v[5:6], v5, -1
	v_add_u32_e32 v21, 20, v19
	v_bfi_b32 v5, v5, 0, v0
	v_lshlrev_b64 v[24:25], v21, 1
	v_lshrrev_b64 v[0:1], v19, v[0:1]
	v_bfi_b32 v6, v6, 0, 0
	v_cmp_eq_u64_e64 s[28:29], v[5:6], v[24:25]
	v_mov_b32_e32 v6, v1
	v_mov_b32_e32 v5, v0
	s_and_saveexec_b64 s[48:49], s[28:29]
; %bb.10991:                            ;   in Loop: Header=BB4_10749 Depth=3
	v_bfe_u32 v1, v0, 21, 1
	v_add_co_u32_e64 v1, s[28:29], v0, v1
	v_add_co_u32_e64 v5, s[28:29], -1, v1
; %bb.10992:                            ;   in Loop: Header=BB4_10749 Depth=3
	s_or_b64 exec, exec, s[48:49]
	v_add_u32_e32 v1, 0xffffff81, v18
	v_mov_b32_e32 v6, 0xffffff82
	v_cndmask_b32_e32 v1, v1, v6, vcc
	v_lshrrev_b32_e32 v6, 23, v0
	v_add3_u32 v18, v19, v1, v6
	v_add_u32_e32 v6, 14, v18
	v_and_b32_e32 v1, 0x1fffff, v5
	v_add_u32_e32 v0, v1, v0
	v_mov_b32_e32 v1, v17
	v_cmp_ne_u32_e32 vcc, 0, v6
                                        ; implicit-def: $vgpr5
	s_and_saveexec_b64 s[28:29], vcc
	s_xor_b64 s[28:29], exec, s[28:29]
; %bb.10993:                            ;   in Loop: Header=BB4_10749 Depth=3
	v_cmp_lt_u64_e32 vcc, s[88:89], v[0:1]
	v_add_u32_e32 v5, 15, v18
	v_cndmask_b32_e32 v5, v6, v5, vcc
	v_cndmask_b32_e64 v6, 0, 1, vcc
	v_lshrrev_b64 v[0:1], v6, v[0:1]
; %bb.10994:                            ;   in Loop: Header=BB4_10749 Depth=3
	s_andn2_saveexec_b64 s[28:29], s[28:29]
; %bb.10995:                            ;   in Loop: Header=BB4_10749 Depth=3
	v_bfe_u32 v5, v0, 23, 1
; %bb.10996:                            ;   in Loop: Header=BB4_10749 Depth=3
	s_or_b64 exec, exec, s[28:29]
	v_lshrrev_b64 v[0:1], 21, v[0:1]
	v_cmp_gt_i32_e32 vcc, 32, v5
	v_cndmask_b32_e32 v1, 0, v1, vcc
	v_cndmask_b32_e32 v0, 3, v0, vcc
	v_cmp_ne_u64_e32 vcc, 0, v[0:1]
	v_cmp_ne_u32_e64 s[28:29], 0, v5
	s_or_b64 s[28:29], s[28:29], vcc
                                        ; implicit-def: $vgpr19
	s_and_saveexec_b64 vcc, s[28:29]
	s_xor_b64 s[28:29], exec, vcc
; %bb.10997:                            ;   in Loop: Header=BB4_10749 Depth=3
	v_min_i32_e32 v1, 31, v5
	v_lshl_or_b32 v1, v1, 2, v3
	v_and_or_b32 v19, v0, 3, v1
                                        ; implicit-def: $vgpr3
; %bb.10998:                            ;   in Loop: Header=BB4_10749 Depth=3
	s_andn2_saveexec_b64 s[28:29], s[28:29]
; %bb.10999:                            ;   in Loop: Header=BB4_10749 Depth=3
	v_mov_b32_e32 v19, v3
; %bb.11000:                            ;   in Loop: Header=BB4_10749 Depth=3
	s_or_b64 exec, exec, s[28:29]
.LBB4_11001:                            ;   in Loop: Header=BB4_10749 Depth=3
	s_or_b64 exec, exec, s[38:39]
                                        ; implicit-def: $vgpr3
.LBB4_11002:                            ;   in Loop: Header=BB4_10749 Depth=3
	s_andn2_saveexec_b64 s[28:29], s[36:37]
; %bb.11003:                            ;   in Loop: Header=BB4_10749 Depth=3
	v_or_b32_e32 v19, 0x7b, v3
; %bb.11004:                            ;   in Loop: Header=BB4_10749 Depth=3
	s_or_b64 exec, exec, s[28:29]
                                        ; implicit-def: $vgpr5
                                        ; implicit-def: $vgpr0_vgpr1
.LBB4_11005:                            ;   in Loop: Header=BB4_10749 Depth=3
	s_andn2_saveexec_b64 s[28:29], s[34:35]
	s_cbranch_execz .LBB4_11011
; %bb.11006:                            ;   in Loop: Header=BB4_10749 Depth=3
	v_cmp_ne_u64_e32 vcc, 0, v[0:1]
                                        ; implicit-def: $vgpr19
	s_and_saveexec_b64 s[34:35], vcc
	s_xor_b64 vcc, exec, s[34:35]
; %bb.11007:                            ;   in Loop: Header=BB4_10749 Depth=3
	v_or_b32_sdwa v19, v5, s47 dst_sel:DWORD dst_unused:UNUSED_PAD src0_sel:BYTE_3 src1_sel:DWORD
                                        ; implicit-def: $vgpr5
; %bb.11008:                            ;   in Loop: Header=BB4_10749 Depth=3
	s_andn2_saveexec_b64 s[34:35], vcc
; %bb.11009:                            ;   in Loop: Header=BB4_10749 Depth=3
	v_cmp_lt_i32_e32 vcc, -1, v5
	v_cndmask_b32_e32 v19, -4, v52, vcc
; %bb.11010:                            ;   in Loop: Header=BB4_10749 Depth=3
	s_or_b64 exec, exec, s[34:35]
.LBB4_11011:                            ;   in Loop: Header=BB4_10749 Depth=3
	s_or_b64 exec, exec, s[28:29]
	flat_load_sbyte v0, v[12:13] offset:512 glc slc
	v_mov_b32_e32 v1, 0
	s_waitcnt vmcnt(0) lgkmcnt(0)
	v_cmp_ne_u16_e32 vcc, 0, v0
	s_and_saveexec_b64 s[28:29], vcc
	s_cbranch_execz .LBB4_11019
; %bb.11012:                            ;   in Loop: Header=BB4_10749 Depth=3
	v_cmp_ne_u16_e32 vcc, s97, v0
	v_bfrev_b32_e32 v1, 1
	s_and_saveexec_b64 s[34:35], vcc
	s_cbranch_execz .LBB4_11018
; %bb.11013:                            ;   in Loop: Header=BB4_10749 Depth=3
	v_and_b32_e32 v1, 0x7c, v0
	v_and_b32_e32 v3, 3, v0
	v_cmp_ne_u32_e32 vcc, s85, v1
                                        ; implicit-def: $vgpr1
	s_and_saveexec_b64 s[36:37], vcc
	s_xor_b64 s[36:37], exec, s[36:37]
	s_cbranch_execz .LBB4_11015
; %bb.11014:                            ;   in Loop: Header=BB4_10749 Depth=3
	v_and_b32_e32 v5, 0xff, v0
	v_bfe_u32 v18, v5, 2, 5
	v_ffbh_u32_e32 v5, v3
	v_min_u32_e32 v21, 32, v5
	v_mov_b32_e32 v1, v17
	v_subrev_u32_e32 v5, 29, v21
	v_lshlrev_b64 v[5:6], v5, v[0:1]
	v_sub_u32_e32 v1, 30, v21
	v_cmp_eq_u32_e32 vcc, 0, v18
	v_and_b32_e32 v5, 3, v5
	v_cndmask_b32_e32 v1, v18, v1, vcc
	v_and_b32_sdwa v0, sext(v0), s86 dst_sel:DWORD dst_unused:UNUSED_PAD src0_sel:WORD_0 src1_sel:DWORD
	v_cndmask_b32_e32 v3, v3, v5, vcc
	v_lshl_add_u32 v0, v1, 23, v0
	v_lshl_or_b32 v0, v3, 21, v0
	v_add_u32_e32 v1, 0x38000000, v0
                                        ; implicit-def: $vgpr3
                                        ; implicit-def: $vgpr0
.LBB4_11015:                            ;   in Loop: Header=BB4_10749 Depth=3
	s_andn2_saveexec_b64 s[36:37], s[36:37]
; %bb.11016:                            ;   in Loop: Header=BB4_10749 Depth=3
	v_cmp_lt_i16_e32 vcc, -1, v0
	v_mov_b32_e32 v0, 0xff800000
	v_mov_b32_e32 v1, 0x7f800000
	v_cndmask_b32_e32 v0, v0, v1, vcc
	v_cmp_eq_u32_e32 vcc, 0, v3
	v_mov_b32_e32 v1, 0x7f800001
	v_cndmask_b32_e32 v1, v1, v0, vcc
; %bb.11017:                            ;   in Loop: Header=BB4_10749 Depth=3
	s_or_b64 exec, exec, s[36:37]
.LBB4_11018:                            ;   in Loop: Header=BB4_10749 Depth=3
	s_or_b64 exec, exec, s[34:35]
.LBB4_11019:                            ;   in Loop: Header=BB4_10749 Depth=3
	s_or_b64 exec, exec, s[28:29]
	v_mul_f32_e32 v5, v7, v1
	v_and_b32_e32 v24, 0x7f800000, v5
	v_mov_b32_e32 v25, v17
	v_cmp_ne_u64_e32 vcc, s[76:77], v[24:25]
	v_and_b32_e32 v0, 0x7fffff, v5
	v_mov_b32_e32 v1, v17
                                        ; implicit-def: $vgpr18
	s_and_saveexec_b64 s[28:29], vcc
	s_xor_b64 s[34:35], exec, s[28:29]
	s_cbranch_execz .LBB4_11037
; %bb.11020:                            ;   in Loop: Header=BB4_10749 Depth=3
	v_and_b32_e32 v24, 0x7fffffff, v5
	v_mov_b32_e32 v25, v17
	v_cmp_gt_u64_e32 vcc, s[78:79], v[24:25]
	v_and_b32_sdwa v3, v5, s96 dst_sel:DWORD dst_unused:UNUSED_PAD src0_sel:BYTE_3 src1_sel:DWORD
                                        ; implicit-def: $vgpr18
	s_and_saveexec_b64 s[28:29], vcc
	s_xor_b64 s[36:37], exec, s[28:29]
	s_cbranch_execz .LBB4_11034
; %bb.11021:                            ;   in Loop: Header=BB4_10749 Depth=3
	v_cmp_ne_u32_e32 vcc, 0, v5
	v_mov_b32_e32 v18, 0
	s_and_saveexec_b64 s[38:39], vcc
	s_cbranch_execz .LBB4_11033
; %bb.11022:                            ;   in Loop: Header=BB4_10749 Depth=3
	v_bfe_u32 v18, v5, 23, 8
	v_cmp_gt_u32_e64 s[28:29], s46, v18
	v_sub_u32_e32 v5, 0x71, v18
	v_cmp_eq_u32_e32 vcc, 0, v18
	v_cndmask_b32_e64 v5, 0, v5, s[28:29]
	v_mov_b32_e32 v21, 0x70
	v_cndmask_b32_e32 v21, v5, v21, vcc
	v_or_b32_e32 v6, 0x800000, v0
	v_add_u32_e32 v5, 21, v21
	v_cndmask_b32_e32 v0, v6, v0, vcc
	v_lshlrev_b64 v[5:6], v5, -1
	v_add_u32_e32 v24, 20, v21
	v_bfi_b32 v5, v5, 0, v0
	v_lshlrev_b64 v[24:25], v24, 1
	v_lshrrev_b64 v[0:1], v21, v[0:1]
	v_bfi_b32 v6, v6, 0, 0
	v_cmp_eq_u64_e64 s[28:29], v[5:6], v[24:25]
	v_mov_b32_e32 v6, v1
	v_mov_b32_e32 v5, v0
	s_and_saveexec_b64 s[48:49], s[28:29]
; %bb.11023:                            ;   in Loop: Header=BB4_10749 Depth=3
	v_bfe_u32 v1, v0, 21, 1
	v_add_co_u32_e64 v1, s[28:29], v0, v1
	v_add_co_u32_e64 v5, s[28:29], -1, v1
; %bb.11024:                            ;   in Loop: Header=BB4_10749 Depth=3
	s_or_b64 exec, exec, s[48:49]
	v_add_u32_e32 v1, 0xffffff81, v18
	v_mov_b32_e32 v6, 0xffffff82
	v_cndmask_b32_e32 v1, v1, v6, vcc
	v_lshrrev_b32_e32 v6, 23, v0
	v_add3_u32 v18, v21, v1, v6
	v_add_u32_e32 v6, 14, v18
	v_and_b32_e32 v1, 0x1fffff, v5
	v_add_u32_e32 v0, v1, v0
	v_mov_b32_e32 v1, v17
	v_cmp_ne_u32_e32 vcc, 0, v6
                                        ; implicit-def: $vgpr5
	s_and_saveexec_b64 s[28:29], vcc
	s_xor_b64 s[28:29], exec, s[28:29]
; %bb.11025:                            ;   in Loop: Header=BB4_10749 Depth=3
	v_cmp_lt_u64_e32 vcc, s[88:89], v[0:1]
	v_add_u32_e32 v5, 15, v18
	v_cndmask_b32_e32 v5, v6, v5, vcc
	v_cndmask_b32_e64 v6, 0, 1, vcc
	v_lshrrev_b64 v[0:1], v6, v[0:1]
; %bb.11026:                            ;   in Loop: Header=BB4_10749 Depth=3
	s_andn2_saveexec_b64 s[28:29], s[28:29]
; %bb.11027:                            ;   in Loop: Header=BB4_10749 Depth=3
	v_bfe_u32 v5, v0, 23, 1
; %bb.11028:                            ;   in Loop: Header=BB4_10749 Depth=3
	s_or_b64 exec, exec, s[28:29]
	v_lshrrev_b64 v[0:1], 21, v[0:1]
	v_cmp_gt_i32_e32 vcc, 32, v5
	v_cndmask_b32_e32 v1, 0, v1, vcc
	v_cndmask_b32_e32 v0, 3, v0, vcc
	v_cmp_ne_u64_e32 vcc, 0, v[0:1]
	v_cmp_ne_u32_e64 s[28:29], 0, v5
	s_or_b64 s[28:29], s[28:29], vcc
                                        ; implicit-def: $vgpr18
	s_and_saveexec_b64 vcc, s[28:29]
	s_xor_b64 s[28:29], exec, vcc
; %bb.11029:                            ;   in Loop: Header=BB4_10749 Depth=3
	v_min_i32_e32 v1, 31, v5
	v_lshl_or_b32 v1, v1, 2, v3
	v_and_or_b32 v18, v0, 3, v1
                                        ; implicit-def: $vgpr3
; %bb.11030:                            ;   in Loop: Header=BB4_10749 Depth=3
	s_andn2_saveexec_b64 s[28:29], s[28:29]
; %bb.11031:                            ;   in Loop: Header=BB4_10749 Depth=3
	v_mov_b32_e32 v18, v3
; %bb.11032:                            ;   in Loop: Header=BB4_10749 Depth=3
	s_or_b64 exec, exec, s[28:29]
.LBB4_11033:                            ;   in Loop: Header=BB4_10749 Depth=3
	s_or_b64 exec, exec, s[38:39]
                                        ; implicit-def: $vgpr3
.LBB4_11034:                            ;   in Loop: Header=BB4_10749 Depth=3
	s_andn2_saveexec_b64 s[28:29], s[36:37]
; %bb.11035:                            ;   in Loop: Header=BB4_10749 Depth=3
	v_or_b32_e32 v18, 0x7b, v3
; %bb.11036:                            ;   in Loop: Header=BB4_10749 Depth=3
	s_or_b64 exec, exec, s[28:29]
                                        ; implicit-def: $vgpr5
                                        ; implicit-def: $vgpr0_vgpr1
.LBB4_11037:                            ;   in Loop: Header=BB4_10749 Depth=3
	s_andn2_saveexec_b64 s[28:29], s[34:35]
	s_cbranch_execz .LBB4_11043
; %bb.11038:                            ;   in Loop: Header=BB4_10749 Depth=3
	v_cmp_ne_u64_e32 vcc, 0, v[0:1]
                                        ; implicit-def: $vgpr18
	s_and_saveexec_b64 s[34:35], vcc
	s_xor_b64 vcc, exec, s[34:35]
; %bb.11039:                            ;   in Loop: Header=BB4_10749 Depth=3
	v_or_b32_sdwa v18, v5, s47 dst_sel:DWORD dst_unused:UNUSED_PAD src0_sel:BYTE_3 src1_sel:DWORD
                                        ; implicit-def: $vgpr5
; %bb.11040:                            ;   in Loop: Header=BB4_10749 Depth=3
	s_andn2_saveexec_b64 s[34:35], vcc
; %bb.11041:                            ;   in Loop: Header=BB4_10749 Depth=3
	v_cmp_lt_i32_e32 vcc, -1, v5
	v_cndmask_b32_e32 v18, -4, v52, vcc
; %bb.11042:                            ;   in Loop: Header=BB4_10749 Depth=3
	s_or_b64 exec, exec, s[34:35]
.LBB4_11043:                            ;   in Loop: Header=BB4_10749 Depth=3
	s_or_b64 exec, exec, s[28:29]
	flat_load_sbyte v0, v[12:13] offset:576 glc slc
	v_mov_b32_e32 v1, 0
	s_waitcnt vmcnt(0) lgkmcnt(0)
	v_cmp_ne_u16_e32 vcc, 0, v0
	s_and_saveexec_b64 s[28:29], vcc
	s_cbranch_execz .LBB4_11051
; %bb.11044:                            ;   in Loop: Header=BB4_10749 Depth=3
	v_cmp_ne_u16_e32 vcc, s97, v0
	v_bfrev_b32_e32 v1, 1
	s_and_saveexec_b64 s[34:35], vcc
	s_cbranch_execz .LBB4_11050
; %bb.11045:                            ;   in Loop: Header=BB4_10749 Depth=3
	v_and_b32_e32 v1, 0x7c, v0
	v_and_b32_e32 v3, 3, v0
	v_cmp_ne_u32_e32 vcc, s85, v1
                                        ; implicit-def: $vgpr1
	s_and_saveexec_b64 s[36:37], vcc
	s_xor_b64 s[36:37], exec, s[36:37]
	s_cbranch_execz .LBB4_11047
; %bb.11046:                            ;   in Loop: Header=BB4_10749 Depth=3
	v_and_b32_e32 v5, 0xff, v0
	v_bfe_u32 v21, v5, 2, 5
	v_ffbh_u32_e32 v5, v3
	v_min_u32_e32 v24, 32, v5
	v_mov_b32_e32 v1, v17
	v_subrev_u32_e32 v5, 29, v24
	v_lshlrev_b64 v[5:6], v5, v[0:1]
	v_sub_u32_e32 v1, 30, v24
	v_cmp_eq_u32_e32 vcc, 0, v21
	v_and_b32_e32 v5, 3, v5
	v_cndmask_b32_e32 v1, v21, v1, vcc
	v_and_b32_sdwa v0, sext(v0), s86 dst_sel:DWORD dst_unused:UNUSED_PAD src0_sel:WORD_0 src1_sel:DWORD
	v_cndmask_b32_e32 v3, v3, v5, vcc
	v_lshl_add_u32 v0, v1, 23, v0
	v_lshl_or_b32 v0, v3, 21, v0
	v_add_u32_e32 v1, 0x38000000, v0
                                        ; implicit-def: $vgpr3
                                        ; implicit-def: $vgpr0
.LBB4_11047:                            ;   in Loop: Header=BB4_10749 Depth=3
	s_andn2_saveexec_b64 s[36:37], s[36:37]
; %bb.11048:                            ;   in Loop: Header=BB4_10749 Depth=3
	v_cmp_lt_i16_e32 vcc, -1, v0
	v_mov_b32_e32 v0, 0xff800000
	v_mov_b32_e32 v1, 0x7f800000
	v_cndmask_b32_e32 v0, v0, v1, vcc
	v_cmp_eq_u32_e32 vcc, 0, v3
	v_mov_b32_e32 v1, 0x7f800001
	v_cndmask_b32_e32 v1, v1, v0, vcc
; %bb.11049:                            ;   in Loop: Header=BB4_10749 Depth=3
	s_or_b64 exec, exec, s[36:37]
.LBB4_11050:                            ;   in Loop: Header=BB4_10749 Depth=3
	s_or_b64 exec, exec, s[34:35]
.LBB4_11051:                            ;   in Loop: Header=BB4_10749 Depth=3
	s_or_b64 exec, exec, s[28:29]
	v_mul_f32_e32 v5, v7, v1
	v_and_b32_e32 v24, 0x7f800000, v5
	v_mov_b32_e32 v25, v17
	v_cmp_ne_u64_e32 vcc, s[76:77], v[24:25]
	v_and_b32_e32 v0, 0x7fffff, v5
	v_mov_b32_e32 v1, v17
                                        ; implicit-def: $vgpr58
	s_and_saveexec_b64 s[28:29], vcc
	s_xor_b64 s[34:35], exec, s[28:29]
	s_cbranch_execz .LBB4_11069
; %bb.11052:                            ;   in Loop: Header=BB4_10749 Depth=3
	v_and_b32_e32 v24, 0x7fffffff, v5
	v_mov_b32_e32 v25, v17
	v_cmp_gt_u64_e32 vcc, s[78:79], v[24:25]
	v_and_b32_sdwa v3, v5, s96 dst_sel:DWORD dst_unused:UNUSED_PAD src0_sel:BYTE_3 src1_sel:DWORD
                                        ; implicit-def: $vgpr58
	s_and_saveexec_b64 s[28:29], vcc
	s_xor_b64 s[36:37], exec, s[28:29]
	s_cbranch_execz .LBB4_11066
; %bb.11053:                            ;   in Loop: Header=BB4_10749 Depth=3
	v_cmp_ne_u32_e32 vcc, 0, v5
	v_mov_b32_e32 v58, 0
	s_and_saveexec_b64 s[38:39], vcc
	s_cbranch_execz .LBB4_11065
; %bb.11054:                            ;   in Loop: Header=BB4_10749 Depth=3
	v_bfe_u32 v21, v5, 23, 8
	v_cmp_gt_u32_e64 s[28:29], s46, v21
	v_sub_u32_e32 v5, 0x71, v21
	v_cmp_eq_u32_e32 vcc, 0, v21
	v_cndmask_b32_e64 v5, 0, v5, s[28:29]
	v_mov_b32_e32 v24, 0x70
	v_cndmask_b32_e32 v24, v5, v24, vcc
	v_or_b32_e32 v6, 0x800000, v0
	v_add_u32_e32 v5, 21, v24
	v_cndmask_b32_e32 v0, v6, v0, vcc
	v_lshlrev_b64 v[5:6], v5, -1
	v_add_u32_e32 v25, 20, v24
	v_bfi_b32 v5, v5, 0, v0
	v_lshlrev_b64 v[25:26], v25, 1
	v_lshrrev_b64 v[0:1], v24, v[0:1]
	v_bfi_b32 v6, v6, 0, 0
	v_cmp_eq_u64_e64 s[28:29], v[5:6], v[25:26]
	v_mov_b32_e32 v6, v1
	v_mov_b32_e32 v5, v0
	s_and_saveexec_b64 s[48:49], s[28:29]
; %bb.11055:                            ;   in Loop: Header=BB4_10749 Depth=3
	v_bfe_u32 v1, v0, 21, 1
	v_add_co_u32_e64 v1, s[28:29], v0, v1
	v_add_co_u32_e64 v5, s[28:29], -1, v1
; %bb.11056:                            ;   in Loop: Header=BB4_10749 Depth=3
	s_or_b64 exec, exec, s[48:49]
	v_add_u32_e32 v1, 0xffffff81, v21
	v_mov_b32_e32 v6, 0xffffff82
	v_cndmask_b32_e32 v1, v1, v6, vcc
	v_lshrrev_b32_e32 v6, 23, v0
	v_add3_u32 v21, v24, v1, v6
	v_add_u32_e32 v6, 14, v21
	v_and_b32_e32 v1, 0x1fffff, v5
	v_add_u32_e32 v0, v1, v0
	v_mov_b32_e32 v1, v17
	v_cmp_ne_u32_e32 vcc, 0, v6
                                        ; implicit-def: $vgpr5
	s_and_saveexec_b64 s[28:29], vcc
	s_xor_b64 s[28:29], exec, s[28:29]
; %bb.11057:                            ;   in Loop: Header=BB4_10749 Depth=3
	v_cmp_lt_u64_e32 vcc, s[88:89], v[0:1]
	v_add_u32_e32 v5, 15, v21
	v_cndmask_b32_e32 v5, v6, v5, vcc
	v_cndmask_b32_e64 v6, 0, 1, vcc
	v_lshrrev_b64 v[0:1], v6, v[0:1]
; %bb.11058:                            ;   in Loop: Header=BB4_10749 Depth=3
	s_andn2_saveexec_b64 s[28:29], s[28:29]
; %bb.11059:                            ;   in Loop: Header=BB4_10749 Depth=3
	v_bfe_u32 v5, v0, 23, 1
; %bb.11060:                            ;   in Loop: Header=BB4_10749 Depth=3
	s_or_b64 exec, exec, s[28:29]
	v_lshrrev_b64 v[0:1], 21, v[0:1]
	v_cmp_gt_i32_e32 vcc, 32, v5
	v_cndmask_b32_e32 v1, 0, v1, vcc
	v_cndmask_b32_e32 v0, 3, v0, vcc
	v_cmp_ne_u64_e32 vcc, 0, v[0:1]
	v_cmp_ne_u32_e64 s[28:29], 0, v5
	s_or_b64 s[28:29], s[28:29], vcc
                                        ; implicit-def: $vgpr58
	s_and_saveexec_b64 vcc, s[28:29]
	s_xor_b64 s[28:29], exec, vcc
; %bb.11061:                            ;   in Loop: Header=BB4_10749 Depth=3
	v_min_i32_e32 v1, 31, v5
	v_lshl_or_b32 v1, v1, 2, v3
	v_and_or_b32 v58, v0, 3, v1
                                        ; implicit-def: $vgpr3
; %bb.11062:                            ;   in Loop: Header=BB4_10749 Depth=3
	s_andn2_saveexec_b64 s[28:29], s[28:29]
; %bb.11063:                            ;   in Loop: Header=BB4_10749 Depth=3
	v_mov_b32_e32 v58, v3
; %bb.11064:                            ;   in Loop: Header=BB4_10749 Depth=3
	s_or_b64 exec, exec, s[28:29]
.LBB4_11065:                            ;   in Loop: Header=BB4_10749 Depth=3
	s_or_b64 exec, exec, s[38:39]
                                        ; implicit-def: $vgpr3
.LBB4_11066:                            ;   in Loop: Header=BB4_10749 Depth=3
	s_andn2_saveexec_b64 s[28:29], s[36:37]
; %bb.11067:                            ;   in Loop: Header=BB4_10749 Depth=3
	v_or_b32_e32 v58, 0x7b, v3
; %bb.11068:                            ;   in Loop: Header=BB4_10749 Depth=3
	s_or_b64 exec, exec, s[28:29]
                                        ; implicit-def: $vgpr5
                                        ; implicit-def: $vgpr0_vgpr1
.LBB4_11069:                            ;   in Loop: Header=BB4_10749 Depth=3
	s_andn2_saveexec_b64 s[28:29], s[34:35]
	s_cbranch_execz .LBB4_11075
; %bb.11070:                            ;   in Loop: Header=BB4_10749 Depth=3
	v_cmp_ne_u64_e32 vcc, 0, v[0:1]
                                        ; implicit-def: $vgpr58
	s_and_saveexec_b64 s[34:35], vcc
	s_xor_b64 vcc, exec, s[34:35]
; %bb.11071:                            ;   in Loop: Header=BB4_10749 Depth=3
	v_or_b32_sdwa v58, v5, s47 dst_sel:DWORD dst_unused:UNUSED_PAD src0_sel:BYTE_3 src1_sel:DWORD
                                        ; implicit-def: $vgpr5
; %bb.11072:                            ;   in Loop: Header=BB4_10749 Depth=3
	s_andn2_saveexec_b64 s[34:35], vcc
; %bb.11073:                            ;   in Loop: Header=BB4_10749 Depth=3
	v_cmp_lt_i32_e32 vcc, -1, v5
	v_cndmask_b32_e32 v58, -4, v52, vcc
; %bb.11074:                            ;   in Loop: Header=BB4_10749 Depth=3
	s_or_b64 exec, exec, s[34:35]
.LBB4_11075:                            ;   in Loop: Header=BB4_10749 Depth=3
	s_or_b64 exec, exec, s[28:29]
	flat_load_sbyte v0, v[12:13] offset:640 glc slc
	v_mov_b32_e32 v1, 0
	s_waitcnt vmcnt(0) lgkmcnt(0)
	v_cmp_ne_u16_e32 vcc, 0, v0
	s_and_saveexec_b64 s[28:29], vcc
	s_cbranch_execz .LBB4_11083
; %bb.11076:                            ;   in Loop: Header=BB4_10749 Depth=3
	v_cmp_ne_u16_e32 vcc, s97, v0
	v_bfrev_b32_e32 v1, 1
	s_and_saveexec_b64 s[34:35], vcc
	s_cbranch_execz .LBB4_11082
; %bb.11077:                            ;   in Loop: Header=BB4_10749 Depth=3
	v_and_b32_e32 v1, 0x7c, v0
	v_and_b32_e32 v3, 3, v0
	v_cmp_ne_u32_e32 vcc, s85, v1
                                        ; implicit-def: $vgpr1
	s_and_saveexec_b64 s[36:37], vcc
	s_xor_b64 s[36:37], exec, s[36:37]
	s_cbranch_execz .LBB4_11079
; %bb.11078:                            ;   in Loop: Header=BB4_10749 Depth=3
	v_and_b32_e32 v5, 0xff, v0
	v_bfe_u32 v21, v5, 2, 5
	v_ffbh_u32_e32 v5, v3
	v_min_u32_e32 v24, 32, v5
	v_mov_b32_e32 v1, v17
	v_subrev_u32_e32 v5, 29, v24
	v_lshlrev_b64 v[5:6], v5, v[0:1]
	v_sub_u32_e32 v1, 30, v24
	v_cmp_eq_u32_e32 vcc, 0, v21
	v_and_b32_e32 v5, 3, v5
	v_cndmask_b32_e32 v1, v21, v1, vcc
	v_and_b32_sdwa v0, sext(v0), s86 dst_sel:DWORD dst_unused:UNUSED_PAD src0_sel:WORD_0 src1_sel:DWORD
	v_cndmask_b32_e32 v3, v3, v5, vcc
	v_lshl_add_u32 v0, v1, 23, v0
	v_lshl_or_b32 v0, v3, 21, v0
	v_add_u32_e32 v1, 0x38000000, v0
                                        ; implicit-def: $vgpr3
                                        ; implicit-def: $vgpr0
.LBB4_11079:                            ;   in Loop: Header=BB4_10749 Depth=3
	s_andn2_saveexec_b64 s[36:37], s[36:37]
; %bb.11080:                            ;   in Loop: Header=BB4_10749 Depth=3
	v_cmp_lt_i16_e32 vcc, -1, v0
	v_mov_b32_e32 v0, 0xff800000
	v_mov_b32_e32 v1, 0x7f800000
	v_cndmask_b32_e32 v0, v0, v1, vcc
	v_cmp_eq_u32_e32 vcc, 0, v3
	v_mov_b32_e32 v1, 0x7f800001
	v_cndmask_b32_e32 v1, v1, v0, vcc
; %bb.11081:                            ;   in Loop: Header=BB4_10749 Depth=3
	s_or_b64 exec, exec, s[36:37]
.LBB4_11082:                            ;   in Loop: Header=BB4_10749 Depth=3
	s_or_b64 exec, exec, s[34:35]
.LBB4_11083:                            ;   in Loop: Header=BB4_10749 Depth=3
	s_or_b64 exec, exec, s[28:29]
	v_mul_f32_e32 v5, v7, v1
	v_and_b32_e32 v24, 0x7f800000, v5
	v_mov_b32_e32 v25, v17
	v_cmp_ne_u64_e32 vcc, s[76:77], v[24:25]
	v_and_b32_e32 v0, 0x7fffff, v5
	v_mov_b32_e32 v1, v17
                                        ; implicit-def: $vgpr57
	s_and_saveexec_b64 s[28:29], vcc
	s_xor_b64 s[34:35], exec, s[28:29]
	s_cbranch_execz .LBB4_11101
; %bb.11084:                            ;   in Loop: Header=BB4_10749 Depth=3
	v_and_b32_e32 v24, 0x7fffffff, v5
	v_mov_b32_e32 v25, v17
	v_cmp_gt_u64_e32 vcc, s[78:79], v[24:25]
	v_and_b32_sdwa v3, v5, s96 dst_sel:DWORD dst_unused:UNUSED_PAD src0_sel:BYTE_3 src1_sel:DWORD
                                        ; implicit-def: $vgpr57
	s_and_saveexec_b64 s[28:29], vcc
	s_xor_b64 s[36:37], exec, s[28:29]
	s_cbranch_execz .LBB4_11098
; %bb.11085:                            ;   in Loop: Header=BB4_10749 Depth=3
	v_cmp_ne_u32_e32 vcc, 0, v5
	v_mov_b32_e32 v57, 0
	s_and_saveexec_b64 s[38:39], vcc
	s_cbranch_execz .LBB4_11097
; %bb.11086:                            ;   in Loop: Header=BB4_10749 Depth=3
	v_bfe_u32 v21, v5, 23, 8
	v_cmp_gt_u32_e64 s[28:29], s46, v21
	v_sub_u32_e32 v5, 0x71, v21
	v_cmp_eq_u32_e32 vcc, 0, v21
	v_cndmask_b32_e64 v5, 0, v5, s[28:29]
	v_mov_b32_e32 v24, 0x70
	v_cndmask_b32_e32 v24, v5, v24, vcc
	v_or_b32_e32 v6, 0x800000, v0
	v_add_u32_e32 v5, 21, v24
	v_cndmask_b32_e32 v0, v6, v0, vcc
	v_lshlrev_b64 v[5:6], v5, -1
	v_add_u32_e32 v25, 20, v24
	v_bfi_b32 v5, v5, 0, v0
	v_lshlrev_b64 v[25:26], v25, 1
	v_lshrrev_b64 v[0:1], v24, v[0:1]
	v_bfi_b32 v6, v6, 0, 0
	v_cmp_eq_u64_e64 s[28:29], v[5:6], v[25:26]
	v_mov_b32_e32 v6, v1
	v_mov_b32_e32 v5, v0
	s_and_saveexec_b64 s[48:49], s[28:29]
; %bb.11087:                            ;   in Loop: Header=BB4_10749 Depth=3
	v_bfe_u32 v1, v0, 21, 1
	v_add_co_u32_e64 v1, s[28:29], v0, v1
	v_add_co_u32_e64 v5, s[28:29], -1, v1
; %bb.11088:                            ;   in Loop: Header=BB4_10749 Depth=3
	s_or_b64 exec, exec, s[48:49]
	v_add_u32_e32 v1, 0xffffff81, v21
	v_mov_b32_e32 v6, 0xffffff82
	v_cndmask_b32_e32 v1, v1, v6, vcc
	v_lshrrev_b32_e32 v6, 23, v0
	v_add3_u32 v21, v24, v1, v6
	v_add_u32_e32 v6, 14, v21
	v_and_b32_e32 v1, 0x1fffff, v5
	v_add_u32_e32 v0, v1, v0
	v_mov_b32_e32 v1, v17
	v_cmp_ne_u32_e32 vcc, 0, v6
                                        ; implicit-def: $vgpr5
	s_and_saveexec_b64 s[28:29], vcc
	s_xor_b64 s[28:29], exec, s[28:29]
; %bb.11089:                            ;   in Loop: Header=BB4_10749 Depth=3
	v_cmp_lt_u64_e32 vcc, s[88:89], v[0:1]
	v_add_u32_e32 v5, 15, v21
	v_cndmask_b32_e32 v5, v6, v5, vcc
	v_cndmask_b32_e64 v6, 0, 1, vcc
	v_lshrrev_b64 v[0:1], v6, v[0:1]
; %bb.11090:                            ;   in Loop: Header=BB4_10749 Depth=3
	s_andn2_saveexec_b64 s[28:29], s[28:29]
; %bb.11091:                            ;   in Loop: Header=BB4_10749 Depth=3
	v_bfe_u32 v5, v0, 23, 1
; %bb.11092:                            ;   in Loop: Header=BB4_10749 Depth=3
	s_or_b64 exec, exec, s[28:29]
	v_lshrrev_b64 v[0:1], 21, v[0:1]
	v_cmp_gt_i32_e32 vcc, 32, v5
	v_cndmask_b32_e32 v1, 0, v1, vcc
	v_cndmask_b32_e32 v0, 3, v0, vcc
	v_cmp_ne_u64_e32 vcc, 0, v[0:1]
	v_cmp_ne_u32_e64 s[28:29], 0, v5
	s_or_b64 s[28:29], s[28:29], vcc
                                        ; implicit-def: $vgpr57
	s_and_saveexec_b64 vcc, s[28:29]
	s_xor_b64 s[28:29], exec, vcc
; %bb.11093:                            ;   in Loop: Header=BB4_10749 Depth=3
	v_min_i32_e32 v1, 31, v5
	v_lshl_or_b32 v1, v1, 2, v3
	v_and_or_b32 v57, v0, 3, v1
                                        ; implicit-def: $vgpr3
; %bb.11094:                            ;   in Loop: Header=BB4_10749 Depth=3
	s_andn2_saveexec_b64 s[28:29], s[28:29]
; %bb.11095:                            ;   in Loop: Header=BB4_10749 Depth=3
	v_mov_b32_e32 v57, v3
; %bb.11096:                            ;   in Loop: Header=BB4_10749 Depth=3
	s_or_b64 exec, exec, s[28:29]
.LBB4_11097:                            ;   in Loop: Header=BB4_10749 Depth=3
	s_or_b64 exec, exec, s[38:39]
                                        ; implicit-def: $vgpr3
.LBB4_11098:                            ;   in Loop: Header=BB4_10749 Depth=3
	s_andn2_saveexec_b64 s[28:29], s[36:37]
; %bb.11099:                            ;   in Loop: Header=BB4_10749 Depth=3
	v_or_b32_e32 v57, 0x7b, v3
; %bb.11100:                            ;   in Loop: Header=BB4_10749 Depth=3
	s_or_b64 exec, exec, s[28:29]
                                        ; implicit-def: $vgpr5
                                        ; implicit-def: $vgpr0_vgpr1
.LBB4_11101:                            ;   in Loop: Header=BB4_10749 Depth=3
	s_andn2_saveexec_b64 s[28:29], s[34:35]
	s_cbranch_execz .LBB4_11107
; %bb.11102:                            ;   in Loop: Header=BB4_10749 Depth=3
	v_cmp_ne_u64_e32 vcc, 0, v[0:1]
                                        ; implicit-def: $vgpr57
	s_and_saveexec_b64 s[34:35], vcc
	s_xor_b64 vcc, exec, s[34:35]
; %bb.11103:                            ;   in Loop: Header=BB4_10749 Depth=3
	v_or_b32_sdwa v57, v5, s47 dst_sel:DWORD dst_unused:UNUSED_PAD src0_sel:BYTE_3 src1_sel:DWORD
                                        ; implicit-def: $vgpr5
; %bb.11104:                            ;   in Loop: Header=BB4_10749 Depth=3
	s_andn2_saveexec_b64 s[34:35], vcc
; %bb.11105:                            ;   in Loop: Header=BB4_10749 Depth=3
	v_cmp_lt_i32_e32 vcc, -1, v5
	v_cndmask_b32_e32 v57, -4, v52, vcc
; %bb.11106:                            ;   in Loop: Header=BB4_10749 Depth=3
	s_or_b64 exec, exec, s[34:35]
.LBB4_11107:                            ;   in Loop: Header=BB4_10749 Depth=3
	s_or_b64 exec, exec, s[28:29]
	flat_load_sbyte v0, v[12:13] offset:704 glc slc
	v_mov_b32_e32 v1, 0
	s_waitcnt vmcnt(0) lgkmcnt(0)
	v_cmp_ne_u16_e32 vcc, 0, v0
	s_and_saveexec_b64 s[28:29], vcc
	s_cbranch_execz .LBB4_11115
; %bb.11108:                            ;   in Loop: Header=BB4_10749 Depth=3
	v_cmp_ne_u16_e32 vcc, s97, v0
	v_bfrev_b32_e32 v1, 1
	s_and_saveexec_b64 s[34:35], vcc
	s_cbranch_execz .LBB4_11114
; %bb.11109:                            ;   in Loop: Header=BB4_10749 Depth=3
	v_and_b32_e32 v1, 0x7c, v0
	v_and_b32_e32 v3, 3, v0
	v_cmp_ne_u32_e32 vcc, s85, v1
                                        ; implicit-def: $vgpr1
	s_and_saveexec_b64 s[36:37], vcc
	s_xor_b64 s[36:37], exec, s[36:37]
	s_cbranch_execz .LBB4_11111
; %bb.11110:                            ;   in Loop: Header=BB4_10749 Depth=3
	v_and_b32_e32 v5, 0xff, v0
	v_bfe_u32 v21, v5, 2, 5
	v_ffbh_u32_e32 v5, v3
	v_min_u32_e32 v24, 32, v5
	v_mov_b32_e32 v1, v17
	v_subrev_u32_e32 v5, 29, v24
	v_lshlrev_b64 v[5:6], v5, v[0:1]
	v_sub_u32_e32 v1, 30, v24
	v_cmp_eq_u32_e32 vcc, 0, v21
	v_and_b32_e32 v5, 3, v5
	v_cndmask_b32_e32 v1, v21, v1, vcc
	v_and_b32_sdwa v0, sext(v0), s86 dst_sel:DWORD dst_unused:UNUSED_PAD src0_sel:WORD_0 src1_sel:DWORD
	v_cndmask_b32_e32 v3, v3, v5, vcc
	v_lshl_add_u32 v0, v1, 23, v0
	v_lshl_or_b32 v0, v3, 21, v0
	v_add_u32_e32 v1, 0x38000000, v0
                                        ; implicit-def: $vgpr3
                                        ; implicit-def: $vgpr0
.LBB4_11111:                            ;   in Loop: Header=BB4_10749 Depth=3
	s_andn2_saveexec_b64 s[36:37], s[36:37]
; %bb.11112:                            ;   in Loop: Header=BB4_10749 Depth=3
	v_cmp_lt_i16_e32 vcc, -1, v0
	v_mov_b32_e32 v0, 0xff800000
	v_mov_b32_e32 v1, 0x7f800000
	v_cndmask_b32_e32 v0, v0, v1, vcc
	v_cmp_eq_u32_e32 vcc, 0, v3
	v_mov_b32_e32 v1, 0x7f800001
	v_cndmask_b32_e32 v1, v1, v0, vcc
; %bb.11113:                            ;   in Loop: Header=BB4_10749 Depth=3
	s_or_b64 exec, exec, s[36:37]
.LBB4_11114:                            ;   in Loop: Header=BB4_10749 Depth=3
	s_or_b64 exec, exec, s[34:35]
.LBB4_11115:                            ;   in Loop: Header=BB4_10749 Depth=3
	s_or_b64 exec, exec, s[28:29]
	v_mul_f32_e32 v5, v7, v1
	v_and_b32_e32 v24, 0x7f800000, v5
	v_mov_b32_e32 v25, v17
	v_cmp_ne_u64_e32 vcc, s[76:77], v[24:25]
	v_and_b32_e32 v0, 0x7fffff, v5
	v_mov_b32_e32 v1, v17
                                        ; implicit-def: $vgpr56
	s_and_saveexec_b64 s[28:29], vcc
	s_xor_b64 s[34:35], exec, s[28:29]
	s_cbranch_execz .LBB4_11133
; %bb.11116:                            ;   in Loop: Header=BB4_10749 Depth=3
	v_and_b32_e32 v24, 0x7fffffff, v5
	v_mov_b32_e32 v25, v17
	v_cmp_gt_u64_e32 vcc, s[78:79], v[24:25]
	v_and_b32_sdwa v3, v5, s96 dst_sel:DWORD dst_unused:UNUSED_PAD src0_sel:BYTE_3 src1_sel:DWORD
                                        ; implicit-def: $vgpr56
	s_and_saveexec_b64 s[28:29], vcc
	s_xor_b64 s[36:37], exec, s[28:29]
	s_cbranch_execz .LBB4_11130
; %bb.11117:                            ;   in Loop: Header=BB4_10749 Depth=3
	v_cmp_ne_u32_e32 vcc, 0, v5
	v_mov_b32_e32 v56, 0
	s_and_saveexec_b64 s[38:39], vcc
	s_cbranch_execz .LBB4_11129
; %bb.11118:                            ;   in Loop: Header=BB4_10749 Depth=3
	v_bfe_u32 v21, v5, 23, 8
	v_cmp_gt_u32_e64 s[28:29], s46, v21
	v_sub_u32_e32 v5, 0x71, v21
	v_cmp_eq_u32_e32 vcc, 0, v21
	v_cndmask_b32_e64 v5, 0, v5, s[28:29]
	v_mov_b32_e32 v24, 0x70
	v_cndmask_b32_e32 v24, v5, v24, vcc
	v_or_b32_e32 v6, 0x800000, v0
	v_add_u32_e32 v5, 21, v24
	v_cndmask_b32_e32 v0, v6, v0, vcc
	v_lshlrev_b64 v[5:6], v5, -1
	v_add_u32_e32 v25, 20, v24
	v_bfi_b32 v5, v5, 0, v0
	v_lshlrev_b64 v[25:26], v25, 1
	v_lshrrev_b64 v[0:1], v24, v[0:1]
	v_bfi_b32 v6, v6, 0, 0
	v_cmp_eq_u64_e64 s[28:29], v[5:6], v[25:26]
	v_mov_b32_e32 v6, v1
	v_mov_b32_e32 v5, v0
	s_and_saveexec_b64 s[48:49], s[28:29]
; %bb.11119:                            ;   in Loop: Header=BB4_10749 Depth=3
	v_bfe_u32 v1, v0, 21, 1
	v_add_co_u32_e64 v1, s[28:29], v0, v1
	v_add_co_u32_e64 v5, s[28:29], -1, v1
; %bb.11120:                            ;   in Loop: Header=BB4_10749 Depth=3
	s_or_b64 exec, exec, s[48:49]
	v_add_u32_e32 v1, 0xffffff81, v21
	v_mov_b32_e32 v6, 0xffffff82
	v_cndmask_b32_e32 v1, v1, v6, vcc
	v_lshrrev_b32_e32 v6, 23, v0
	v_add3_u32 v21, v24, v1, v6
	v_add_u32_e32 v6, 14, v21
	v_and_b32_e32 v1, 0x1fffff, v5
	v_add_u32_e32 v0, v1, v0
	v_mov_b32_e32 v1, v17
	v_cmp_ne_u32_e32 vcc, 0, v6
                                        ; implicit-def: $vgpr5
	s_and_saveexec_b64 s[28:29], vcc
	s_xor_b64 s[28:29], exec, s[28:29]
; %bb.11121:                            ;   in Loop: Header=BB4_10749 Depth=3
	v_cmp_lt_u64_e32 vcc, s[88:89], v[0:1]
	v_add_u32_e32 v5, 15, v21
	v_cndmask_b32_e32 v5, v6, v5, vcc
	v_cndmask_b32_e64 v6, 0, 1, vcc
	v_lshrrev_b64 v[0:1], v6, v[0:1]
; %bb.11122:                            ;   in Loop: Header=BB4_10749 Depth=3
	s_andn2_saveexec_b64 s[28:29], s[28:29]
; %bb.11123:                            ;   in Loop: Header=BB4_10749 Depth=3
	v_bfe_u32 v5, v0, 23, 1
; %bb.11124:                            ;   in Loop: Header=BB4_10749 Depth=3
	s_or_b64 exec, exec, s[28:29]
	v_lshrrev_b64 v[0:1], 21, v[0:1]
	v_cmp_gt_i32_e32 vcc, 32, v5
	v_cndmask_b32_e32 v1, 0, v1, vcc
	v_cndmask_b32_e32 v0, 3, v0, vcc
	v_cmp_ne_u64_e32 vcc, 0, v[0:1]
	v_cmp_ne_u32_e64 s[28:29], 0, v5
	s_or_b64 s[28:29], s[28:29], vcc
                                        ; implicit-def: $vgpr56
	s_and_saveexec_b64 vcc, s[28:29]
	s_xor_b64 s[28:29], exec, vcc
; %bb.11125:                            ;   in Loop: Header=BB4_10749 Depth=3
	v_min_i32_e32 v1, 31, v5
	v_lshl_or_b32 v1, v1, 2, v3
	v_and_or_b32 v56, v0, 3, v1
                                        ; implicit-def: $vgpr3
; %bb.11126:                            ;   in Loop: Header=BB4_10749 Depth=3
	s_andn2_saveexec_b64 s[28:29], s[28:29]
; %bb.11127:                            ;   in Loop: Header=BB4_10749 Depth=3
	v_mov_b32_e32 v56, v3
; %bb.11128:                            ;   in Loop: Header=BB4_10749 Depth=3
	s_or_b64 exec, exec, s[28:29]
.LBB4_11129:                            ;   in Loop: Header=BB4_10749 Depth=3
	s_or_b64 exec, exec, s[38:39]
                                        ; implicit-def: $vgpr3
.LBB4_11130:                            ;   in Loop: Header=BB4_10749 Depth=3
	s_andn2_saveexec_b64 s[28:29], s[36:37]
; %bb.11131:                            ;   in Loop: Header=BB4_10749 Depth=3
	v_or_b32_e32 v56, 0x7b, v3
; %bb.11132:                            ;   in Loop: Header=BB4_10749 Depth=3
	s_or_b64 exec, exec, s[28:29]
                                        ; implicit-def: $vgpr5
                                        ; implicit-def: $vgpr0_vgpr1
.LBB4_11133:                            ;   in Loop: Header=BB4_10749 Depth=3
	s_andn2_saveexec_b64 s[28:29], s[34:35]
	s_cbranch_execz .LBB4_11139
; %bb.11134:                            ;   in Loop: Header=BB4_10749 Depth=3
	v_cmp_ne_u64_e32 vcc, 0, v[0:1]
                                        ; implicit-def: $vgpr56
	s_and_saveexec_b64 s[34:35], vcc
	s_xor_b64 vcc, exec, s[34:35]
; %bb.11135:                            ;   in Loop: Header=BB4_10749 Depth=3
	v_or_b32_sdwa v56, v5, s47 dst_sel:DWORD dst_unused:UNUSED_PAD src0_sel:BYTE_3 src1_sel:DWORD
                                        ; implicit-def: $vgpr5
; %bb.11136:                            ;   in Loop: Header=BB4_10749 Depth=3
	s_andn2_saveexec_b64 s[34:35], vcc
; %bb.11137:                            ;   in Loop: Header=BB4_10749 Depth=3
	v_cmp_lt_i32_e32 vcc, -1, v5
	v_cndmask_b32_e32 v56, -4, v52, vcc
; %bb.11138:                            ;   in Loop: Header=BB4_10749 Depth=3
	s_or_b64 exec, exec, s[34:35]
.LBB4_11139:                            ;   in Loop: Header=BB4_10749 Depth=3
	s_or_b64 exec, exec, s[28:29]
	flat_load_sbyte v0, v[12:13] offset:768 glc slc
	v_mov_b32_e32 v1, 0
	s_waitcnt vmcnt(0) lgkmcnt(0)
	v_cmp_ne_u16_e32 vcc, 0, v0
	s_and_saveexec_b64 s[28:29], vcc
	s_cbranch_execz .LBB4_11147
; %bb.11140:                            ;   in Loop: Header=BB4_10749 Depth=3
	v_cmp_ne_u16_e32 vcc, s97, v0
	v_bfrev_b32_e32 v1, 1
	s_and_saveexec_b64 s[34:35], vcc
	s_cbranch_execz .LBB4_11146
; %bb.11141:                            ;   in Loop: Header=BB4_10749 Depth=3
	v_and_b32_e32 v1, 0x7c, v0
	v_and_b32_e32 v3, 3, v0
	v_cmp_ne_u32_e32 vcc, s85, v1
                                        ; implicit-def: $vgpr1
	s_and_saveexec_b64 s[36:37], vcc
	s_xor_b64 s[36:37], exec, s[36:37]
	s_cbranch_execz .LBB4_11143
; %bb.11142:                            ;   in Loop: Header=BB4_10749 Depth=3
	v_and_b32_e32 v5, 0xff, v0
	v_bfe_u32 v21, v5, 2, 5
	v_ffbh_u32_e32 v5, v3
	v_min_u32_e32 v24, 32, v5
	v_mov_b32_e32 v1, v17
	v_subrev_u32_e32 v5, 29, v24
	v_lshlrev_b64 v[5:6], v5, v[0:1]
	v_sub_u32_e32 v1, 30, v24
	v_cmp_eq_u32_e32 vcc, 0, v21
	v_and_b32_e32 v5, 3, v5
	v_cndmask_b32_e32 v1, v21, v1, vcc
	v_and_b32_sdwa v0, sext(v0), s86 dst_sel:DWORD dst_unused:UNUSED_PAD src0_sel:WORD_0 src1_sel:DWORD
	v_cndmask_b32_e32 v3, v3, v5, vcc
	v_lshl_add_u32 v0, v1, 23, v0
	v_lshl_or_b32 v0, v3, 21, v0
	v_add_u32_e32 v1, 0x38000000, v0
                                        ; implicit-def: $vgpr3
                                        ; implicit-def: $vgpr0
.LBB4_11143:                            ;   in Loop: Header=BB4_10749 Depth=3
	s_andn2_saveexec_b64 s[36:37], s[36:37]
; %bb.11144:                            ;   in Loop: Header=BB4_10749 Depth=3
	v_cmp_lt_i16_e32 vcc, -1, v0
	v_mov_b32_e32 v0, 0xff800000
	v_mov_b32_e32 v1, 0x7f800000
	v_cndmask_b32_e32 v0, v0, v1, vcc
	v_cmp_eq_u32_e32 vcc, 0, v3
	v_mov_b32_e32 v1, 0x7f800001
	v_cndmask_b32_e32 v1, v1, v0, vcc
; %bb.11145:                            ;   in Loop: Header=BB4_10749 Depth=3
	s_or_b64 exec, exec, s[36:37]
.LBB4_11146:                            ;   in Loop: Header=BB4_10749 Depth=3
	s_or_b64 exec, exec, s[34:35]
.LBB4_11147:                            ;   in Loop: Header=BB4_10749 Depth=3
	s_or_b64 exec, exec, s[28:29]
	v_mul_f32_e32 v5, v7, v1
	v_and_b32_e32 v24, 0x7f800000, v5
	v_mov_b32_e32 v25, v17
	v_cmp_ne_u64_e32 vcc, s[76:77], v[24:25]
	v_and_b32_e32 v0, 0x7fffff, v5
	v_mov_b32_e32 v1, v17
                                        ; implicit-def: $vgpr55
	s_and_saveexec_b64 s[28:29], vcc
	s_xor_b64 s[34:35], exec, s[28:29]
	s_cbranch_execz .LBB4_11165
; %bb.11148:                            ;   in Loop: Header=BB4_10749 Depth=3
	v_and_b32_e32 v24, 0x7fffffff, v5
	v_mov_b32_e32 v25, v17
	v_cmp_gt_u64_e32 vcc, s[78:79], v[24:25]
	v_and_b32_sdwa v3, v5, s96 dst_sel:DWORD dst_unused:UNUSED_PAD src0_sel:BYTE_3 src1_sel:DWORD
                                        ; implicit-def: $vgpr55
	s_and_saveexec_b64 s[28:29], vcc
	s_xor_b64 s[36:37], exec, s[28:29]
	s_cbranch_execz .LBB4_11162
; %bb.11149:                            ;   in Loop: Header=BB4_10749 Depth=3
	v_cmp_ne_u32_e32 vcc, 0, v5
	v_mov_b32_e32 v55, 0
	s_and_saveexec_b64 s[38:39], vcc
	s_cbranch_execz .LBB4_11161
; %bb.11150:                            ;   in Loop: Header=BB4_10749 Depth=3
	v_bfe_u32 v21, v5, 23, 8
	v_cmp_gt_u32_e64 s[28:29], s46, v21
	v_sub_u32_e32 v5, 0x71, v21
	v_cmp_eq_u32_e32 vcc, 0, v21
	v_cndmask_b32_e64 v5, 0, v5, s[28:29]
	v_mov_b32_e32 v24, 0x70
	v_cndmask_b32_e32 v24, v5, v24, vcc
	v_or_b32_e32 v6, 0x800000, v0
	v_add_u32_e32 v5, 21, v24
	v_cndmask_b32_e32 v0, v6, v0, vcc
	v_lshlrev_b64 v[5:6], v5, -1
	v_add_u32_e32 v25, 20, v24
	v_bfi_b32 v5, v5, 0, v0
	v_lshlrev_b64 v[25:26], v25, 1
	v_lshrrev_b64 v[0:1], v24, v[0:1]
	v_bfi_b32 v6, v6, 0, 0
	v_cmp_eq_u64_e64 s[28:29], v[5:6], v[25:26]
	v_mov_b32_e32 v6, v1
	v_mov_b32_e32 v5, v0
	s_and_saveexec_b64 s[48:49], s[28:29]
; %bb.11151:                            ;   in Loop: Header=BB4_10749 Depth=3
	v_bfe_u32 v1, v0, 21, 1
	v_add_co_u32_e64 v1, s[28:29], v0, v1
	v_add_co_u32_e64 v5, s[28:29], -1, v1
; %bb.11152:                            ;   in Loop: Header=BB4_10749 Depth=3
	s_or_b64 exec, exec, s[48:49]
	v_add_u32_e32 v1, 0xffffff81, v21
	v_mov_b32_e32 v6, 0xffffff82
	v_cndmask_b32_e32 v1, v1, v6, vcc
	v_lshrrev_b32_e32 v6, 23, v0
	v_add3_u32 v21, v24, v1, v6
	v_add_u32_e32 v6, 14, v21
	v_and_b32_e32 v1, 0x1fffff, v5
	v_add_u32_e32 v0, v1, v0
	v_mov_b32_e32 v1, v17
	v_cmp_ne_u32_e32 vcc, 0, v6
                                        ; implicit-def: $vgpr5
	s_and_saveexec_b64 s[28:29], vcc
	s_xor_b64 s[28:29], exec, s[28:29]
; %bb.11153:                            ;   in Loop: Header=BB4_10749 Depth=3
	v_cmp_lt_u64_e32 vcc, s[88:89], v[0:1]
	v_add_u32_e32 v5, 15, v21
	v_cndmask_b32_e32 v5, v6, v5, vcc
	v_cndmask_b32_e64 v6, 0, 1, vcc
	v_lshrrev_b64 v[0:1], v6, v[0:1]
; %bb.11154:                            ;   in Loop: Header=BB4_10749 Depth=3
	s_andn2_saveexec_b64 s[28:29], s[28:29]
; %bb.11155:                            ;   in Loop: Header=BB4_10749 Depth=3
	v_bfe_u32 v5, v0, 23, 1
; %bb.11156:                            ;   in Loop: Header=BB4_10749 Depth=3
	s_or_b64 exec, exec, s[28:29]
	v_lshrrev_b64 v[0:1], 21, v[0:1]
	v_cmp_gt_i32_e32 vcc, 32, v5
	v_cndmask_b32_e32 v1, 0, v1, vcc
	v_cndmask_b32_e32 v0, 3, v0, vcc
	v_cmp_ne_u64_e32 vcc, 0, v[0:1]
	v_cmp_ne_u32_e64 s[28:29], 0, v5
	s_or_b64 s[28:29], s[28:29], vcc
                                        ; implicit-def: $vgpr55
	s_and_saveexec_b64 vcc, s[28:29]
	s_xor_b64 s[28:29], exec, vcc
; %bb.11157:                            ;   in Loop: Header=BB4_10749 Depth=3
	v_min_i32_e32 v1, 31, v5
	v_lshl_or_b32 v1, v1, 2, v3
	v_and_or_b32 v55, v0, 3, v1
                                        ; implicit-def: $vgpr3
; %bb.11158:                            ;   in Loop: Header=BB4_10749 Depth=3
	s_andn2_saveexec_b64 s[28:29], s[28:29]
; %bb.11159:                            ;   in Loop: Header=BB4_10749 Depth=3
	v_mov_b32_e32 v55, v3
; %bb.11160:                            ;   in Loop: Header=BB4_10749 Depth=3
	s_or_b64 exec, exec, s[28:29]
.LBB4_11161:                            ;   in Loop: Header=BB4_10749 Depth=3
	s_or_b64 exec, exec, s[38:39]
                                        ; implicit-def: $vgpr3
.LBB4_11162:                            ;   in Loop: Header=BB4_10749 Depth=3
	s_andn2_saveexec_b64 s[28:29], s[36:37]
; %bb.11163:                            ;   in Loop: Header=BB4_10749 Depth=3
	v_or_b32_e32 v55, 0x7b, v3
; %bb.11164:                            ;   in Loop: Header=BB4_10749 Depth=3
	s_or_b64 exec, exec, s[28:29]
                                        ; implicit-def: $vgpr5
                                        ; implicit-def: $vgpr0_vgpr1
.LBB4_11165:                            ;   in Loop: Header=BB4_10749 Depth=3
	s_andn2_saveexec_b64 s[28:29], s[34:35]
	s_cbranch_execz .LBB4_11171
; %bb.11166:                            ;   in Loop: Header=BB4_10749 Depth=3
	v_cmp_ne_u64_e32 vcc, 0, v[0:1]
                                        ; implicit-def: $vgpr55
	s_and_saveexec_b64 s[34:35], vcc
	s_xor_b64 vcc, exec, s[34:35]
; %bb.11167:                            ;   in Loop: Header=BB4_10749 Depth=3
	v_or_b32_sdwa v55, v5, s47 dst_sel:DWORD dst_unused:UNUSED_PAD src0_sel:BYTE_3 src1_sel:DWORD
                                        ; implicit-def: $vgpr5
; %bb.11168:                            ;   in Loop: Header=BB4_10749 Depth=3
	s_andn2_saveexec_b64 s[34:35], vcc
; %bb.11169:                            ;   in Loop: Header=BB4_10749 Depth=3
	v_cmp_lt_i32_e32 vcc, -1, v5
	v_cndmask_b32_e32 v55, -4, v52, vcc
; %bb.11170:                            ;   in Loop: Header=BB4_10749 Depth=3
	s_or_b64 exec, exec, s[34:35]
.LBB4_11171:                            ;   in Loop: Header=BB4_10749 Depth=3
	s_or_b64 exec, exec, s[28:29]
	flat_load_sbyte v0, v[12:13] offset:832 glc slc
	v_mov_b32_e32 v1, 0
	s_waitcnt vmcnt(0) lgkmcnt(0)
	v_cmp_ne_u16_e32 vcc, 0, v0
	s_and_saveexec_b64 s[28:29], vcc
	s_cbranch_execz .LBB4_11179
; %bb.11172:                            ;   in Loop: Header=BB4_10749 Depth=3
	v_cmp_ne_u16_e32 vcc, s97, v0
	v_bfrev_b32_e32 v1, 1
	s_and_saveexec_b64 s[34:35], vcc
	s_cbranch_execz .LBB4_11178
; %bb.11173:                            ;   in Loop: Header=BB4_10749 Depth=3
	v_and_b32_e32 v1, 0x7c, v0
	v_and_b32_e32 v3, 3, v0
	v_cmp_ne_u32_e32 vcc, s85, v1
                                        ; implicit-def: $vgpr1
	s_and_saveexec_b64 s[36:37], vcc
	s_xor_b64 s[36:37], exec, s[36:37]
	s_cbranch_execz .LBB4_11175
; %bb.11174:                            ;   in Loop: Header=BB4_10749 Depth=3
	v_and_b32_e32 v5, 0xff, v0
	v_bfe_u32 v21, v5, 2, 5
	v_ffbh_u32_e32 v5, v3
	v_min_u32_e32 v24, 32, v5
	v_mov_b32_e32 v1, v17
	v_subrev_u32_e32 v5, 29, v24
	v_lshlrev_b64 v[5:6], v5, v[0:1]
	v_sub_u32_e32 v1, 30, v24
	v_cmp_eq_u32_e32 vcc, 0, v21
	v_and_b32_e32 v5, 3, v5
	v_cndmask_b32_e32 v1, v21, v1, vcc
	v_and_b32_sdwa v0, sext(v0), s86 dst_sel:DWORD dst_unused:UNUSED_PAD src0_sel:WORD_0 src1_sel:DWORD
	v_cndmask_b32_e32 v3, v3, v5, vcc
	v_lshl_add_u32 v0, v1, 23, v0
	v_lshl_or_b32 v0, v3, 21, v0
	v_add_u32_e32 v1, 0x38000000, v0
                                        ; implicit-def: $vgpr3
                                        ; implicit-def: $vgpr0
.LBB4_11175:                            ;   in Loop: Header=BB4_10749 Depth=3
	s_andn2_saveexec_b64 s[36:37], s[36:37]
; %bb.11176:                            ;   in Loop: Header=BB4_10749 Depth=3
	v_cmp_lt_i16_e32 vcc, -1, v0
	v_mov_b32_e32 v0, 0xff800000
	v_mov_b32_e32 v1, 0x7f800000
	v_cndmask_b32_e32 v0, v0, v1, vcc
	v_cmp_eq_u32_e32 vcc, 0, v3
	v_mov_b32_e32 v1, 0x7f800001
	v_cndmask_b32_e32 v1, v1, v0, vcc
; %bb.11177:                            ;   in Loop: Header=BB4_10749 Depth=3
	s_or_b64 exec, exec, s[36:37]
.LBB4_11178:                            ;   in Loop: Header=BB4_10749 Depth=3
	s_or_b64 exec, exec, s[34:35]
.LBB4_11179:                            ;   in Loop: Header=BB4_10749 Depth=3
	s_or_b64 exec, exec, s[28:29]
	v_mul_f32_e32 v5, v7, v1
	v_and_b32_e32 v24, 0x7f800000, v5
	v_mov_b32_e32 v25, v17
	v_cmp_ne_u64_e32 vcc, s[76:77], v[24:25]
	v_and_b32_e32 v0, 0x7fffff, v5
	v_mov_b32_e32 v1, v17
                                        ; implicit-def: $vgpr22
	s_and_saveexec_b64 s[28:29], vcc
	s_xor_b64 s[34:35], exec, s[28:29]
	s_cbranch_execz .LBB4_11197
; %bb.11180:                            ;   in Loop: Header=BB4_10749 Depth=3
	v_and_b32_e32 v24, 0x7fffffff, v5
	v_mov_b32_e32 v25, v17
	v_cmp_gt_u64_e32 vcc, s[78:79], v[24:25]
	v_and_b32_sdwa v3, v5, s96 dst_sel:DWORD dst_unused:UNUSED_PAD src0_sel:BYTE_3 src1_sel:DWORD
                                        ; implicit-def: $vgpr22
	s_and_saveexec_b64 s[28:29], vcc
	s_xor_b64 s[36:37], exec, s[28:29]
	s_cbranch_execz .LBB4_11194
; %bb.11181:                            ;   in Loop: Header=BB4_10749 Depth=3
	v_cmp_ne_u32_e32 vcc, 0, v5
	v_mov_b32_e32 v22, 0
	s_and_saveexec_b64 s[38:39], vcc
	s_cbranch_execz .LBB4_11193
; %bb.11182:                            ;   in Loop: Header=BB4_10749 Depth=3
	v_bfe_u32 v21, v5, 23, 8
	v_cmp_gt_u32_e64 s[28:29], s46, v21
	v_sub_u32_e32 v5, 0x71, v21
	v_cmp_eq_u32_e32 vcc, 0, v21
	v_cndmask_b32_e64 v5, 0, v5, s[28:29]
	v_mov_b32_e32 v24, 0x70
	v_cndmask_b32_e32 v24, v5, v24, vcc
	v_or_b32_e32 v6, 0x800000, v0
	v_add_u32_e32 v5, 21, v24
	v_cndmask_b32_e32 v0, v6, v0, vcc
	v_lshlrev_b64 v[5:6], v5, -1
	v_add_u32_e32 v25, 20, v24
	v_bfi_b32 v5, v5, 0, v0
	v_lshlrev_b64 v[25:26], v25, 1
	v_lshrrev_b64 v[0:1], v24, v[0:1]
	v_bfi_b32 v6, v6, 0, 0
	v_cmp_eq_u64_e64 s[28:29], v[5:6], v[25:26]
	v_mov_b32_e32 v6, v1
	v_mov_b32_e32 v5, v0
	s_and_saveexec_b64 s[48:49], s[28:29]
; %bb.11183:                            ;   in Loop: Header=BB4_10749 Depth=3
	v_bfe_u32 v1, v0, 21, 1
	v_add_co_u32_e64 v1, s[28:29], v0, v1
	v_add_co_u32_e64 v5, s[28:29], -1, v1
; %bb.11184:                            ;   in Loop: Header=BB4_10749 Depth=3
	s_or_b64 exec, exec, s[48:49]
	v_add_u32_e32 v1, 0xffffff81, v21
	v_mov_b32_e32 v6, 0xffffff82
	v_cndmask_b32_e32 v1, v1, v6, vcc
	v_lshrrev_b32_e32 v6, 23, v0
	v_add3_u32 v21, v24, v1, v6
	v_add_u32_e32 v6, 14, v21
	v_and_b32_e32 v1, 0x1fffff, v5
	v_add_u32_e32 v0, v1, v0
	v_mov_b32_e32 v1, v17
	v_cmp_ne_u32_e32 vcc, 0, v6
                                        ; implicit-def: $vgpr5
	s_and_saveexec_b64 s[28:29], vcc
	s_xor_b64 s[28:29], exec, s[28:29]
; %bb.11185:                            ;   in Loop: Header=BB4_10749 Depth=3
	v_cmp_lt_u64_e32 vcc, s[88:89], v[0:1]
	v_add_u32_e32 v5, 15, v21
	v_cndmask_b32_e32 v5, v6, v5, vcc
	v_cndmask_b32_e64 v6, 0, 1, vcc
	v_lshrrev_b64 v[0:1], v6, v[0:1]
; %bb.11186:                            ;   in Loop: Header=BB4_10749 Depth=3
	s_andn2_saveexec_b64 s[28:29], s[28:29]
; %bb.11187:                            ;   in Loop: Header=BB4_10749 Depth=3
	v_bfe_u32 v5, v0, 23, 1
; %bb.11188:                            ;   in Loop: Header=BB4_10749 Depth=3
	s_or_b64 exec, exec, s[28:29]
	v_lshrrev_b64 v[0:1], 21, v[0:1]
	v_cmp_gt_i32_e32 vcc, 32, v5
	v_cndmask_b32_e32 v1, 0, v1, vcc
	v_cndmask_b32_e32 v0, 3, v0, vcc
	v_cmp_ne_u64_e32 vcc, 0, v[0:1]
	v_cmp_ne_u32_e64 s[28:29], 0, v5
	s_or_b64 s[28:29], s[28:29], vcc
                                        ; implicit-def: $vgpr22
	s_and_saveexec_b64 vcc, s[28:29]
	s_xor_b64 s[28:29], exec, vcc
; %bb.11189:                            ;   in Loop: Header=BB4_10749 Depth=3
	v_min_i32_e32 v1, 31, v5
	v_lshl_or_b32 v1, v1, 2, v3
	v_and_or_b32 v22, v0, 3, v1
                                        ; implicit-def: $vgpr3
; %bb.11190:                            ;   in Loop: Header=BB4_10749 Depth=3
	s_andn2_saveexec_b64 s[28:29], s[28:29]
; %bb.11191:                            ;   in Loop: Header=BB4_10749 Depth=3
	v_mov_b32_e32 v22, v3
; %bb.11192:                            ;   in Loop: Header=BB4_10749 Depth=3
	s_or_b64 exec, exec, s[28:29]
.LBB4_11193:                            ;   in Loop: Header=BB4_10749 Depth=3
	s_or_b64 exec, exec, s[38:39]
                                        ; implicit-def: $vgpr3
.LBB4_11194:                            ;   in Loop: Header=BB4_10749 Depth=3
	s_andn2_saveexec_b64 s[28:29], s[36:37]
; %bb.11195:                            ;   in Loop: Header=BB4_10749 Depth=3
	v_or_b32_e32 v22, 0x7b, v3
; %bb.11196:                            ;   in Loop: Header=BB4_10749 Depth=3
	s_or_b64 exec, exec, s[28:29]
                                        ; implicit-def: $vgpr5
                                        ; implicit-def: $vgpr0_vgpr1
.LBB4_11197:                            ;   in Loop: Header=BB4_10749 Depth=3
	s_andn2_saveexec_b64 s[28:29], s[34:35]
	s_cbranch_execz .LBB4_11203
; %bb.11198:                            ;   in Loop: Header=BB4_10749 Depth=3
	v_cmp_ne_u64_e32 vcc, 0, v[0:1]
                                        ; implicit-def: $vgpr22
	s_and_saveexec_b64 s[34:35], vcc
	s_xor_b64 vcc, exec, s[34:35]
; %bb.11199:                            ;   in Loop: Header=BB4_10749 Depth=3
	v_or_b32_sdwa v22, v5, s47 dst_sel:DWORD dst_unused:UNUSED_PAD src0_sel:BYTE_3 src1_sel:DWORD
                                        ; implicit-def: $vgpr5
; %bb.11200:                            ;   in Loop: Header=BB4_10749 Depth=3
	s_andn2_saveexec_b64 s[34:35], vcc
; %bb.11201:                            ;   in Loop: Header=BB4_10749 Depth=3
	v_cmp_lt_i32_e32 vcc, -1, v5
	v_cndmask_b32_e32 v22, -4, v52, vcc
; %bb.11202:                            ;   in Loop: Header=BB4_10749 Depth=3
	s_or_b64 exec, exec, s[34:35]
.LBB4_11203:                            ;   in Loop: Header=BB4_10749 Depth=3
	s_or_b64 exec, exec, s[28:29]
	flat_load_sbyte v0, v[12:13] offset:896 glc slc
	v_mov_b32_e32 v1, 0
	s_waitcnt vmcnt(0) lgkmcnt(0)
	v_cmp_ne_u16_e32 vcc, 0, v0
	s_and_saveexec_b64 s[28:29], vcc
	s_cbranch_execz .LBB4_11211
; %bb.11204:                            ;   in Loop: Header=BB4_10749 Depth=3
	v_cmp_ne_u16_e32 vcc, s97, v0
	v_bfrev_b32_e32 v1, 1
	s_and_saveexec_b64 s[34:35], vcc
	s_cbranch_execz .LBB4_11210
; %bb.11205:                            ;   in Loop: Header=BB4_10749 Depth=3
	v_and_b32_e32 v1, 0x7c, v0
	v_and_b32_e32 v3, 3, v0
	v_cmp_ne_u32_e32 vcc, s85, v1
                                        ; implicit-def: $vgpr1
	s_and_saveexec_b64 s[36:37], vcc
	s_xor_b64 s[36:37], exec, s[36:37]
	s_cbranch_execz .LBB4_11207
; %bb.11206:                            ;   in Loop: Header=BB4_10749 Depth=3
	v_and_b32_e32 v5, 0xff, v0
	v_bfe_u32 v21, v5, 2, 5
	v_ffbh_u32_e32 v5, v3
	v_min_u32_e32 v24, 32, v5
	v_mov_b32_e32 v1, v17
	v_subrev_u32_e32 v5, 29, v24
	v_lshlrev_b64 v[5:6], v5, v[0:1]
	v_sub_u32_e32 v1, 30, v24
	v_cmp_eq_u32_e32 vcc, 0, v21
	v_and_b32_e32 v5, 3, v5
	v_cndmask_b32_e32 v1, v21, v1, vcc
	v_and_b32_sdwa v0, sext(v0), s86 dst_sel:DWORD dst_unused:UNUSED_PAD src0_sel:WORD_0 src1_sel:DWORD
	v_cndmask_b32_e32 v3, v3, v5, vcc
	v_lshl_add_u32 v0, v1, 23, v0
	v_lshl_or_b32 v0, v3, 21, v0
	v_add_u32_e32 v1, 0x38000000, v0
                                        ; implicit-def: $vgpr3
                                        ; implicit-def: $vgpr0
.LBB4_11207:                            ;   in Loop: Header=BB4_10749 Depth=3
	s_andn2_saveexec_b64 s[36:37], s[36:37]
; %bb.11208:                            ;   in Loop: Header=BB4_10749 Depth=3
	v_cmp_lt_i16_e32 vcc, -1, v0
	v_mov_b32_e32 v0, 0xff800000
	v_mov_b32_e32 v1, 0x7f800000
	v_cndmask_b32_e32 v0, v0, v1, vcc
	v_cmp_eq_u32_e32 vcc, 0, v3
	v_mov_b32_e32 v1, 0x7f800001
	v_cndmask_b32_e32 v1, v1, v0, vcc
; %bb.11209:                            ;   in Loop: Header=BB4_10749 Depth=3
	s_or_b64 exec, exec, s[36:37]
.LBB4_11210:                            ;   in Loop: Header=BB4_10749 Depth=3
	s_or_b64 exec, exec, s[34:35]
.LBB4_11211:                            ;   in Loop: Header=BB4_10749 Depth=3
	s_or_b64 exec, exec, s[28:29]
	v_mul_f32_e32 v5, v7, v1
	v_and_b32_e32 v24, 0x7f800000, v5
	v_mov_b32_e32 v25, v17
	v_cmp_ne_u64_e32 vcc, s[76:77], v[24:25]
	v_and_b32_e32 v0, 0x7fffff, v5
	v_mov_b32_e32 v1, v17
                                        ; implicit-def: $vgpr27
	s_and_saveexec_b64 s[28:29], vcc
	s_xor_b64 s[34:35], exec, s[28:29]
	s_cbranch_execz .LBB4_11229
; %bb.11212:                            ;   in Loop: Header=BB4_10749 Depth=3
	v_and_b32_e32 v24, 0x7fffffff, v5
	v_mov_b32_e32 v25, v17
	v_cmp_gt_u64_e32 vcc, s[78:79], v[24:25]
	v_and_b32_sdwa v3, v5, s96 dst_sel:DWORD dst_unused:UNUSED_PAD src0_sel:BYTE_3 src1_sel:DWORD
                                        ; implicit-def: $vgpr27
	s_and_saveexec_b64 s[28:29], vcc
	s_xor_b64 s[36:37], exec, s[28:29]
	s_cbranch_execz .LBB4_11226
; %bb.11213:                            ;   in Loop: Header=BB4_10749 Depth=3
	v_cmp_ne_u32_e32 vcc, 0, v5
	v_mov_b32_e32 v27, 0
	s_and_saveexec_b64 s[38:39], vcc
	s_cbranch_execz .LBB4_11225
; %bb.11214:                            ;   in Loop: Header=BB4_10749 Depth=3
	v_bfe_u32 v21, v5, 23, 8
	v_cmp_gt_u32_e64 s[28:29], s46, v21
	v_sub_u32_e32 v5, 0x71, v21
	v_cmp_eq_u32_e32 vcc, 0, v21
	v_cndmask_b32_e64 v5, 0, v5, s[28:29]
	v_mov_b32_e32 v24, 0x70
	v_cndmask_b32_e32 v24, v5, v24, vcc
	v_or_b32_e32 v6, 0x800000, v0
	v_add_u32_e32 v5, 21, v24
	v_cndmask_b32_e32 v0, v6, v0, vcc
	v_lshlrev_b64 v[5:6], v5, -1
	v_add_u32_e32 v25, 20, v24
	v_bfi_b32 v5, v5, 0, v0
	v_lshlrev_b64 v[25:26], v25, 1
	v_lshrrev_b64 v[0:1], v24, v[0:1]
	v_bfi_b32 v6, v6, 0, 0
	v_cmp_eq_u64_e64 s[28:29], v[5:6], v[25:26]
	v_mov_b32_e32 v6, v1
	v_mov_b32_e32 v5, v0
	s_and_saveexec_b64 s[48:49], s[28:29]
; %bb.11215:                            ;   in Loop: Header=BB4_10749 Depth=3
	v_bfe_u32 v1, v0, 21, 1
	v_add_co_u32_e64 v1, s[28:29], v0, v1
	v_add_co_u32_e64 v5, s[28:29], -1, v1
; %bb.11216:                            ;   in Loop: Header=BB4_10749 Depth=3
	s_or_b64 exec, exec, s[48:49]
	v_add_u32_e32 v1, 0xffffff81, v21
	v_mov_b32_e32 v6, 0xffffff82
	v_cndmask_b32_e32 v1, v1, v6, vcc
	v_lshrrev_b32_e32 v6, 23, v0
	v_add3_u32 v21, v24, v1, v6
	v_add_u32_e32 v6, 14, v21
	v_and_b32_e32 v1, 0x1fffff, v5
	v_add_u32_e32 v0, v1, v0
	v_mov_b32_e32 v1, v17
	v_cmp_ne_u32_e32 vcc, 0, v6
                                        ; implicit-def: $vgpr5
	s_and_saveexec_b64 s[28:29], vcc
	s_xor_b64 s[28:29], exec, s[28:29]
; %bb.11217:                            ;   in Loop: Header=BB4_10749 Depth=3
	v_cmp_lt_u64_e32 vcc, s[88:89], v[0:1]
	v_add_u32_e32 v5, 15, v21
	v_cndmask_b32_e32 v5, v6, v5, vcc
	v_cndmask_b32_e64 v6, 0, 1, vcc
	v_lshrrev_b64 v[0:1], v6, v[0:1]
; %bb.11218:                            ;   in Loop: Header=BB4_10749 Depth=3
	s_andn2_saveexec_b64 s[28:29], s[28:29]
; %bb.11219:                            ;   in Loop: Header=BB4_10749 Depth=3
	v_bfe_u32 v5, v0, 23, 1
; %bb.11220:                            ;   in Loop: Header=BB4_10749 Depth=3
	s_or_b64 exec, exec, s[28:29]
	v_lshrrev_b64 v[0:1], 21, v[0:1]
	v_cmp_gt_i32_e32 vcc, 32, v5
	v_cndmask_b32_e32 v1, 0, v1, vcc
	v_cndmask_b32_e32 v0, 3, v0, vcc
	v_cmp_ne_u64_e32 vcc, 0, v[0:1]
	v_cmp_ne_u32_e64 s[28:29], 0, v5
	s_or_b64 s[28:29], s[28:29], vcc
                                        ; implicit-def: $vgpr27
	s_and_saveexec_b64 vcc, s[28:29]
	s_xor_b64 s[28:29], exec, vcc
; %bb.11221:                            ;   in Loop: Header=BB4_10749 Depth=3
	v_min_i32_e32 v1, 31, v5
	v_lshl_or_b32 v1, v1, 2, v3
	v_and_or_b32 v27, v0, 3, v1
                                        ; implicit-def: $vgpr3
; %bb.11222:                            ;   in Loop: Header=BB4_10749 Depth=3
	s_andn2_saveexec_b64 s[28:29], s[28:29]
; %bb.11223:                            ;   in Loop: Header=BB4_10749 Depth=3
	v_mov_b32_e32 v27, v3
; %bb.11224:                            ;   in Loop: Header=BB4_10749 Depth=3
	s_or_b64 exec, exec, s[28:29]
.LBB4_11225:                            ;   in Loop: Header=BB4_10749 Depth=3
	s_or_b64 exec, exec, s[38:39]
                                        ; implicit-def: $vgpr3
.LBB4_11226:                            ;   in Loop: Header=BB4_10749 Depth=3
	s_andn2_saveexec_b64 s[28:29], s[36:37]
; %bb.11227:                            ;   in Loop: Header=BB4_10749 Depth=3
	v_or_b32_e32 v27, 0x7b, v3
; %bb.11228:                            ;   in Loop: Header=BB4_10749 Depth=3
	s_or_b64 exec, exec, s[28:29]
                                        ; implicit-def: $vgpr5
                                        ; implicit-def: $vgpr0_vgpr1
.LBB4_11229:                            ;   in Loop: Header=BB4_10749 Depth=3
	s_andn2_saveexec_b64 s[28:29], s[34:35]
	s_cbranch_execz .LBB4_11235
; %bb.11230:                            ;   in Loop: Header=BB4_10749 Depth=3
	v_cmp_ne_u64_e32 vcc, 0, v[0:1]
                                        ; implicit-def: $vgpr27
	s_and_saveexec_b64 s[34:35], vcc
	s_xor_b64 vcc, exec, s[34:35]
; %bb.11231:                            ;   in Loop: Header=BB4_10749 Depth=3
	v_or_b32_sdwa v27, v5, s47 dst_sel:DWORD dst_unused:UNUSED_PAD src0_sel:BYTE_3 src1_sel:DWORD
                                        ; implicit-def: $vgpr5
; %bb.11232:                            ;   in Loop: Header=BB4_10749 Depth=3
	s_andn2_saveexec_b64 s[34:35], vcc
; %bb.11233:                            ;   in Loop: Header=BB4_10749 Depth=3
	v_cmp_lt_i32_e32 vcc, -1, v5
	v_cndmask_b32_e32 v27, -4, v52, vcc
; %bb.11234:                            ;   in Loop: Header=BB4_10749 Depth=3
	s_or_b64 exec, exec, s[34:35]
.LBB4_11235:                            ;   in Loop: Header=BB4_10749 Depth=3
	s_or_b64 exec, exec, s[28:29]
	flat_load_sbyte v0, v[12:13] offset:960 glc slc
	v_mov_b32_e32 v1, 0
	s_waitcnt vmcnt(0) lgkmcnt(0)
	v_cmp_ne_u16_e32 vcc, 0, v0
	s_and_saveexec_b64 s[28:29], vcc
	s_cbranch_execz .LBB4_11243
; %bb.11236:                            ;   in Loop: Header=BB4_10749 Depth=3
	v_cmp_ne_u16_e32 vcc, s97, v0
	v_bfrev_b32_e32 v1, 1
	s_and_saveexec_b64 s[34:35], vcc
	s_cbranch_execz .LBB4_11242
; %bb.11237:                            ;   in Loop: Header=BB4_10749 Depth=3
	v_and_b32_e32 v1, 0x7c, v0
	v_and_b32_e32 v3, 3, v0
	v_cmp_ne_u32_e32 vcc, s85, v1
                                        ; implicit-def: $vgpr1
	s_and_saveexec_b64 s[36:37], vcc
	s_xor_b64 s[36:37], exec, s[36:37]
	s_cbranch_execz .LBB4_11239
; %bb.11238:                            ;   in Loop: Header=BB4_10749 Depth=3
	v_and_b32_e32 v5, 0xff, v0
	v_bfe_u32 v21, v5, 2, 5
	v_ffbh_u32_e32 v5, v3
	v_min_u32_e32 v24, 32, v5
	v_mov_b32_e32 v1, v17
	v_subrev_u32_e32 v5, 29, v24
	v_lshlrev_b64 v[5:6], v5, v[0:1]
	v_sub_u32_e32 v1, 30, v24
	v_cmp_eq_u32_e32 vcc, 0, v21
	v_and_b32_e32 v5, 3, v5
	v_cndmask_b32_e32 v1, v21, v1, vcc
	v_and_b32_sdwa v0, sext(v0), s86 dst_sel:DWORD dst_unused:UNUSED_PAD src0_sel:WORD_0 src1_sel:DWORD
	v_cndmask_b32_e32 v3, v3, v5, vcc
	v_lshl_add_u32 v0, v1, 23, v0
	v_lshl_or_b32 v0, v3, 21, v0
	v_add_u32_e32 v1, 0x38000000, v0
                                        ; implicit-def: $vgpr3
                                        ; implicit-def: $vgpr0
.LBB4_11239:                            ;   in Loop: Header=BB4_10749 Depth=3
	s_andn2_saveexec_b64 s[36:37], s[36:37]
; %bb.11240:                            ;   in Loop: Header=BB4_10749 Depth=3
	v_cmp_lt_i16_e32 vcc, -1, v0
	v_mov_b32_e32 v0, 0xff800000
	v_mov_b32_e32 v1, 0x7f800000
	v_cndmask_b32_e32 v0, v0, v1, vcc
	v_cmp_eq_u32_e32 vcc, 0, v3
	v_mov_b32_e32 v1, 0x7f800001
	v_cndmask_b32_e32 v1, v1, v0, vcc
; %bb.11241:                            ;   in Loop: Header=BB4_10749 Depth=3
	s_or_b64 exec, exec, s[36:37]
.LBB4_11242:                            ;   in Loop: Header=BB4_10749 Depth=3
	s_or_b64 exec, exec, s[34:35]
.LBB4_11243:                            ;   in Loop: Header=BB4_10749 Depth=3
	s_or_b64 exec, exec, s[28:29]
	v_mul_f32_e32 v5, v7, v1
	v_and_b32_e32 v6, 0x7f800000, v5
	v_mov_b32_e32 v7, v17
	v_cmp_ne_u64_e32 vcc, s[76:77], v[6:7]
	v_and_b32_e32 v0, 0x7fffff, v5
	v_mov_b32_e32 v1, v17
                                        ; implicit-def: $vgpr29
	s_and_saveexec_b64 s[28:29], vcc
	s_xor_b64 s[34:35], exec, s[28:29]
	s_cbranch_execz .LBB4_11261
; %bb.11244:                            ;   in Loop: Header=BB4_10749 Depth=3
	v_and_b32_e32 v6, 0x7fffffff, v5
	v_mov_b32_e32 v7, v17
	v_cmp_gt_u64_e32 vcc, s[78:79], v[6:7]
	v_and_b32_sdwa v3, v5, s96 dst_sel:DWORD dst_unused:UNUSED_PAD src0_sel:BYTE_3 src1_sel:DWORD
                                        ; implicit-def: $vgpr29
	s_and_saveexec_b64 s[28:29], vcc
	s_xor_b64 s[36:37], exec, s[28:29]
	s_cbranch_execz .LBB4_11258
; %bb.11245:                            ;   in Loop: Header=BB4_10749 Depth=3
	v_cmp_ne_u32_e32 vcc, 0, v5
	v_mov_b32_e32 v29, 0
	s_and_saveexec_b64 s[38:39], vcc
	s_cbranch_execz .LBB4_11257
; %bb.11246:                            ;   in Loop: Header=BB4_10749 Depth=3
	v_bfe_u32 v7, v5, 23, 8
	v_cmp_gt_u32_e64 s[28:29], s46, v7
	v_sub_u32_e32 v5, 0x71, v7
	v_cmp_eq_u32_e32 vcc, 0, v7
	v_cndmask_b32_e64 v5, 0, v5, s[28:29]
	v_mov_b32_e32 v21, 0x70
	v_cndmask_b32_e32 v21, v5, v21, vcc
	v_or_b32_e32 v6, 0x800000, v0
	v_add_u32_e32 v5, 21, v21
	v_cndmask_b32_e32 v0, v6, v0, vcc
	v_lshlrev_b64 v[5:6], v5, -1
	v_add_u32_e32 v24, 20, v21
	v_bfi_b32 v5, v5, 0, v0
	v_lshlrev_b64 v[24:25], v24, 1
	v_lshrrev_b64 v[0:1], v21, v[0:1]
	v_bfi_b32 v6, v6, 0, 0
	v_cmp_eq_u64_e64 s[28:29], v[5:6], v[24:25]
	v_mov_b32_e32 v6, v1
	v_mov_b32_e32 v5, v0
	s_and_saveexec_b64 s[48:49], s[28:29]
; %bb.11247:                            ;   in Loop: Header=BB4_10749 Depth=3
	v_bfe_u32 v1, v0, 21, 1
	v_add_co_u32_e64 v1, s[28:29], v0, v1
	v_add_co_u32_e64 v5, s[28:29], -1, v1
; %bb.11248:                            ;   in Loop: Header=BB4_10749 Depth=3
	s_or_b64 exec, exec, s[48:49]
	v_add_u32_e32 v1, 0xffffff81, v7
	v_mov_b32_e32 v6, 0xffffff82
	v_cndmask_b32_e32 v1, v1, v6, vcc
	v_lshrrev_b32_e32 v6, 23, v0
	v_add3_u32 v7, v21, v1, v6
	v_add_u32_e32 v6, 14, v7
	v_and_b32_e32 v1, 0x1fffff, v5
	v_add_u32_e32 v0, v1, v0
	v_mov_b32_e32 v1, v17
	v_cmp_ne_u32_e32 vcc, 0, v6
                                        ; implicit-def: $vgpr5
	s_and_saveexec_b64 s[28:29], vcc
	s_xor_b64 s[28:29], exec, s[28:29]
; %bb.11249:                            ;   in Loop: Header=BB4_10749 Depth=3
	v_cmp_lt_u64_e32 vcc, s[88:89], v[0:1]
	v_add_u32_e32 v5, 15, v7
	v_cndmask_b32_e32 v5, v6, v5, vcc
	v_cndmask_b32_e64 v6, 0, 1, vcc
	v_lshrrev_b64 v[0:1], v6, v[0:1]
; %bb.11250:                            ;   in Loop: Header=BB4_10749 Depth=3
	s_andn2_saveexec_b64 s[28:29], s[28:29]
; %bb.11251:                            ;   in Loop: Header=BB4_10749 Depth=3
	v_bfe_u32 v5, v0, 23, 1
; %bb.11252:                            ;   in Loop: Header=BB4_10749 Depth=3
	s_or_b64 exec, exec, s[28:29]
	v_lshrrev_b64 v[0:1], 21, v[0:1]
	v_cmp_gt_i32_e32 vcc, 32, v5
	v_cndmask_b32_e32 v1, 0, v1, vcc
	v_cndmask_b32_e32 v0, 3, v0, vcc
	v_cmp_ne_u64_e32 vcc, 0, v[0:1]
	v_cmp_ne_u32_e64 s[28:29], 0, v5
	s_or_b64 s[28:29], s[28:29], vcc
                                        ; implicit-def: $vgpr29
	s_and_saveexec_b64 vcc, s[28:29]
	s_xor_b64 s[28:29], exec, vcc
; %bb.11253:                            ;   in Loop: Header=BB4_10749 Depth=3
	v_min_i32_e32 v1, 31, v5
	v_lshl_or_b32 v1, v1, 2, v3
	v_and_or_b32 v29, v0, 3, v1
                                        ; implicit-def: $vgpr3
; %bb.11254:                            ;   in Loop: Header=BB4_10749 Depth=3
	s_andn2_saveexec_b64 s[28:29], s[28:29]
; %bb.11255:                            ;   in Loop: Header=BB4_10749 Depth=3
	v_mov_b32_e32 v29, v3
; %bb.11256:                            ;   in Loop: Header=BB4_10749 Depth=3
	s_or_b64 exec, exec, s[28:29]
.LBB4_11257:                            ;   in Loop: Header=BB4_10749 Depth=3
	s_or_b64 exec, exec, s[38:39]
                                        ; implicit-def: $vgpr3
.LBB4_11258:                            ;   in Loop: Header=BB4_10749 Depth=3
	s_andn2_saveexec_b64 s[28:29], s[36:37]
; %bb.11259:                            ;   in Loop: Header=BB4_10749 Depth=3
	v_or_b32_e32 v29, 0x7b, v3
; %bb.11260:                            ;   in Loop: Header=BB4_10749 Depth=3
	s_or_b64 exec, exec, s[28:29]
                                        ; implicit-def: $vgpr5
                                        ; implicit-def: $vgpr0_vgpr1
.LBB4_11261:                            ;   in Loop: Header=BB4_10749 Depth=3
	s_andn2_saveexec_b64 s[28:29], s[34:35]
	s_cbranch_execz .LBB4_11267
; %bb.11262:                            ;   in Loop: Header=BB4_10749 Depth=3
	v_cmp_ne_u64_e32 vcc, 0, v[0:1]
                                        ; implicit-def: $vgpr29
	s_and_saveexec_b64 s[34:35], vcc
	s_xor_b64 vcc, exec, s[34:35]
; %bb.11263:                            ;   in Loop: Header=BB4_10749 Depth=3
	v_or_b32_sdwa v29, v5, s47 dst_sel:DWORD dst_unused:UNUSED_PAD src0_sel:BYTE_3 src1_sel:DWORD
                                        ; implicit-def: $vgpr5
; %bb.11264:                            ;   in Loop: Header=BB4_10749 Depth=3
	s_andn2_saveexec_b64 s[34:35], vcc
; %bb.11265:                            ;   in Loop: Header=BB4_10749 Depth=3
	v_cmp_lt_i32_e32 vcc, -1, v5
	v_cndmask_b32_e32 v29, -4, v52, vcc
; %bb.11266:                            ;   in Loop: Header=BB4_10749 Depth=3
	s_or_b64 exec, exec, s[34:35]
.LBB4_11267:                            ;   in Loop: Header=BB4_10749 Depth=3
	s_or_b64 exec, exec, s[28:29]
	flat_load_sbyte v31, v[14:15] glc slc
	flat_load_sbyte v46, v[14:15] offset:64 glc slc
	flat_load_sbyte v45, v[14:15] offset:128 glc slc
	;; [unrolled: 1-line block ×15, first 2 shown]
	v_and_b32_e32 v21, 0xff, v50
	v_cmp_ne_u16_e32 vcc, 0, v21
	v_mov_b32_e32 v3, 0
	v_mov_b32_e32 v5, 0
	s_and_saveexec_b64 s[28:29], vcc
	s_cbranch_execz .LBB4_11275
; %bb.11268:                            ;   in Loop: Header=BB4_10749 Depth=3
	v_cmp_ne_u16_e32 vcc, s96, v21
	v_bfrev_b32_e32 v5, 1
	s_and_saveexec_b64 s[34:35], vcc
	s_cbranch_execz .LBB4_11274
; %bb.11269:                            ;   in Loop: Header=BB4_10749 Depth=3
	v_and_b32_e32 v5, 0x7c, v50
	v_and_b32_e32 v7, 3, v50
	v_cmp_ne_u32_e32 vcc, s85, v5
                                        ; implicit-def: $vgpr5
	s_and_saveexec_b64 s[36:37], vcc
	s_xor_b64 s[36:37], exec, s[36:37]
	s_cbranch_execz .LBB4_11271
; %bb.11270:                            ;   in Loop: Header=BB4_10749 Depth=3
	v_bfe_u32 v5, v21, 2, 5
	v_ffbh_u32_e32 v21, v7
	v_min_u32_e32 v21, 32, v21
	v_mov_b32_e32 v51, v17
	v_subrev_u32_e32 v25, 29, v21
	v_lshlrev_b64 v[32:33], v25, v[50:51]
	v_sub_u32_e32 v21, 30, v21
	v_cmp_eq_u32_e32 vcc, 0, v5
	v_cndmask_b32_e32 v5, v5, v21, vcc
	v_lshlrev_b32_e32 v21, 24, v50
	v_and_b32_e32 v25, 3, v32
	v_and_b32_e32 v21, 0x80000000, v21
	v_cndmask_b32_e32 v7, v7, v25, vcc
	v_lshl_add_u32 v5, v5, 23, v21
	v_lshl_or_b32 v5, v7, 21, v5
	v_add_u32_e32 v5, 0x38000000, v5
                                        ; implicit-def: $vgpr7
                                        ; implicit-def: $vgpr50
.LBB4_11271:                            ;   in Loop: Header=BB4_10749 Depth=3
	s_andn2_saveexec_b64 s[36:37], s[36:37]
; %bb.11272:                            ;   in Loop: Header=BB4_10749 Depth=3
	v_mov_b32_e32 v5, -1
	v_cmp_gt_i16_sdwa vcc, sext(v50), v5 src0_sel:BYTE_0 src1_sel:DWORD
	v_mov_b32_e32 v5, 0xff800000
	v_mov_b32_e32 v21, 0x7f800000
	v_cndmask_b32_e32 v5, v5, v21, vcc
	v_cmp_eq_u32_e32 vcc, 0, v7
	v_mov_b32_e32 v7, 0x7f800001
	v_cndmask_b32_e32 v5, v7, v5, vcc
; %bb.11273:                            ;   in Loop: Header=BB4_10749 Depth=3
	s_or_b64 exec, exec, s[36:37]
.LBB4_11274:                            ;   in Loop: Header=BB4_10749 Depth=3
	s_or_b64 exec, exec, s[34:35]
.LBB4_11275:                            ;   in Loop: Header=BB4_10749 Depth=3
	s_or_b64 exec, exec, s[28:29]
	s_waitcnt vmcnt(0) lgkmcnt(0)
	v_cmp_ne_u16_e32 vcc, 0, v31
	s_and_saveexec_b64 s[28:29], vcc
	s_cbranch_execz .LBB4_11283
; %bb.11276:                            ;   in Loop: Header=BB4_10749 Depth=3
	v_cmp_ne_u16_e32 vcc, s97, v31
	v_bfrev_b32_e32 v3, 1
	s_and_saveexec_b64 s[34:35], vcc
	s_cbranch_execz .LBB4_11282
; %bb.11277:                            ;   in Loop: Header=BB4_10749 Depth=3
	v_and_b32_e32 v3, 0x7c, v31
	v_and_b32_e32 v7, 3, v31
	v_cmp_ne_u32_e32 vcc, s85, v3
                                        ; implicit-def: $vgpr3
	s_and_saveexec_b64 s[36:37], vcc
	s_xor_b64 s[36:37], exec, s[36:37]
	s_cbranch_execz .LBB4_11279
; %bb.11278:                            ;   in Loop: Header=BB4_10749 Depth=3
	v_ffbh_u32_e32 v21, v7
	v_min_u32_e32 v21, 32, v21
	v_and_b32_e32 v3, 0xff, v31
	v_mov_b32_e32 v32, v17
	v_subrev_u32_e32 v25, 29, v21
	v_bfe_u32 v3, v3, 2, 5
	v_lshlrev_b64 v[32:33], v25, v[31:32]
	v_sub_u32_e32 v21, 30, v21
	v_cmp_eq_u32_e32 vcc, 0, v3
	v_and_b32_e32 v25, 3, v32
	v_cndmask_b32_e32 v3, v3, v21, vcc
	v_and_b32_sdwa v21, sext(v31), s86 dst_sel:DWORD dst_unused:UNUSED_PAD src0_sel:WORD_0 src1_sel:DWORD
	v_cndmask_b32_e32 v7, v7, v25, vcc
	v_lshl_add_u32 v3, v3, 23, v21
	v_lshl_or_b32 v3, v7, 21, v3
	v_add_u32_e32 v3, 0x38000000, v3
                                        ; implicit-def: $vgpr7
                                        ; implicit-def: $vgpr31
.LBB4_11279:                            ;   in Loop: Header=BB4_10749 Depth=3
	s_andn2_saveexec_b64 s[36:37], s[36:37]
; %bb.11280:                            ;   in Loop: Header=BB4_10749 Depth=3
	v_cmp_lt_i16_e32 vcc, -1, v31
	v_mov_b32_e32 v3, 0xff800000
	v_mov_b32_e32 v21, 0x7f800000
	v_cndmask_b32_e32 v3, v3, v21, vcc
	v_cmp_eq_u32_e32 vcc, 0, v7
	v_mov_b32_e32 v7, 0x7f800001
	v_cndmask_b32_e32 v3, v7, v3, vcc
; %bb.11281:                            ;   in Loop: Header=BB4_10749 Depth=3
	s_or_b64 exec, exec, s[36:37]
.LBB4_11282:                            ;   in Loop: Header=BB4_10749 Depth=3
	s_or_b64 exec, exec, s[34:35]
.LBB4_11283:                            ;   in Loop: Header=BB4_10749 Depth=3
	s_or_b64 exec, exec, s[28:29]
	v_add_f32_e32 v5, v5, v3
	v_and_b32_e32 v32, 0x7f800000, v5
	v_mov_b32_e32 v33, v17
	v_cmp_ne_u64_e32 vcc, s[76:77], v[32:33]
	v_and_b32_e32 v31, 0x7fffff, v5
	v_mov_b32_e32 v32, v17
                                        ; implicit-def: $vgpr50
	s_and_saveexec_b64 s[28:29], vcc
	s_xor_b64 s[34:35], exec, s[28:29]
	s_cbranch_execz .LBB4_11301
; %bb.11284:                            ;   in Loop: Header=BB4_10749 Depth=3
	v_and_b32_e32 v48, 0x7fffffff, v5
	v_mov_b32_e32 v49, v17
	v_cmp_gt_u64_e32 vcc, s[78:79], v[48:49]
	v_and_b32_sdwa v3, v5, s96 dst_sel:DWORD dst_unused:UNUSED_PAD src0_sel:BYTE_3 src1_sel:DWORD
                                        ; implicit-def: $vgpr50
	s_and_saveexec_b64 s[28:29], vcc
	s_xor_b64 s[36:37], exec, s[28:29]
	s_cbranch_execz .LBB4_11298
; %bb.11285:                            ;   in Loop: Header=BB4_10749 Depth=3
	v_cmp_ne_u32_e32 vcc, 0, v5
	v_mov_b32_e32 v50, 0
	s_and_saveexec_b64 s[38:39], vcc
	s_cbranch_execz .LBB4_11297
; %bb.11286:                            ;   in Loop: Header=BB4_10749 Depth=3
	v_bfe_u32 v5, v5, 23, 8
	v_cmp_gt_u32_e64 s[28:29], s46, v5
	v_sub_u32_e32 v7, 0x71, v5
	v_cmp_eq_u32_e32 vcc, 0, v5
	v_cndmask_b32_e64 v7, 0, v7, s[28:29]
	v_mov_b32_e32 v25, 0x70
	v_or_b32_e32 v21, 0x800000, v31
	v_cndmask_b32_e32 v7, v7, v25, vcc
	v_cndmask_b32_e32 v31, v21, v31, vcc
	v_add_u32_e32 v21, 21, v7
	v_lshlrev_b64 v[48:49], v21, -1
	v_add_u32_e32 v21, 20, v7
	v_bfi_b32 v48, v48, 0, v31
	v_lshlrev_b64 v[50:51], v21, 1
	v_lshrrev_b64 v[31:32], v7, v[31:32]
	v_bfi_b32 v49, v49, 0, 0
	v_cmp_eq_u64_e64 s[28:29], v[48:49], v[50:51]
	v_mov_b32_e32 v33, v32
	v_mov_b32_e32 v32, v31
	s_and_saveexec_b64 s[48:49], s[28:29]
; %bb.11287:                            ;   in Loop: Header=BB4_10749 Depth=3
	v_bfe_u32 v21, v31, 21, 1
	v_add_co_u32_e64 v21, s[28:29], v31, v21
	v_add_co_u32_e64 v32, s[28:29], -1, v21
; %bb.11288:                            ;   in Loop: Header=BB4_10749 Depth=3
	s_or_b64 exec, exec, s[48:49]
	v_add_u32_e32 v5, 0xffffff81, v5
	v_mov_b32_e32 v21, 0xffffff82
	v_cndmask_b32_e32 v5, v5, v21, vcc
	v_lshrrev_b32_e32 v21, 23, v31
	v_add3_u32 v21, v7, v5, v21
	v_add_u32_e32 v7, 14, v21
	v_and_b32_e32 v5, 0x1fffff, v32
	v_add_u32_e32 v31, v5, v31
	v_mov_b32_e32 v32, v17
	v_cmp_ne_u32_e32 vcc, 0, v7
                                        ; implicit-def: $vgpr5
	s_and_saveexec_b64 s[28:29], vcc
	s_xor_b64 s[28:29], exec, s[28:29]
; %bb.11289:                            ;   in Loop: Header=BB4_10749 Depth=3
	v_cmp_lt_u64_e32 vcc, s[88:89], v[31:32]
	v_add_u32_e32 v5, 15, v21
	v_cndmask_b32_e32 v5, v7, v5, vcc
	v_cndmask_b32_e64 v7, 0, 1, vcc
	v_lshrrev_b64 v[31:32], v7, v[31:32]
; %bb.11290:                            ;   in Loop: Header=BB4_10749 Depth=3
	s_andn2_saveexec_b64 s[28:29], s[28:29]
; %bb.11291:                            ;   in Loop: Header=BB4_10749 Depth=3
	v_bfe_u32 v5, v31, 23, 1
; %bb.11292:                            ;   in Loop: Header=BB4_10749 Depth=3
	s_or_b64 exec, exec, s[28:29]
	v_lshrrev_b64 v[31:32], 21, v[31:32]
	v_cmp_gt_i32_e32 vcc, 32, v5
	v_cndmask_b32_e32 v32, 0, v32, vcc
	v_cndmask_b32_e32 v31, 3, v31, vcc
	v_cmp_ne_u64_e32 vcc, 0, v[31:32]
	v_cmp_ne_u32_e64 s[28:29], 0, v5
	s_or_b64 s[28:29], s[28:29], vcc
                                        ; implicit-def: $vgpr50
	s_and_saveexec_b64 vcc, s[28:29]
	s_xor_b64 s[28:29], exec, vcc
; %bb.11293:                            ;   in Loop: Header=BB4_10749 Depth=3
	v_min_i32_e32 v5, 31, v5
	v_lshl_or_b32 v3, v5, 2, v3
	v_and_or_b32 v50, v31, 3, v3
                                        ; implicit-def: $vgpr3
; %bb.11294:                            ;   in Loop: Header=BB4_10749 Depth=3
	s_andn2_saveexec_b64 s[28:29], s[28:29]
; %bb.11295:                            ;   in Loop: Header=BB4_10749 Depth=3
	v_mov_b32_e32 v50, v3
; %bb.11296:                            ;   in Loop: Header=BB4_10749 Depth=3
	s_or_b64 exec, exec, s[28:29]
.LBB4_11297:                            ;   in Loop: Header=BB4_10749 Depth=3
	s_or_b64 exec, exec, s[38:39]
                                        ; implicit-def: $vgpr3
.LBB4_11298:                            ;   in Loop: Header=BB4_10749 Depth=3
	s_andn2_saveexec_b64 s[28:29], s[36:37]
; %bb.11299:                            ;   in Loop: Header=BB4_10749 Depth=3
	v_or_b32_e32 v50, 0x7b, v3
; %bb.11300:                            ;   in Loop: Header=BB4_10749 Depth=3
	s_or_b64 exec, exec, s[28:29]
                                        ; implicit-def: $vgpr5
                                        ; implicit-def: $vgpr31_vgpr32
.LBB4_11301:                            ;   in Loop: Header=BB4_10749 Depth=3
	s_andn2_saveexec_b64 s[28:29], s[34:35]
	s_cbranch_execz .LBB4_11307
; %bb.11302:                            ;   in Loop: Header=BB4_10749 Depth=3
	v_cmp_ne_u64_e32 vcc, 0, v[31:32]
                                        ; implicit-def: $vgpr50
	s_and_saveexec_b64 s[34:35], vcc
	s_xor_b64 vcc, exec, s[34:35]
; %bb.11303:                            ;   in Loop: Header=BB4_10749 Depth=3
	v_or_b32_sdwa v50, v5, s47 dst_sel:DWORD dst_unused:UNUSED_PAD src0_sel:BYTE_3 src1_sel:DWORD
                                        ; implicit-def: $vgpr5
; %bb.11304:                            ;   in Loop: Header=BB4_10749 Depth=3
	s_andn2_saveexec_b64 s[34:35], vcc
; %bb.11305:                            ;   in Loop: Header=BB4_10749 Depth=3
	v_cmp_lt_i32_e32 vcc, -1, v5
	v_cndmask_b32_e32 v50, -4, v52, vcc
; %bb.11306:                            ;   in Loop: Header=BB4_10749 Depth=3
	s_or_b64 exec, exec, s[34:35]
.LBB4_11307:                            ;   in Loop: Header=BB4_10749 Depth=3
	s_or_b64 exec, exec, s[28:29]
	v_and_b32_e32 v21, 0xff, v53
	v_cmp_ne_u16_e32 vcc, 0, v21
	v_mov_b32_e32 v3, 0
	v_mov_b32_e32 v5, 0
	s_and_saveexec_b64 s[28:29], vcc
	s_cbranch_execz .LBB4_11315
; %bb.11308:                            ;   in Loop: Header=BB4_10749 Depth=3
	v_cmp_ne_u16_e32 vcc, s96, v21
	v_bfrev_b32_e32 v5, 1
	s_and_saveexec_b64 s[34:35], vcc
	s_cbranch_execz .LBB4_11314
; %bb.11309:                            ;   in Loop: Header=BB4_10749 Depth=3
	v_and_b32_e32 v5, 0x7c, v53
	v_and_b32_e32 v7, 3, v53
	v_cmp_ne_u32_e32 vcc, s85, v5
                                        ; implicit-def: $vgpr5
	s_and_saveexec_b64 s[36:37], vcc
	s_xor_b64 s[36:37], exec, s[36:37]
	s_cbranch_execz .LBB4_11311
; %bb.11310:                            ;   in Loop: Header=BB4_10749 Depth=3
	v_bfe_u32 v5, v21, 2, 5
	v_ffbh_u32_e32 v21, v7
	v_min_u32_e32 v21, 32, v21
	v_mov_b32_e32 v54, v17
	v_subrev_u32_e32 v25, 29, v21
	v_lshlrev_b64 v[31:32], v25, v[53:54]
	v_sub_u32_e32 v21, 30, v21
	v_cmp_eq_u32_e32 vcc, 0, v5
	v_cndmask_b32_e32 v5, v5, v21, vcc
	v_lshlrev_b32_e32 v21, 24, v53
	v_and_b32_e32 v25, 3, v31
	v_and_b32_e32 v21, 0x80000000, v21
	v_cndmask_b32_e32 v7, v7, v25, vcc
	v_lshl_add_u32 v5, v5, 23, v21
	v_lshl_or_b32 v5, v7, 21, v5
	v_add_u32_e32 v5, 0x38000000, v5
                                        ; implicit-def: $vgpr7
                                        ; implicit-def: $vgpr53
.LBB4_11311:                            ;   in Loop: Header=BB4_10749 Depth=3
	s_andn2_saveexec_b64 s[36:37], s[36:37]
; %bb.11312:                            ;   in Loop: Header=BB4_10749 Depth=3
	v_mov_b32_e32 v5, -1
	v_cmp_gt_i16_sdwa vcc, sext(v53), v5 src0_sel:BYTE_0 src1_sel:DWORD
	v_mov_b32_e32 v5, 0xff800000
	v_mov_b32_e32 v21, 0x7f800000
	v_cndmask_b32_e32 v5, v5, v21, vcc
	v_cmp_eq_u32_e32 vcc, 0, v7
	v_mov_b32_e32 v7, 0x7f800001
	v_cndmask_b32_e32 v5, v7, v5, vcc
; %bb.11313:                            ;   in Loop: Header=BB4_10749 Depth=3
	s_or_b64 exec, exec, s[36:37]
.LBB4_11314:                            ;   in Loop: Header=BB4_10749 Depth=3
	s_or_b64 exec, exec, s[34:35]
.LBB4_11315:                            ;   in Loop: Header=BB4_10749 Depth=3
	s_or_b64 exec, exec, s[28:29]
	v_cmp_ne_u16_e32 vcc, 0, v46
	s_and_saveexec_b64 s[28:29], vcc
	s_cbranch_execz .LBB4_11323
; %bb.11316:                            ;   in Loop: Header=BB4_10749 Depth=3
	v_cmp_ne_u16_e32 vcc, s97, v46
	v_bfrev_b32_e32 v3, 1
	s_and_saveexec_b64 s[34:35], vcc
	s_cbranch_execz .LBB4_11322
; %bb.11317:                            ;   in Loop: Header=BB4_10749 Depth=3
	v_and_b32_e32 v3, 0x7c, v46
	v_and_b32_e32 v7, 3, v46
	v_cmp_ne_u32_e32 vcc, s85, v3
                                        ; implicit-def: $vgpr3
	s_and_saveexec_b64 s[36:37], vcc
	s_xor_b64 s[36:37], exec, s[36:37]
	s_cbranch_execz .LBB4_11319
; %bb.11318:                            ;   in Loop: Header=BB4_10749 Depth=3
	v_ffbh_u32_e32 v21, v7
	v_min_u32_e32 v21, 32, v21
	v_mov_b32_e32 v47, v17
	v_subrev_u32_e32 v25, 29, v21
	v_lshlrev_b64 v[31:32], v25, v[46:47]
	buffer_load_dword v47, off, s[0:3], s33 offset:236 ; 4-byte Folded Reload
	v_and_b32_e32 v3, 0xff, v46
	v_bfe_u32 v3, v3, 2, 5
	v_sub_u32_e32 v21, 30, v21
	v_cmp_eq_u32_e32 vcc, 0, v3
	v_and_b32_e32 v25, 3, v31
	v_cndmask_b32_e32 v3, v3, v21, vcc
	v_and_b32_sdwa v21, sext(v46), s86 dst_sel:DWORD dst_unused:UNUSED_PAD src0_sel:WORD_0 src1_sel:DWORD
	v_cndmask_b32_e32 v7, v7, v25, vcc
	v_lshl_add_u32 v3, v3, 23, v21
	v_lshl_or_b32 v3, v7, 21, v3
	v_add_u32_e32 v3, 0x38000000, v3
                                        ; implicit-def: $vgpr7
                                        ; implicit-def: $vgpr46
.LBB4_11319:                            ;   in Loop: Header=BB4_10749 Depth=3
	s_andn2_saveexec_b64 s[36:37], s[36:37]
; %bb.11320:                            ;   in Loop: Header=BB4_10749 Depth=3
	v_cmp_lt_i16_e32 vcc, -1, v46
	v_mov_b32_e32 v3, 0xff800000
	v_mov_b32_e32 v21, 0x7f800000
	v_cndmask_b32_e32 v3, v3, v21, vcc
	v_cmp_eq_u32_e32 vcc, 0, v7
	v_mov_b32_e32 v7, 0x7f800001
	v_cndmask_b32_e32 v3, v7, v3, vcc
; %bb.11321:                            ;   in Loop: Header=BB4_10749 Depth=3
	s_or_b64 exec, exec, s[36:37]
.LBB4_11322:                            ;   in Loop: Header=BB4_10749 Depth=3
	s_or_b64 exec, exec, s[34:35]
.LBB4_11323:                            ;   in Loop: Header=BB4_10749 Depth=3
	s_or_b64 exec, exec, s[28:29]
	v_add_f32_e32 v5, v5, v3
	v_and_b32_e32 v32, 0x7f800000, v5
	v_mov_b32_e32 v33, v17
	v_cmp_ne_u64_e32 vcc, s[76:77], v[32:33]
	v_and_b32_e32 v31, 0x7fffff, v5
	v_mov_b32_e32 v32, v17
                                        ; implicit-def: $vgpr33
	s_and_saveexec_b64 s[28:29], vcc
	s_xor_b64 s[34:35], exec, s[28:29]
	s_cbranch_execz .LBB4_11341
; %bb.11324:                            ;   in Loop: Header=BB4_10749 Depth=3
	v_and_b32_e32 v48, 0x7fffffff, v5
	v_mov_b32_e32 v49, v17
	v_cmp_gt_u64_e32 vcc, s[78:79], v[48:49]
	v_and_b32_sdwa v3, v5, s96 dst_sel:DWORD dst_unused:UNUSED_PAD src0_sel:BYTE_3 src1_sel:DWORD
                                        ; implicit-def: $vgpr33
	s_and_saveexec_b64 s[28:29], vcc
	s_xor_b64 s[36:37], exec, s[28:29]
	s_cbranch_execz .LBB4_11338
; %bb.11325:                            ;   in Loop: Header=BB4_10749 Depth=3
	v_cmp_ne_u32_e32 vcc, 0, v5
	v_mov_b32_e32 v33, 0
	s_and_saveexec_b64 s[38:39], vcc
	s_cbranch_execz .LBB4_11337
; %bb.11326:                            ;   in Loop: Header=BB4_10749 Depth=3
	v_bfe_u32 v5, v5, 23, 8
	v_cmp_gt_u32_e64 s[28:29], s46, v5
	v_sub_u32_e32 v7, 0x71, v5
	v_cmp_eq_u32_e32 vcc, 0, v5
	v_cndmask_b32_e64 v7, 0, v7, s[28:29]
	v_mov_b32_e32 v25, 0x70
	v_or_b32_e32 v21, 0x800000, v31
	v_cndmask_b32_e32 v7, v7, v25, vcc
	v_cndmask_b32_e32 v31, v21, v31, vcc
	v_add_u32_e32 v21, 21, v7
	v_lshlrev_b64 v[48:49], v21, -1
	v_add_u32_e32 v21, 20, v7
	v_bfi_b32 v48, v48, 0, v31
	v_lshlrev_b64 v[53:54], v21, 1
	v_lshrrev_b64 v[31:32], v7, v[31:32]
	v_bfi_b32 v49, v49, 0, 0
	v_cmp_eq_u64_e64 s[28:29], v[48:49], v[53:54]
	v_mov_b32_e32 v33, v32
	v_mov_b32_e32 v32, v31
	s_and_saveexec_b64 s[48:49], s[28:29]
; %bb.11327:                            ;   in Loop: Header=BB4_10749 Depth=3
	v_bfe_u32 v21, v31, 21, 1
	v_add_co_u32_e64 v21, s[28:29], v31, v21
	v_add_co_u32_e64 v32, s[28:29], -1, v21
; %bb.11328:                            ;   in Loop: Header=BB4_10749 Depth=3
	s_or_b64 exec, exec, s[48:49]
	v_add_u32_e32 v5, 0xffffff81, v5
	v_mov_b32_e32 v21, 0xffffff82
	v_cndmask_b32_e32 v5, v5, v21, vcc
	v_lshrrev_b32_e32 v21, 23, v31
	v_add3_u32 v21, v7, v5, v21
	v_add_u32_e32 v7, 14, v21
	v_and_b32_e32 v5, 0x1fffff, v32
	v_add_u32_e32 v31, v5, v31
	v_mov_b32_e32 v32, v17
	v_cmp_ne_u32_e32 vcc, 0, v7
                                        ; implicit-def: $vgpr5
	s_and_saveexec_b64 s[28:29], vcc
	s_xor_b64 s[28:29], exec, s[28:29]
; %bb.11329:                            ;   in Loop: Header=BB4_10749 Depth=3
	v_cmp_lt_u64_e32 vcc, s[88:89], v[31:32]
	v_add_u32_e32 v5, 15, v21
	v_cndmask_b32_e32 v5, v7, v5, vcc
	v_cndmask_b32_e64 v7, 0, 1, vcc
	v_lshrrev_b64 v[31:32], v7, v[31:32]
; %bb.11330:                            ;   in Loop: Header=BB4_10749 Depth=3
	s_andn2_saveexec_b64 s[28:29], s[28:29]
; %bb.11331:                            ;   in Loop: Header=BB4_10749 Depth=3
	v_bfe_u32 v5, v31, 23, 1
; %bb.11332:                            ;   in Loop: Header=BB4_10749 Depth=3
	s_or_b64 exec, exec, s[28:29]
	v_lshrrev_b64 v[31:32], 21, v[31:32]
	v_cmp_gt_i32_e32 vcc, 32, v5
	v_cndmask_b32_e32 v32, 0, v32, vcc
	v_cndmask_b32_e32 v31, 3, v31, vcc
	v_cmp_ne_u64_e32 vcc, 0, v[31:32]
	v_cmp_ne_u32_e64 s[28:29], 0, v5
	s_or_b64 s[28:29], s[28:29], vcc
                                        ; implicit-def: $vgpr33
	s_and_saveexec_b64 vcc, s[28:29]
	s_xor_b64 s[28:29], exec, vcc
; %bb.11333:                            ;   in Loop: Header=BB4_10749 Depth=3
	v_min_i32_e32 v5, 31, v5
	v_lshl_or_b32 v3, v5, 2, v3
	v_and_or_b32 v33, v31, 3, v3
                                        ; implicit-def: $vgpr3
; %bb.11334:                            ;   in Loop: Header=BB4_10749 Depth=3
	s_andn2_saveexec_b64 s[28:29], s[28:29]
; %bb.11335:                            ;   in Loop: Header=BB4_10749 Depth=3
	v_mov_b32_e32 v33, v3
; %bb.11336:                            ;   in Loop: Header=BB4_10749 Depth=3
	s_or_b64 exec, exec, s[28:29]
.LBB4_11337:                            ;   in Loop: Header=BB4_10749 Depth=3
	s_or_b64 exec, exec, s[38:39]
                                        ; implicit-def: $vgpr3
.LBB4_11338:                            ;   in Loop: Header=BB4_10749 Depth=3
	s_andn2_saveexec_b64 s[28:29], s[36:37]
; %bb.11339:                            ;   in Loop: Header=BB4_10749 Depth=3
	v_or_b32_e32 v33, 0x7b, v3
; %bb.11340:                            ;   in Loop: Header=BB4_10749 Depth=3
	s_or_b64 exec, exec, s[28:29]
                                        ; implicit-def: $vgpr5
                                        ; implicit-def: $vgpr31_vgpr32
.LBB4_11341:                            ;   in Loop: Header=BB4_10749 Depth=3
	s_andn2_saveexec_b64 s[28:29], s[34:35]
	s_cbranch_execz .LBB4_11347
; %bb.11342:                            ;   in Loop: Header=BB4_10749 Depth=3
	v_cmp_ne_u64_e32 vcc, 0, v[31:32]
                                        ; implicit-def: $vgpr33
	s_and_saveexec_b64 s[34:35], vcc
	s_xor_b64 vcc, exec, s[34:35]
; %bb.11343:                            ;   in Loop: Header=BB4_10749 Depth=3
	v_or_b32_sdwa v33, v5, s47 dst_sel:DWORD dst_unused:UNUSED_PAD src0_sel:BYTE_3 src1_sel:DWORD
                                        ; implicit-def: $vgpr5
; %bb.11344:                            ;   in Loop: Header=BB4_10749 Depth=3
	s_andn2_saveexec_b64 s[34:35], vcc
; %bb.11345:                            ;   in Loop: Header=BB4_10749 Depth=3
	v_cmp_lt_i32_e32 vcc, -1, v5
	v_cndmask_b32_e32 v33, -4, v52, vcc
; %bb.11346:                            ;   in Loop: Header=BB4_10749 Depth=3
	s_or_b64 exec, exec, s[34:35]
.LBB4_11347:                            ;   in Loop: Header=BB4_10749 Depth=3
	s_or_b64 exec, exec, s[28:29]
	v_and_b32_e32 v21, 0xff, v2
	v_cmp_ne_u16_e32 vcc, 0, v21
	v_mov_b32_e32 v5, 0
	v_mov_b32_e32 v3, 0
	s_and_saveexec_b64 s[28:29], vcc
	s_cbranch_execz .LBB4_11355
; %bb.11348:                            ;   in Loop: Header=BB4_10749 Depth=3
	v_cmp_ne_u16_e32 vcc, s96, v21
	v_bfrev_b32_e32 v3, 1
	s_and_saveexec_b64 s[34:35], vcc
	s_cbranch_execz .LBB4_11354
; %bb.11349:                            ;   in Loop: Header=BB4_10749 Depth=3
	v_and_b32_e32 v3, 0x7c, v2
	v_and_b32_e32 v7, 3, v2
	v_cmp_ne_u32_e32 vcc, s85, v3
                                        ; implicit-def: $vgpr3
	s_and_saveexec_b64 s[36:37], vcc
	s_xor_b64 s[36:37], exec, s[36:37]
	s_cbranch_execz .LBB4_11351
; %bb.11350:                            ;   in Loop: Header=BB4_10749 Depth=3
	v_ffbh_u32_e32 v25, v7
	v_min_u32_e32 v25, 32, v25
	v_mov_b32_e32 v3, v17
	v_mov_b32_e32 v28, v27
	v_subrev_u32_e32 v27, 29, v25
	v_bfe_u32 v21, v21, 2, 5
	v_lshlrev_b64 v[31:32], v27, v[2:3]
	v_sub_u32_e32 v3, 30, v25
	v_cmp_eq_u32_e32 vcc, 0, v21
	v_lshlrev_b32_e32 v2, 24, v2
	v_and_b32_e32 v25, 3, v31
	v_cndmask_b32_e32 v3, v21, v3, vcc
	v_and_b32_e32 v2, 0x80000000, v2
	v_cndmask_b32_e32 v7, v7, v25, vcc
	v_lshl_add_u32 v2, v3, 23, v2
	v_lshl_or_b32 v2, v7, 21, v2
	v_mov_b32_e32 v27, v28
	v_add_u32_e32 v3, 0x38000000, v2
                                        ; implicit-def: $vgpr7
                                        ; implicit-def: $vgpr2
.LBB4_11351:                            ;   in Loop: Header=BB4_10749 Depth=3
	s_andn2_saveexec_b64 s[36:37], s[36:37]
; %bb.11352:                            ;   in Loop: Header=BB4_10749 Depth=3
	v_mov_b32_e32 v3, -1
	v_cmp_gt_i16_sdwa vcc, sext(v2), v3 src0_sel:BYTE_0 src1_sel:DWORD
	v_mov_b32_e32 v2, 0xff800000
	v_mov_b32_e32 v3, 0x7f800000
	v_cndmask_b32_e32 v2, v2, v3, vcc
	v_cmp_eq_u32_e32 vcc, 0, v7
	v_mov_b32_e32 v3, 0x7f800001
	v_cndmask_b32_e32 v3, v3, v2, vcc
; %bb.11353:                            ;   in Loop: Header=BB4_10749 Depth=3
	s_or_b64 exec, exec, s[36:37]
.LBB4_11354:                            ;   in Loop: Header=BB4_10749 Depth=3
	s_or_b64 exec, exec, s[34:35]
.LBB4_11355:                            ;   in Loop: Header=BB4_10749 Depth=3
	s_or_b64 exec, exec, s[28:29]
	v_cmp_ne_u16_e32 vcc, 0, v45
	s_and_saveexec_b64 s[28:29], vcc
	s_cbranch_execz .LBB4_11363
; %bb.11356:                            ;   in Loop: Header=BB4_10749 Depth=3
	v_cmp_ne_u16_e32 vcc, s97, v45
	v_bfrev_b32_e32 v5, 1
	s_and_saveexec_b64 s[34:35], vcc
	s_cbranch_execz .LBB4_11362
; %bb.11357:                            ;   in Loop: Header=BB4_10749 Depth=3
	v_and_b32_e32 v5, 0x7c, v45
	v_and_b32_e32 v2, 3, v45
	v_cmp_ne_u32_e32 vcc, s85, v5
                                        ; implicit-def: $vgpr5
	s_and_saveexec_b64 s[36:37], vcc
	s_xor_b64 s[36:37], exec, s[36:37]
	s_cbranch_execz .LBB4_11359
; %bb.11358:                            ;   in Loop: Header=BB4_10749 Depth=3
	v_ffbh_u32_e32 v7, v2
	v_min_u32_e32 v7, 32, v7
	v_and_b32_e32 v5, 0xff, v45
	v_mov_b32_e32 v46, v17
	v_subrev_u32_e32 v21, 29, v7
	v_bfe_u32 v5, v5, 2, 5
	v_lshlrev_b64 v[31:32], v21, v[45:46]
	v_sub_u32_e32 v7, 30, v7
	v_cmp_eq_u32_e32 vcc, 0, v5
	v_and_b32_e32 v21, 3, v31
	v_cndmask_b32_e32 v5, v5, v7, vcc
	v_and_b32_sdwa v7, sext(v45), s86 dst_sel:DWORD dst_unused:UNUSED_PAD src0_sel:WORD_0 src1_sel:DWORD
	v_cndmask_b32_e32 v2, v2, v21, vcc
	v_lshl_add_u32 v5, v5, 23, v7
	v_lshl_or_b32 v2, v2, 21, v5
	v_add_u32_e32 v5, 0x38000000, v2
                                        ; implicit-def: $vgpr2
                                        ; implicit-def: $vgpr45
.LBB4_11359:                            ;   in Loop: Header=BB4_10749 Depth=3
	s_andn2_saveexec_b64 s[36:37], s[36:37]
; %bb.11360:                            ;   in Loop: Header=BB4_10749 Depth=3
	v_cmp_lt_i16_e32 vcc, -1, v45
	v_mov_b32_e32 v5, 0xff800000
	v_mov_b32_e32 v7, 0x7f800000
	v_cndmask_b32_e32 v5, v5, v7, vcc
	v_cmp_eq_u32_e32 vcc, 0, v2
	v_mov_b32_e32 v2, 0x7f800001
	v_cndmask_b32_e32 v5, v2, v5, vcc
; %bb.11361:                            ;   in Loop: Header=BB4_10749 Depth=3
	s_or_b64 exec, exec, s[36:37]
.LBB4_11362:                            ;   in Loop: Header=BB4_10749 Depth=3
	s_or_b64 exec, exec, s[34:35]
.LBB4_11363:                            ;   in Loop: Header=BB4_10749 Depth=3
	s_or_b64 exec, exec, s[28:29]
	v_add_f32_e32 v7, v3, v5
	v_and_b32_e32 v31, 0x7f800000, v7
	v_mov_b32_e32 v32, v17
	v_cmp_ne_u64_e32 vcc, s[76:77], v[31:32]
	v_and_b32_e32 v2, 0x7fffff, v7
	v_mov_b32_e32 v3, v17
                                        ; implicit-def: $vgpr32
	s_and_saveexec_b64 s[28:29], vcc
	s_xor_b64 s[34:35], exec, s[28:29]
	s_cbranch_execz .LBB4_11381
; %bb.11364:                            ;   in Loop: Header=BB4_10749 Depth=3
	v_and_b32_e32 v31, 0x7fffffff, v7
	v_mov_b32_e32 v32, v17
	v_cmp_gt_u64_e32 vcc, s[78:79], v[31:32]
	v_and_b32_sdwa v5, v7, s96 dst_sel:DWORD dst_unused:UNUSED_PAD src0_sel:BYTE_3 src1_sel:DWORD
                                        ; implicit-def: $vgpr32
	s_and_saveexec_b64 s[28:29], vcc
	s_xor_b64 s[36:37], exec, s[28:29]
	s_cbranch_execz .LBB4_11378
; %bb.11365:                            ;   in Loop: Header=BB4_10749 Depth=3
	v_cmp_ne_u32_e32 vcc, 0, v7
	v_mov_b32_e32 v32, 0
	s_and_saveexec_b64 s[38:39], vcc
	s_cbranch_execz .LBB4_11377
; %bb.11366:                            ;   in Loop: Header=BB4_10749 Depth=3
	v_bfe_u32 v7, v7, 23, 8
	v_cmp_gt_u32_e64 s[28:29], s46, v7
	v_sub_u32_e32 v21, 0x71, v7
	v_mov_b32_e32 v28, v27
	v_cmp_eq_u32_e32 vcc, 0, v7
	v_cndmask_b32_e64 v21, 0, v21, s[28:29]
	v_mov_b32_e32 v27, 0x70
	v_or_b32_e32 v25, 0x800000, v2
	v_cndmask_b32_e32 v21, v21, v27, vcc
	v_cndmask_b32_e32 v2, v25, v2, vcc
	v_add_u32_e32 v25, 21, v21
	v_lshlrev_b64 v[31:32], v25, -1
	v_add_u32_e32 v25, 20, v21
	v_bfi_b32 v31, v31, 0, v2
	v_lshlrev_b64 v[48:49], v25, 1
	v_lshrrev_b64 v[2:3], v21, v[2:3]
	v_bfi_b32 v32, v32, 0, 0
	v_cmp_eq_u64_e64 s[28:29], v[31:32], v[48:49]
	v_mov_b32_e32 v32, v3
	v_mov_b32_e32 v31, v2
	s_and_saveexec_b64 s[48:49], s[28:29]
; %bb.11367:                            ;   in Loop: Header=BB4_10749 Depth=3
	v_bfe_u32 v3, v2, 21, 1
	v_add_co_u32_e64 v3, s[28:29], v2, v3
	v_add_co_u32_e64 v31, s[28:29], -1, v3
; %bb.11368:                            ;   in Loop: Header=BB4_10749 Depth=3
	s_or_b64 exec, exec, s[48:49]
	v_add_u32_e32 v3, 0xffffff81, v7
	v_mov_b32_e32 v7, 0xffffff82
	v_cndmask_b32_e32 v3, v3, v7, vcc
	v_lshrrev_b32_e32 v7, 23, v2
	v_add3_u32 v25, v21, v3, v7
	v_add_u32_e32 v21, 14, v25
	v_and_b32_e32 v3, 0x1fffff, v31
	v_add_u32_e32 v2, v3, v2
	v_mov_b32_e32 v3, v17
	v_cmp_ne_u32_e32 vcc, 0, v21
                                        ; implicit-def: $vgpr7
	s_and_saveexec_b64 s[28:29], vcc
	s_xor_b64 s[28:29], exec, s[28:29]
; %bb.11369:                            ;   in Loop: Header=BB4_10749 Depth=3
	v_cmp_lt_u64_e32 vcc, s[88:89], v[2:3]
	v_add_u32_e32 v7, 15, v25
	v_cndmask_b32_e32 v7, v21, v7, vcc
	v_cndmask_b32_e64 v21, 0, 1, vcc
	v_lshrrev_b64 v[2:3], v21, v[2:3]
; %bb.11370:                            ;   in Loop: Header=BB4_10749 Depth=3
	s_or_saveexec_b64 s[28:29], s[28:29]
	v_mov_b32_e32 v27, v28
	s_xor_b64 exec, exec, s[28:29]
; %bb.11371:                            ;   in Loop: Header=BB4_10749 Depth=3
	v_bfe_u32 v7, v2, 23, 1
; %bb.11372:                            ;   in Loop: Header=BB4_10749 Depth=3
	s_or_b64 exec, exec, s[28:29]
	v_lshrrev_b64 v[2:3], 21, v[2:3]
	v_cmp_gt_i32_e32 vcc, 32, v7
	v_cndmask_b32_e32 v3, 0, v3, vcc
	v_cndmask_b32_e32 v2, 3, v2, vcc
	v_cmp_ne_u64_e32 vcc, 0, v[2:3]
	v_cmp_ne_u32_e64 s[28:29], 0, v7
	s_or_b64 s[28:29], s[28:29], vcc
                                        ; implicit-def: $vgpr32
	s_and_saveexec_b64 vcc, s[28:29]
	s_xor_b64 s[28:29], exec, vcc
; %bb.11373:                            ;   in Loop: Header=BB4_10749 Depth=3
	v_min_i32_e32 v3, 31, v7
	v_lshl_or_b32 v3, v3, 2, v5
	v_and_or_b32 v32, v2, 3, v3
                                        ; implicit-def: $vgpr5
; %bb.11374:                            ;   in Loop: Header=BB4_10749 Depth=3
	s_andn2_saveexec_b64 s[28:29], s[28:29]
; %bb.11375:                            ;   in Loop: Header=BB4_10749 Depth=3
	v_mov_b32_e32 v32, v5
; %bb.11376:                            ;   in Loop: Header=BB4_10749 Depth=3
	s_or_b64 exec, exec, s[28:29]
.LBB4_11377:                            ;   in Loop: Header=BB4_10749 Depth=3
	s_or_b64 exec, exec, s[38:39]
                                        ; implicit-def: $vgpr5
.LBB4_11378:                            ;   in Loop: Header=BB4_10749 Depth=3
	s_andn2_saveexec_b64 s[28:29], s[36:37]
; %bb.11379:                            ;   in Loop: Header=BB4_10749 Depth=3
	v_or_b32_e32 v32, 0x7b, v5
; %bb.11380:                            ;   in Loop: Header=BB4_10749 Depth=3
	s_or_b64 exec, exec, s[28:29]
                                        ; implicit-def: $vgpr7
                                        ; implicit-def: $vgpr2_vgpr3
.LBB4_11381:                            ;   in Loop: Header=BB4_10749 Depth=3
	s_andn2_saveexec_b64 s[28:29], s[34:35]
	s_cbranch_execz .LBB4_11387
; %bb.11382:                            ;   in Loop: Header=BB4_10749 Depth=3
	v_cmp_ne_u64_e32 vcc, 0, v[2:3]
                                        ; implicit-def: $vgpr32
	s_and_saveexec_b64 s[34:35], vcc
	s_xor_b64 vcc, exec, s[34:35]
; %bb.11383:                            ;   in Loop: Header=BB4_10749 Depth=3
	v_or_b32_sdwa v32, v7, s47 dst_sel:DWORD dst_unused:UNUSED_PAD src0_sel:BYTE_3 src1_sel:DWORD
                                        ; implicit-def: $vgpr7
; %bb.11384:                            ;   in Loop: Header=BB4_10749 Depth=3
	s_andn2_saveexec_b64 s[34:35], vcc
; %bb.11385:                            ;   in Loop: Header=BB4_10749 Depth=3
	v_cmp_lt_i32_e32 vcc, -1, v7
	v_cndmask_b32_e32 v32, -4, v52, vcc
; %bb.11386:                            ;   in Loop: Header=BB4_10749 Depth=3
	s_or_b64 exec, exec, s[34:35]
.LBB4_11387:                            ;   in Loop: Header=BB4_10749 Depth=3
	s_or_b64 exec, exec, s[28:29]
	v_and_b32_e32 v21, 0xff, v4
	v_cmp_ne_u16_e32 vcc, 0, v21
	v_mov_b32_e32 v2, 0
	v_mov_b32_e32 v3, 0
	s_and_saveexec_b64 s[28:29], vcc
	s_cbranch_execz .LBB4_11395
; %bb.11388:                            ;   in Loop: Header=BB4_10749 Depth=3
	v_cmp_ne_u16_e32 vcc, s96, v21
	v_bfrev_b32_e32 v3, 1
	s_and_saveexec_b64 s[34:35], vcc
	s_cbranch_execz .LBB4_11394
; %bb.11389:                            ;   in Loop: Header=BB4_10749 Depth=3
	v_and_b32_e32 v3, 0x7c, v4
	v_and_b32_e32 v7, 3, v4
	v_cmp_ne_u32_e32 vcc, s85, v3
                                        ; implicit-def: $vgpr3
	s_and_saveexec_b64 s[36:37], vcc
	s_xor_b64 s[36:37], exec, s[36:37]
	s_cbranch_execz .LBB4_11391
; %bb.11390:                            ;   in Loop: Header=BB4_10749 Depth=3
	v_bfe_u32 v3, v21, 2, 5
	v_ffbh_u32_e32 v21, v7
	v_min_u32_e32 v21, 32, v21
	v_mov_b32_e32 v5, v17
	v_subrev_u32_e32 v25, 29, v21
	v_lshlrev_b64 v[48:49], v25, v[4:5]
	v_sub_u32_e32 v5, 30, v21
	v_cmp_eq_u32_e32 vcc, 0, v3
	v_lshlrev_b32_e32 v4, 24, v4
	v_and_b32_e32 v21, 3, v48
	v_cndmask_b32_e32 v3, v3, v5, vcc
	v_and_b32_e32 v4, 0x80000000, v4
	v_cndmask_b32_e32 v5, v7, v21, vcc
	v_lshl_add_u32 v3, v3, 23, v4
	v_lshl_or_b32 v3, v5, 21, v3
	v_add_u32_e32 v3, 0x38000000, v3
                                        ; implicit-def: $vgpr7
                                        ; implicit-def: $vgpr4
.LBB4_11391:                            ;   in Loop: Header=BB4_10749 Depth=3
	s_andn2_saveexec_b64 s[36:37], s[36:37]
; %bb.11392:                            ;   in Loop: Header=BB4_10749 Depth=3
	v_mov_b32_e32 v3, -1
	v_cmp_gt_i16_sdwa vcc, sext(v4), v3 src0_sel:BYTE_0 src1_sel:DWORD
	v_mov_b32_e32 v3, 0xff800000
	v_mov_b32_e32 v4, 0x7f800000
	v_cndmask_b32_e32 v3, v3, v4, vcc
	v_cmp_eq_u32_e32 vcc, 0, v7
	v_mov_b32_e32 v4, 0x7f800001
	v_cndmask_b32_e32 v3, v4, v3, vcc
; %bb.11393:                            ;   in Loop: Header=BB4_10749 Depth=3
	s_or_b64 exec, exec, s[36:37]
.LBB4_11394:                            ;   in Loop: Header=BB4_10749 Depth=3
	s_or_b64 exec, exec, s[34:35]
.LBB4_11395:                            ;   in Loop: Header=BB4_10749 Depth=3
	s_or_b64 exec, exec, s[28:29]
	v_cmp_ne_u16_e32 vcc, 0, v42
	s_and_saveexec_b64 s[28:29], vcc
	s_cbranch_execz .LBB4_11403
; %bb.11396:                            ;   in Loop: Header=BB4_10749 Depth=3
	v_cmp_ne_u16_e32 vcc, s97, v42
	v_bfrev_b32_e32 v2, 1
	s_and_saveexec_b64 s[34:35], vcc
	s_cbranch_execz .LBB4_11402
; %bb.11397:                            ;   in Loop: Header=BB4_10749 Depth=3
	v_and_b32_e32 v2, 0x7c, v42
	v_and_b32_e32 v4, 3, v42
	v_cmp_ne_u32_e32 vcc, s85, v2
                                        ; implicit-def: $vgpr2
	s_and_saveexec_b64 s[36:37], vcc
	s_xor_b64 s[36:37], exec, s[36:37]
	s_cbranch_execz .LBB4_11399
; %bb.11398:                            ;   in Loop: Header=BB4_10749 Depth=3
	v_ffbh_u32_e32 v5, v4
	v_min_u32_e32 v5, 32, v5
	v_and_b32_e32 v2, 0xff, v42
	v_mov_b32_e32 v43, v17
	v_subrev_u32_e32 v7, 29, v5
	v_bfe_u32 v2, v2, 2, 5
	v_lshlrev_b64 v[48:49], v7, v[42:43]
	v_sub_u32_e32 v5, 30, v5
	v_cmp_eq_u32_e32 vcc, 0, v2
	v_and_b32_e32 v7, 3, v48
	v_cndmask_b32_e32 v2, v2, v5, vcc
	v_and_b32_sdwa v5, sext(v42), s86 dst_sel:DWORD dst_unused:UNUSED_PAD src0_sel:WORD_0 src1_sel:DWORD
	v_cndmask_b32_e32 v4, v4, v7, vcc
	v_lshl_add_u32 v2, v2, 23, v5
	v_lshl_or_b32 v2, v4, 21, v2
	v_add_u32_e32 v2, 0x38000000, v2
                                        ; implicit-def: $vgpr4
                                        ; implicit-def: $vgpr42
.LBB4_11399:                            ;   in Loop: Header=BB4_10749 Depth=3
	s_andn2_saveexec_b64 s[36:37], s[36:37]
; %bb.11400:                            ;   in Loop: Header=BB4_10749 Depth=3
	v_cmp_lt_i16_e32 vcc, -1, v42
	v_mov_b32_e32 v2, 0xff800000
	v_mov_b32_e32 v5, 0x7f800000
	v_cndmask_b32_e32 v2, v2, v5, vcc
	v_cmp_eq_u32_e32 vcc, 0, v4
	v_mov_b32_e32 v4, 0x7f800001
	v_cndmask_b32_e32 v2, v4, v2, vcc
; %bb.11401:                            ;   in Loop: Header=BB4_10749 Depth=3
	s_or_b64 exec, exec, s[36:37]
.LBB4_11402:                            ;   in Loop: Header=BB4_10749 Depth=3
	s_or_b64 exec, exec, s[34:35]
.LBB4_11403:                            ;   in Loop: Header=BB4_10749 Depth=3
	s_or_b64 exec, exec, s[28:29]
	v_add_f32_e32 v4, v3, v2
	v_and_b32_e32 v48, 0x7f800000, v4
	v_mov_b32_e32 v49, v17
	v_cmp_ne_u64_e32 vcc, s[76:77], v[48:49]
	v_and_b32_e32 v2, 0x7fffff, v4
	v_mov_b32_e32 v3, v17
                                        ; implicit-def: $vgpr5
	s_and_saveexec_b64 s[28:29], vcc
	s_xor_b64 s[34:35], exec, s[28:29]
	s_cbranch_execz .LBB4_11421
; %bb.11404:                            ;   in Loop: Header=BB4_10749 Depth=3
	v_and_b32_e32 v48, 0x7fffffff, v4
	v_mov_b32_e32 v49, v17
	v_cmp_gt_u64_e32 vcc, s[78:79], v[48:49]
	v_and_b32_sdwa v7, v4, s96 dst_sel:DWORD dst_unused:UNUSED_PAD src0_sel:BYTE_3 src1_sel:DWORD
                                        ; implicit-def: $vgpr5
	s_and_saveexec_b64 s[28:29], vcc
	s_xor_b64 s[36:37], exec, s[28:29]
	s_cbranch_execz .LBB4_11418
; %bb.11405:                            ;   in Loop: Header=BB4_10749 Depth=3
	v_cmp_ne_u32_e32 vcc, 0, v4
	v_mov_b32_e32 v5, 0
	s_and_saveexec_b64 s[38:39], vcc
	s_cbranch_execz .LBB4_11417
; %bb.11406:                            ;   in Loop: Header=BB4_10749 Depth=3
	v_bfe_u32 v5, v4, 23, 8
	v_cmp_gt_u32_e64 s[28:29], s46, v5
	v_sub_u32_e32 v4, 0x71, v5
	v_cmp_eq_u32_e32 vcc, 0, v5
	v_cndmask_b32_e64 v4, 0, v4, s[28:29]
	v_mov_b32_e32 v21, 0x70
	v_cndmask_b32_e32 v21, v4, v21, vcc
	v_add_u32_e32 v4, 21, v21
	v_or_b32_e32 v25, 0x800000, v2
	v_lshlrev_b64 v[48:49], v4, -1
	v_cndmask_b32_e32 v2, v25, v2, vcc
	v_add_u32_e32 v4, 20, v21
	v_bfi_b32 v48, v48, 0, v2
	v_lshlrev_b64 v[53:54], v4, 1
	v_lshrrev_b64 v[2:3], v21, v[2:3]
	v_bfi_b32 v49, v49, 0, 0
	v_cmp_eq_u64_e64 s[28:29], v[48:49], v[53:54]
	v_mov_b32_e32 v4, v3
	v_mov_b32_e32 v3, v2
	s_and_saveexec_b64 s[48:49], s[28:29]
; %bb.11407:                            ;   in Loop: Header=BB4_10749 Depth=3
	v_bfe_u32 v3, v2, 21, 1
	v_add_co_u32_e64 v3, s[28:29], v2, v3
	v_add_co_u32_e64 v3, s[28:29], -1, v3
; %bb.11408:                            ;   in Loop: Header=BB4_10749 Depth=3
	s_or_b64 exec, exec, s[48:49]
	v_add_u32_e32 v4, 0xffffff81, v5
	v_mov_b32_e32 v5, 0xffffff82
	v_cndmask_b32_e32 v4, v4, v5, vcc
	v_lshrrev_b32_e32 v5, 23, v2
	v_add3_u32 v21, v21, v4, v5
	v_add_u32_e32 v5, 14, v21
	v_and_b32_e32 v3, 0x1fffff, v3
	v_add_u32_e32 v2, v3, v2
	v_mov_b32_e32 v3, v17
	v_cmp_ne_u32_e32 vcc, 0, v5
                                        ; implicit-def: $vgpr4
	s_and_saveexec_b64 s[28:29], vcc
	s_xor_b64 s[28:29], exec, s[28:29]
; %bb.11409:                            ;   in Loop: Header=BB4_10749 Depth=3
	v_cmp_lt_u64_e32 vcc, s[88:89], v[2:3]
	v_add_u32_e32 v4, 15, v21
	v_cndmask_b32_e32 v4, v5, v4, vcc
	v_cndmask_b32_e64 v5, 0, 1, vcc
	v_lshrrev_b64 v[2:3], v5, v[2:3]
; %bb.11410:                            ;   in Loop: Header=BB4_10749 Depth=3
	s_andn2_saveexec_b64 s[28:29], s[28:29]
; %bb.11411:                            ;   in Loop: Header=BB4_10749 Depth=3
	v_bfe_u32 v4, v2, 23, 1
; %bb.11412:                            ;   in Loop: Header=BB4_10749 Depth=3
	s_or_b64 exec, exec, s[28:29]
	v_lshrrev_b64 v[2:3], 21, v[2:3]
	v_cmp_gt_i32_e32 vcc, 32, v4
	v_cndmask_b32_e32 v3, 0, v3, vcc
	v_cndmask_b32_e32 v2, 3, v2, vcc
	v_cmp_ne_u64_e32 vcc, 0, v[2:3]
	v_cmp_ne_u32_e64 s[28:29], 0, v4
	s_or_b64 s[28:29], s[28:29], vcc
                                        ; implicit-def: $vgpr5
	s_and_saveexec_b64 vcc, s[28:29]
	s_xor_b64 s[28:29], exec, vcc
; %bb.11413:                            ;   in Loop: Header=BB4_10749 Depth=3
	v_min_i32_e32 v3, 31, v4
	v_lshl_or_b32 v3, v3, 2, v7
	v_and_or_b32 v5, v2, 3, v3
                                        ; implicit-def: $vgpr7
; %bb.11414:                            ;   in Loop: Header=BB4_10749 Depth=3
	s_andn2_saveexec_b64 s[28:29], s[28:29]
; %bb.11415:                            ;   in Loop: Header=BB4_10749 Depth=3
	v_mov_b32_e32 v5, v7
; %bb.11416:                            ;   in Loop: Header=BB4_10749 Depth=3
	s_or_b64 exec, exec, s[28:29]
.LBB4_11417:                            ;   in Loop: Header=BB4_10749 Depth=3
	s_or_b64 exec, exec, s[38:39]
                                        ; implicit-def: $vgpr7
.LBB4_11418:                            ;   in Loop: Header=BB4_10749 Depth=3
	s_andn2_saveexec_b64 s[28:29], s[36:37]
; %bb.11419:                            ;   in Loop: Header=BB4_10749 Depth=3
	v_or_b32_e32 v5, 0x7b, v7
; %bb.11420:                            ;   in Loop: Header=BB4_10749 Depth=3
	s_or_b64 exec, exec, s[28:29]
                                        ; implicit-def: $vgpr4
                                        ; implicit-def: $vgpr2_vgpr3
.LBB4_11421:                            ;   in Loop: Header=BB4_10749 Depth=3
	s_andn2_saveexec_b64 s[28:29], s[34:35]
	s_cbranch_execz .LBB4_11427
; %bb.11422:                            ;   in Loop: Header=BB4_10749 Depth=3
	v_cmp_ne_u64_e32 vcc, 0, v[2:3]
                                        ; implicit-def: $vgpr5
	s_and_saveexec_b64 s[34:35], vcc
	s_xor_b64 vcc, exec, s[34:35]
; %bb.11423:                            ;   in Loop: Header=BB4_10749 Depth=3
	v_or_b32_sdwa v5, v4, s47 dst_sel:DWORD dst_unused:UNUSED_PAD src0_sel:BYTE_3 src1_sel:DWORD
                                        ; implicit-def: $vgpr4
; %bb.11424:                            ;   in Loop: Header=BB4_10749 Depth=3
	s_andn2_saveexec_b64 s[34:35], vcc
; %bb.11425:                            ;   in Loop: Header=BB4_10749 Depth=3
	v_cmp_lt_i32_e32 vcc, -1, v4
	v_cndmask_b32_e32 v5, -4, v52, vcc
; %bb.11426:                            ;   in Loop: Header=BB4_10749 Depth=3
	s_or_b64 exec, exec, s[34:35]
.LBB4_11427:                            ;   in Loop: Header=BB4_10749 Depth=3
	s_or_b64 exec, exec, s[28:29]
	v_and_b32_e32 v7, 0xff, v36
	v_cmp_ne_u16_e32 vcc, 0, v7
	v_mov_b32_e32 v2, 0
	v_mov_b32_e32 v3, 0
	s_and_saveexec_b64 s[28:29], vcc
	s_cbranch_execz .LBB4_11435
; %bb.11428:                            ;   in Loop: Header=BB4_10749 Depth=3
	v_cmp_ne_u16_e32 vcc, s96, v7
	v_bfrev_b32_e32 v3, 1
	s_and_saveexec_b64 s[34:35], vcc
	s_cbranch_execz .LBB4_11434
; %bb.11429:                            ;   in Loop: Header=BB4_10749 Depth=3
	v_and_b32_e32 v3, 0x7c, v36
	v_and_b32_e32 v4, 3, v36
	v_cmp_ne_u32_e32 vcc, s85, v3
                                        ; implicit-def: $vgpr3
	s_and_saveexec_b64 s[36:37], vcc
	s_xor_b64 s[36:37], exec, s[36:37]
	s_cbranch_execz .LBB4_11431
; %bb.11430:                            ;   in Loop: Header=BB4_10749 Depth=3
	v_bfe_u32 v3, v7, 2, 5
	v_ffbh_u32_e32 v7, v4
	v_min_u32_e32 v7, 32, v7
	v_mov_b32_e32 v37, v17
	v_subrev_u32_e32 v21, 29, v7
	v_lshlrev_b64 v[48:49], v21, v[36:37]
	v_sub_u32_e32 v7, 30, v7
	v_cmp_eq_u32_e32 vcc, 0, v3
	v_cndmask_b32_e32 v3, v3, v7, vcc
	v_lshlrev_b32_e32 v7, 24, v36
	v_and_b32_e32 v21, 3, v48
	v_and_b32_e32 v7, 0x80000000, v7
	v_cndmask_b32_e32 v4, v4, v21, vcc
	v_lshl_add_u32 v3, v3, 23, v7
	v_lshl_or_b32 v3, v4, 21, v3
	v_add_u32_e32 v3, 0x38000000, v3
                                        ; implicit-def: $vgpr4
                                        ; implicit-def: $vgpr36
.LBB4_11431:                            ;   in Loop: Header=BB4_10749 Depth=3
	s_andn2_saveexec_b64 s[36:37], s[36:37]
; %bb.11432:                            ;   in Loop: Header=BB4_10749 Depth=3
	v_mov_b32_e32 v3, -1
	v_cmp_gt_i16_sdwa vcc, sext(v36), v3 src0_sel:BYTE_0 src1_sel:DWORD
	v_mov_b32_e32 v3, 0xff800000
	v_mov_b32_e32 v7, 0x7f800000
	v_cndmask_b32_e32 v3, v3, v7, vcc
	v_cmp_eq_u32_e32 vcc, 0, v4
	v_mov_b32_e32 v4, 0x7f800001
	v_cndmask_b32_e32 v3, v4, v3, vcc
; %bb.11433:                            ;   in Loop: Header=BB4_10749 Depth=3
	s_or_b64 exec, exec, s[36:37]
.LBB4_11434:                            ;   in Loop: Header=BB4_10749 Depth=3
	s_or_b64 exec, exec, s[34:35]
.LBB4_11435:                            ;   in Loop: Header=BB4_10749 Depth=3
	s_or_b64 exec, exec, s[28:29]
	v_cmp_ne_u16_e32 vcc, 0, v41
	s_and_saveexec_b64 s[28:29], vcc
	s_cbranch_execz .LBB4_11443
; %bb.11436:                            ;   in Loop: Header=BB4_10749 Depth=3
	v_cmp_ne_u16_e32 vcc, s97, v41
	v_bfrev_b32_e32 v2, 1
	s_and_saveexec_b64 s[34:35], vcc
	s_cbranch_execz .LBB4_11442
; %bb.11437:                            ;   in Loop: Header=BB4_10749 Depth=3
	v_and_b32_e32 v2, 0x7c, v41
	v_and_b32_e32 v4, 3, v41
	v_cmp_ne_u32_e32 vcc, s85, v2
                                        ; implicit-def: $vgpr2
	s_and_saveexec_b64 s[36:37], vcc
	s_xor_b64 s[36:37], exec, s[36:37]
	s_cbranch_execz .LBB4_11439
; %bb.11438:                            ;   in Loop: Header=BB4_10749 Depth=3
	v_ffbh_u32_e32 v7, v4
	v_min_u32_e32 v7, 32, v7
	v_and_b32_e32 v2, 0xff, v41
	v_mov_b32_e32 v42, v17
	v_subrev_u32_e32 v21, 29, v7
	v_bfe_u32 v2, v2, 2, 5
	v_lshlrev_b64 v[36:37], v21, v[41:42]
	v_sub_u32_e32 v7, 30, v7
	v_cmp_eq_u32_e32 vcc, 0, v2
	v_and_b32_e32 v21, 3, v36
	v_cndmask_b32_e32 v2, v2, v7, vcc
	v_and_b32_sdwa v7, sext(v41), s86 dst_sel:DWORD dst_unused:UNUSED_PAD src0_sel:WORD_0 src1_sel:DWORD
	v_cndmask_b32_e32 v4, v4, v21, vcc
	v_lshl_add_u32 v2, v2, 23, v7
	v_lshl_or_b32 v2, v4, 21, v2
	v_add_u32_e32 v2, 0x38000000, v2
                                        ; implicit-def: $vgpr4
                                        ; implicit-def: $vgpr41
.LBB4_11439:                            ;   in Loop: Header=BB4_10749 Depth=3
	s_andn2_saveexec_b64 s[36:37], s[36:37]
; %bb.11440:                            ;   in Loop: Header=BB4_10749 Depth=3
	v_cmp_lt_i16_e32 vcc, -1, v41
	v_mov_b32_e32 v2, 0xff800000
	v_mov_b32_e32 v7, 0x7f800000
	v_cndmask_b32_e32 v2, v2, v7, vcc
	v_cmp_eq_u32_e32 vcc, 0, v4
	v_mov_b32_e32 v4, 0x7f800001
	v_cndmask_b32_e32 v2, v4, v2, vcc
; %bb.11441:                            ;   in Loop: Header=BB4_10749 Depth=3
	s_or_b64 exec, exec, s[36:37]
.LBB4_11442:                            ;   in Loop: Header=BB4_10749 Depth=3
	s_or_b64 exec, exec, s[34:35]
.LBB4_11443:                            ;   in Loop: Header=BB4_10749 Depth=3
	s_or_b64 exec, exec, s[28:29]
	v_add_f32_e32 v4, v3, v2
	v_and_b32_e32 v36, 0x7f800000, v4
	v_mov_b32_e32 v37, v17
	v_cmp_ne_u64_e32 vcc, s[76:77], v[36:37]
	v_and_b32_e32 v2, 0x7fffff, v4
	v_mov_b32_e32 v3, v17
                                        ; implicit-def: $vgpr37
	s_and_saveexec_b64 s[28:29], vcc
	s_xor_b64 s[34:35], exec, s[28:29]
	s_cbranch_execz .LBB4_11461
; %bb.11444:                            ;   in Loop: Header=BB4_10749 Depth=3
	v_and_b32_e32 v36, 0x7fffffff, v4
	v_mov_b32_e32 v37, v17
	v_cmp_gt_u64_e32 vcc, s[78:79], v[36:37]
	v_and_b32_sdwa v7, v4, s96 dst_sel:DWORD dst_unused:UNUSED_PAD src0_sel:BYTE_3 src1_sel:DWORD
                                        ; implicit-def: $vgpr37
	s_and_saveexec_b64 s[28:29], vcc
	s_xor_b64 s[36:37], exec, s[28:29]
	s_cbranch_execz .LBB4_11458
; %bb.11445:                            ;   in Loop: Header=BB4_10749 Depth=3
	v_cmp_ne_u32_e32 vcc, 0, v4
	v_mov_b32_e32 v37, 0
	s_and_saveexec_b64 s[38:39], vcc
	s_cbranch_execz .LBB4_11457
; %bb.11446:                            ;   in Loop: Header=BB4_10749 Depth=3
	v_bfe_u32 v21, v4, 23, 8
	v_cmp_gt_u32_e64 s[28:29], s46, v21
	v_sub_u32_e32 v4, 0x71, v21
	v_cmp_eq_u32_e32 vcc, 0, v21
	v_cndmask_b32_e64 v4, 0, v4, s[28:29]
	v_mov_b32_e32 v25, 0x70
	v_cndmask_b32_e32 v25, v4, v25, vcc
	v_add_u32_e32 v4, 21, v25
	v_mov_b32_e32 v28, v27
	v_or_b32_e32 v27, 0x800000, v2
	v_lshlrev_b64 v[36:37], v4, -1
	v_cndmask_b32_e32 v2, v27, v2, vcc
	v_add_u32_e32 v4, 20, v25
	v_bfi_b32 v36, v36, 0, v2
	v_lshlrev_b64 v[48:49], v4, 1
	v_lshrrev_b64 v[2:3], v25, v[2:3]
	v_bfi_b32 v37, v37, 0, 0
	v_cmp_eq_u64_e64 s[28:29], v[36:37], v[48:49]
	v_mov_b32_e32 v4, v3
	v_mov_b32_e32 v3, v2
	s_and_saveexec_b64 s[48:49], s[28:29]
; %bb.11447:                            ;   in Loop: Header=BB4_10749 Depth=3
	v_bfe_u32 v3, v2, 21, 1
	v_add_co_u32_e64 v3, s[28:29], v2, v3
	v_add_co_u32_e64 v3, s[28:29], -1, v3
; %bb.11448:                            ;   in Loop: Header=BB4_10749 Depth=3
	s_or_b64 exec, exec, s[48:49]
	v_add_u32_e32 v4, 0xffffff81, v21
	v_mov_b32_e32 v21, 0xffffff82
	v_cndmask_b32_e32 v4, v4, v21, vcc
	v_lshrrev_b32_e32 v21, 23, v2
	v_add3_u32 v25, v25, v4, v21
	v_add_u32_e32 v21, 14, v25
	v_and_b32_e32 v3, 0x1fffff, v3
	v_add_u32_e32 v2, v3, v2
	v_mov_b32_e32 v3, v17
	v_cmp_ne_u32_e32 vcc, 0, v21
                                        ; implicit-def: $vgpr4
	s_and_saveexec_b64 s[28:29], vcc
	s_xor_b64 s[28:29], exec, s[28:29]
; %bb.11449:                            ;   in Loop: Header=BB4_10749 Depth=3
	v_cmp_lt_u64_e32 vcc, s[88:89], v[2:3]
	v_add_u32_e32 v4, 15, v25
	v_cndmask_b32_e32 v4, v21, v4, vcc
	v_cndmask_b32_e64 v21, 0, 1, vcc
	v_lshrrev_b64 v[2:3], v21, v[2:3]
; %bb.11450:                            ;   in Loop: Header=BB4_10749 Depth=3
	s_or_saveexec_b64 s[28:29], s[28:29]
	v_mov_b32_e32 v27, v28
	s_xor_b64 exec, exec, s[28:29]
; %bb.11451:                            ;   in Loop: Header=BB4_10749 Depth=3
	v_bfe_u32 v4, v2, 23, 1
; %bb.11452:                            ;   in Loop: Header=BB4_10749 Depth=3
	s_or_b64 exec, exec, s[28:29]
	v_lshrrev_b64 v[2:3], 21, v[2:3]
	v_cmp_gt_i32_e32 vcc, 32, v4
	v_cndmask_b32_e32 v3, 0, v3, vcc
	v_cndmask_b32_e32 v2, 3, v2, vcc
	v_cmp_ne_u64_e32 vcc, 0, v[2:3]
	v_cmp_ne_u32_e64 s[28:29], 0, v4
	s_or_b64 s[28:29], s[28:29], vcc
                                        ; implicit-def: $vgpr37
	s_and_saveexec_b64 vcc, s[28:29]
	s_xor_b64 s[28:29], exec, vcc
; %bb.11453:                            ;   in Loop: Header=BB4_10749 Depth=3
	v_min_i32_e32 v3, 31, v4
	v_lshl_or_b32 v3, v3, 2, v7
	v_and_or_b32 v37, v2, 3, v3
                                        ; implicit-def: $vgpr7
; %bb.11454:                            ;   in Loop: Header=BB4_10749 Depth=3
	s_andn2_saveexec_b64 s[28:29], s[28:29]
; %bb.11455:                            ;   in Loop: Header=BB4_10749 Depth=3
	v_mov_b32_e32 v37, v7
; %bb.11456:                            ;   in Loop: Header=BB4_10749 Depth=3
	s_or_b64 exec, exec, s[28:29]
.LBB4_11457:                            ;   in Loop: Header=BB4_10749 Depth=3
	s_or_b64 exec, exec, s[38:39]
                                        ; implicit-def: $vgpr7
.LBB4_11458:                            ;   in Loop: Header=BB4_10749 Depth=3
	s_andn2_saveexec_b64 s[28:29], s[36:37]
; %bb.11459:                            ;   in Loop: Header=BB4_10749 Depth=3
	v_or_b32_e32 v37, 0x7b, v7
; %bb.11460:                            ;   in Loop: Header=BB4_10749 Depth=3
	s_or_b64 exec, exec, s[28:29]
                                        ; implicit-def: $vgpr4
                                        ; implicit-def: $vgpr2_vgpr3
.LBB4_11461:                            ;   in Loop: Header=BB4_10749 Depth=3
	s_andn2_saveexec_b64 s[28:29], s[34:35]
	s_cbranch_execz .LBB4_11467
; %bb.11462:                            ;   in Loop: Header=BB4_10749 Depth=3
	v_cmp_ne_u64_e32 vcc, 0, v[2:3]
                                        ; implicit-def: $vgpr37
	s_and_saveexec_b64 s[34:35], vcc
	s_xor_b64 vcc, exec, s[34:35]
; %bb.11463:                            ;   in Loop: Header=BB4_10749 Depth=3
	v_or_b32_sdwa v37, v4, s47 dst_sel:DWORD dst_unused:UNUSED_PAD src0_sel:BYTE_3 src1_sel:DWORD
                                        ; implicit-def: $vgpr4
; %bb.11464:                            ;   in Loop: Header=BB4_10749 Depth=3
	s_andn2_saveexec_b64 s[34:35], vcc
; %bb.11465:                            ;   in Loop: Header=BB4_10749 Depth=3
	v_cmp_lt_i32_e32 vcc, -1, v4
	v_cndmask_b32_e32 v37, -4, v52, vcc
; %bb.11466:                            ;   in Loop: Header=BB4_10749 Depth=3
	s_or_b64 exec, exec, s[34:35]
.LBB4_11467:                            ;   in Loop: Header=BB4_10749 Depth=3
	s_or_b64 exec, exec, s[28:29]
	v_and_b32_e32 v7, 0xff, v30
	v_cmp_ne_u16_e32 vcc, 0, v7
	v_mov_b32_e32 v2, 0
	v_mov_b32_e32 v3, 0
	s_and_saveexec_b64 s[28:29], vcc
	s_cbranch_execz .LBB4_11475
; %bb.11468:                            ;   in Loop: Header=BB4_10749 Depth=3
	v_cmp_ne_u16_e32 vcc, s96, v7
	v_bfrev_b32_e32 v3, 1
	s_and_saveexec_b64 s[34:35], vcc
	s_cbranch_execz .LBB4_11474
; %bb.11469:                            ;   in Loop: Header=BB4_10749 Depth=3
	v_and_b32_e32 v3, 0x7c, v30
	v_and_b32_e32 v4, 3, v30
	v_cmp_ne_u32_e32 vcc, s85, v3
                                        ; implicit-def: $vgpr3
	s_and_saveexec_b64 s[36:37], vcc
	s_xor_b64 s[36:37], exec, s[36:37]
	s_cbranch_execz .LBB4_11471
; %bb.11470:                            ;   in Loop: Header=BB4_10749 Depth=3
	v_bfe_u32 v3, v7, 2, 5
	v_ffbh_u32_e32 v7, v4
	v_min_u32_e32 v7, 32, v7
	v_mov_b32_e32 v31, v17
	v_subrev_u32_e32 v21, 29, v7
	v_lshlrev_b64 v[48:49], v21, v[30:31]
	v_sub_u32_e32 v7, 30, v7
	v_cmp_eq_u32_e32 vcc, 0, v3
	v_cndmask_b32_e32 v3, v3, v7, vcc
	v_lshlrev_b32_e32 v7, 24, v30
	v_and_b32_e32 v21, 3, v48
	v_and_b32_e32 v7, 0x80000000, v7
	v_cndmask_b32_e32 v4, v4, v21, vcc
	v_lshl_add_u32 v3, v3, 23, v7
	v_lshl_or_b32 v3, v4, 21, v3
	v_add_u32_e32 v3, 0x38000000, v3
                                        ; implicit-def: $vgpr4
                                        ; implicit-def: $vgpr30
.LBB4_11471:                            ;   in Loop: Header=BB4_10749 Depth=3
	s_andn2_saveexec_b64 s[36:37], s[36:37]
; %bb.11472:                            ;   in Loop: Header=BB4_10749 Depth=3
	v_mov_b32_e32 v3, -1
	v_cmp_gt_i16_sdwa vcc, sext(v30), v3 src0_sel:BYTE_0 src1_sel:DWORD
	v_mov_b32_e32 v3, 0xff800000
	v_mov_b32_e32 v7, 0x7f800000
	v_cndmask_b32_e32 v3, v3, v7, vcc
	v_cmp_eq_u32_e32 vcc, 0, v4
	v_mov_b32_e32 v4, 0x7f800001
	v_cndmask_b32_e32 v3, v4, v3, vcc
; %bb.11473:                            ;   in Loop: Header=BB4_10749 Depth=3
	s_or_b64 exec, exec, s[36:37]
.LBB4_11474:                            ;   in Loop: Header=BB4_10749 Depth=3
	s_or_b64 exec, exec, s[34:35]
.LBB4_11475:                            ;   in Loop: Header=BB4_10749 Depth=3
	s_or_b64 exec, exec, s[28:29]
	v_cmp_ne_u16_e32 vcc, 0, v24
	s_and_saveexec_b64 s[28:29], vcc
	s_cbranch_execz .LBB4_11483
; %bb.11476:                            ;   in Loop: Header=BB4_10749 Depth=3
	v_cmp_ne_u16_e32 vcc, s97, v24
	v_bfrev_b32_e32 v2, 1
	s_and_saveexec_b64 s[34:35], vcc
	s_cbranch_execz .LBB4_11482
; %bb.11477:                            ;   in Loop: Header=BB4_10749 Depth=3
	v_and_b32_e32 v2, 0x7c, v24
	v_and_b32_e32 v4, 3, v24
	v_cmp_ne_u32_e32 vcc, s85, v2
                                        ; implicit-def: $vgpr2
	s_and_saveexec_b64 s[36:37], vcc
	s_xor_b64 s[36:37], exec, s[36:37]
	s_cbranch_execz .LBB4_11479
; %bb.11478:                            ;   in Loop: Header=BB4_10749 Depth=3
	v_ffbh_u32_e32 v7, v4
	v_min_u32_e32 v7, 32, v7
	v_and_b32_e32 v2, 0xff, v24
	v_mov_b32_e32 v25, v17
	v_subrev_u32_e32 v21, 29, v7
	v_bfe_u32 v2, v2, 2, 5
	v_lshlrev_b64 v[30:31], v21, v[24:25]
	v_sub_u32_e32 v7, 30, v7
	v_cmp_eq_u32_e32 vcc, 0, v2
	v_and_b32_e32 v21, 3, v30
	v_cndmask_b32_e32 v2, v2, v7, vcc
	v_and_b32_sdwa v7, sext(v24), s86 dst_sel:DWORD dst_unused:UNUSED_PAD src0_sel:WORD_0 src1_sel:DWORD
	v_cndmask_b32_e32 v4, v4, v21, vcc
	v_lshl_add_u32 v2, v2, 23, v7
	v_lshl_or_b32 v2, v4, 21, v2
	v_add_u32_e32 v2, 0x38000000, v2
                                        ; implicit-def: $vgpr4
                                        ; implicit-def: $vgpr24
.LBB4_11479:                            ;   in Loop: Header=BB4_10749 Depth=3
	s_andn2_saveexec_b64 s[36:37], s[36:37]
; %bb.11480:                            ;   in Loop: Header=BB4_10749 Depth=3
	v_cmp_lt_i16_e32 vcc, -1, v24
	v_mov_b32_e32 v2, 0xff800000
	v_mov_b32_e32 v7, 0x7f800000
	v_cndmask_b32_e32 v2, v2, v7, vcc
	v_cmp_eq_u32_e32 vcc, 0, v4
	v_mov_b32_e32 v4, 0x7f800001
	v_cndmask_b32_e32 v2, v4, v2, vcc
; %bb.11481:                            ;   in Loop: Header=BB4_10749 Depth=3
	s_or_b64 exec, exec, s[36:37]
.LBB4_11482:                            ;   in Loop: Header=BB4_10749 Depth=3
	s_or_b64 exec, exec, s[34:35]
.LBB4_11483:                            ;   in Loop: Header=BB4_10749 Depth=3
	s_or_b64 exec, exec, s[28:29]
	v_add_f32_e32 v4, v3, v2
	v_and_b32_e32 v24, 0x7f800000, v4
	v_mov_b32_e32 v25, v17
	v_cmp_ne_u64_e32 vcc, s[76:77], v[24:25]
	v_and_b32_e32 v2, 0x7fffff, v4
	v_mov_b32_e32 v3, v17
                                        ; implicit-def: $vgpr24
	s_and_saveexec_b64 s[28:29], vcc
	s_xor_b64 s[34:35], exec, s[28:29]
	s_cbranch_execz .LBB4_11501
; %bb.11484:                            ;   in Loop: Header=BB4_10749 Depth=3
	v_and_b32_e32 v24, 0x7fffffff, v4
	v_mov_b32_e32 v25, v17
	v_cmp_gt_u64_e32 vcc, s[78:79], v[24:25]
	v_and_b32_sdwa v7, v4, s96 dst_sel:DWORD dst_unused:UNUSED_PAD src0_sel:BYTE_3 src1_sel:DWORD
                                        ; implicit-def: $vgpr24
	s_and_saveexec_b64 s[28:29], vcc
	s_xor_b64 s[36:37], exec, s[28:29]
	s_cbranch_execz .LBB4_11498
; %bb.11485:                            ;   in Loop: Header=BB4_10749 Depth=3
	v_cmp_ne_u32_e32 vcc, 0, v4
	v_mov_b32_e32 v24, 0
	s_and_saveexec_b64 s[38:39], vcc
	s_cbranch_execz .LBB4_11497
; %bb.11486:                            ;   in Loop: Header=BB4_10749 Depth=3
	v_bfe_u32 v21, v4, 23, 8
	v_cmp_gt_u32_e64 s[28:29], s46, v21
	v_sub_u32_e32 v4, 0x71, v21
	v_cmp_eq_u32_e32 vcc, 0, v21
	v_cndmask_b32_e64 v4, 0, v4, s[28:29]
	v_mov_b32_e32 v24, 0x70
	v_cndmask_b32_e32 v24, v4, v24, vcc
	v_add_u32_e32 v4, 21, v24
	v_or_b32_e32 v25, 0x800000, v2
	v_lshlrev_b64 v[30:31], v4, -1
	v_cndmask_b32_e32 v2, v25, v2, vcc
	v_add_u32_e32 v4, 20, v24
	v_bfi_b32 v30, v30, 0, v2
	v_lshlrev_b64 v[48:49], v4, 1
	v_lshrrev_b64 v[2:3], v24, v[2:3]
	v_bfi_b32 v31, v31, 0, 0
	v_cmp_eq_u64_e64 s[28:29], v[30:31], v[48:49]
	v_mov_b32_e32 v4, v3
	v_mov_b32_e32 v3, v2
	s_and_saveexec_b64 s[48:49], s[28:29]
; %bb.11487:                            ;   in Loop: Header=BB4_10749 Depth=3
	v_bfe_u32 v3, v2, 21, 1
	v_add_co_u32_e64 v3, s[28:29], v2, v3
	v_add_co_u32_e64 v3, s[28:29], -1, v3
; %bb.11488:                            ;   in Loop: Header=BB4_10749 Depth=3
	s_or_b64 exec, exec, s[48:49]
	v_add_u32_e32 v4, 0xffffff81, v21
	v_mov_b32_e32 v21, 0xffffff82
	v_cndmask_b32_e32 v4, v4, v21, vcc
	v_lshrrev_b32_e32 v21, 23, v2
	v_add3_u32 v24, v24, v4, v21
	v_add_u32_e32 v21, 14, v24
	v_and_b32_e32 v3, 0x1fffff, v3
	v_add_u32_e32 v2, v3, v2
	v_mov_b32_e32 v3, v17
	v_cmp_ne_u32_e32 vcc, 0, v21
                                        ; implicit-def: $vgpr4
	s_and_saveexec_b64 s[28:29], vcc
	s_xor_b64 s[28:29], exec, s[28:29]
; %bb.11489:                            ;   in Loop: Header=BB4_10749 Depth=3
	v_cmp_lt_u64_e32 vcc, s[88:89], v[2:3]
	v_add_u32_e32 v4, 15, v24
	v_cndmask_b32_e32 v4, v21, v4, vcc
	v_cndmask_b32_e64 v21, 0, 1, vcc
	v_lshrrev_b64 v[2:3], v21, v[2:3]
; %bb.11490:                            ;   in Loop: Header=BB4_10749 Depth=3
	s_andn2_saveexec_b64 s[28:29], s[28:29]
; %bb.11491:                            ;   in Loop: Header=BB4_10749 Depth=3
	v_bfe_u32 v4, v2, 23, 1
; %bb.11492:                            ;   in Loop: Header=BB4_10749 Depth=3
	s_or_b64 exec, exec, s[28:29]
	v_lshrrev_b64 v[2:3], 21, v[2:3]
	v_cmp_gt_i32_e32 vcc, 32, v4
	v_cndmask_b32_e32 v3, 0, v3, vcc
	v_cndmask_b32_e32 v2, 3, v2, vcc
	v_cmp_ne_u64_e32 vcc, 0, v[2:3]
	v_cmp_ne_u32_e64 s[28:29], 0, v4
	s_or_b64 s[28:29], s[28:29], vcc
                                        ; implicit-def: $vgpr24
	s_and_saveexec_b64 vcc, s[28:29]
	s_xor_b64 s[28:29], exec, vcc
; %bb.11493:                            ;   in Loop: Header=BB4_10749 Depth=3
	v_min_i32_e32 v3, 31, v4
	v_lshl_or_b32 v3, v3, 2, v7
	v_and_or_b32 v24, v2, 3, v3
                                        ; implicit-def: $vgpr7
; %bb.11494:                            ;   in Loop: Header=BB4_10749 Depth=3
	s_andn2_saveexec_b64 s[28:29], s[28:29]
; %bb.11495:                            ;   in Loop: Header=BB4_10749 Depth=3
	v_mov_b32_e32 v24, v7
; %bb.11496:                            ;   in Loop: Header=BB4_10749 Depth=3
	s_or_b64 exec, exec, s[28:29]
.LBB4_11497:                            ;   in Loop: Header=BB4_10749 Depth=3
	s_or_b64 exec, exec, s[38:39]
                                        ; implicit-def: $vgpr7
.LBB4_11498:                            ;   in Loop: Header=BB4_10749 Depth=3
	s_andn2_saveexec_b64 s[28:29], s[36:37]
; %bb.11499:                            ;   in Loop: Header=BB4_10749 Depth=3
	v_or_b32_e32 v24, 0x7b, v7
; %bb.11500:                            ;   in Loop: Header=BB4_10749 Depth=3
	s_or_b64 exec, exec, s[28:29]
                                        ; implicit-def: $vgpr4
                                        ; implicit-def: $vgpr2_vgpr3
.LBB4_11501:                            ;   in Loop: Header=BB4_10749 Depth=3
	s_andn2_saveexec_b64 s[28:29], s[34:35]
	s_cbranch_execz .LBB4_11507
; %bb.11502:                            ;   in Loop: Header=BB4_10749 Depth=3
	v_cmp_ne_u64_e32 vcc, 0, v[2:3]
                                        ; implicit-def: $vgpr24
	s_and_saveexec_b64 s[34:35], vcc
	s_xor_b64 vcc, exec, s[34:35]
; %bb.11503:                            ;   in Loop: Header=BB4_10749 Depth=3
	v_or_b32_sdwa v24, v4, s47 dst_sel:DWORD dst_unused:UNUSED_PAD src0_sel:BYTE_3 src1_sel:DWORD
                                        ; implicit-def: $vgpr4
; %bb.11504:                            ;   in Loop: Header=BB4_10749 Depth=3
	s_andn2_saveexec_b64 s[34:35], vcc
; %bb.11505:                            ;   in Loop: Header=BB4_10749 Depth=3
	v_cmp_lt_i32_e32 vcc, -1, v4
	v_cndmask_b32_e32 v24, -4, v52, vcc
; %bb.11506:                            ;   in Loop: Header=BB4_10749 Depth=3
	s_or_b64 exec, exec, s[34:35]
.LBB4_11507:                            ;   in Loop: Header=BB4_10749 Depth=3
	s_or_b64 exec, exec, s[28:29]
	v_and_b32_e32 v7, 0xff, v20
	v_cmp_ne_u16_e32 vcc, 0, v7
	v_mov_b32_e32 v2, 0
	v_mov_b32_e32 v3, 0
	s_and_saveexec_b64 s[28:29], vcc
	s_cbranch_execz .LBB4_11515
; %bb.11508:                            ;   in Loop: Header=BB4_10749 Depth=3
	v_cmp_ne_u16_e32 vcc, s96, v7
	v_bfrev_b32_e32 v3, 1
	s_and_saveexec_b64 s[34:35], vcc
	s_cbranch_execz .LBB4_11514
; %bb.11509:                            ;   in Loop: Header=BB4_10749 Depth=3
	v_and_b32_e32 v3, 0x7c, v20
	v_and_b32_e32 v4, 3, v20
	v_cmp_ne_u32_e32 vcc, s85, v3
                                        ; implicit-def: $vgpr3
	s_and_saveexec_b64 s[36:37], vcc
	s_xor_b64 s[36:37], exec, s[36:37]
	s_cbranch_execz .LBB4_11511
; %bb.11510:                            ;   in Loop: Header=BB4_10749 Depth=3
	v_bfe_u32 v3, v7, 2, 5
	v_ffbh_u32_e32 v7, v4
	v_min_u32_e32 v7, 32, v7
	v_mov_b32_e32 v21, v17
	v_subrev_u32_e32 v25, 29, v7
	v_lshlrev_b64 v[30:31], v25, v[20:21]
	v_sub_u32_e32 v7, 30, v7
	v_cmp_eq_u32_e32 vcc, 0, v3
	v_cndmask_b32_e32 v3, v3, v7, vcc
	v_lshlrev_b32_e32 v7, 24, v20
	v_and_b32_e32 v21, 3, v30
	v_and_b32_e32 v7, 0x80000000, v7
	v_cndmask_b32_e32 v4, v4, v21, vcc
	v_lshl_add_u32 v3, v3, 23, v7
	v_lshl_or_b32 v3, v4, 21, v3
	v_add_u32_e32 v3, 0x38000000, v3
                                        ; implicit-def: $vgpr4
                                        ; implicit-def: $vgpr20
.LBB4_11511:                            ;   in Loop: Header=BB4_10749 Depth=3
	s_andn2_saveexec_b64 s[36:37], s[36:37]
; %bb.11512:                            ;   in Loop: Header=BB4_10749 Depth=3
	v_mov_b32_e32 v3, -1
	v_cmp_gt_i16_sdwa vcc, sext(v20), v3 src0_sel:BYTE_0 src1_sel:DWORD
	v_mov_b32_e32 v3, 0xff800000
	v_mov_b32_e32 v7, 0x7f800000
	v_cndmask_b32_e32 v3, v3, v7, vcc
	v_cmp_eq_u32_e32 vcc, 0, v4
	v_mov_b32_e32 v4, 0x7f800001
	v_cndmask_b32_e32 v3, v4, v3, vcc
; %bb.11513:                            ;   in Loop: Header=BB4_10749 Depth=3
	s_or_b64 exec, exec, s[36:37]
.LBB4_11514:                            ;   in Loop: Header=BB4_10749 Depth=3
	s_or_b64 exec, exec, s[34:35]
.LBB4_11515:                            ;   in Loop: Header=BB4_10749 Depth=3
	s_or_b64 exec, exec, s[28:29]
	v_cmp_ne_u16_e32 vcc, 0, v6
	s_and_saveexec_b64 s[28:29], vcc
	s_cbranch_execz .LBB4_11523
; %bb.11516:                            ;   in Loop: Header=BB4_10749 Depth=3
	v_cmp_ne_u16_e32 vcc, s97, v6
	v_bfrev_b32_e32 v2, 1
	s_and_saveexec_b64 s[34:35], vcc
	s_cbranch_execz .LBB4_11522
; %bb.11517:                            ;   in Loop: Header=BB4_10749 Depth=3
	v_and_b32_e32 v2, 0x7c, v6
	v_and_b32_e32 v4, 3, v6
	v_cmp_ne_u32_e32 vcc, s85, v2
                                        ; implicit-def: $vgpr2
	s_and_saveexec_b64 s[36:37], vcc
	s_xor_b64 s[36:37], exec, s[36:37]
	s_cbranch_execz .LBB4_11519
; %bb.11518:                            ;   in Loop: Header=BB4_10749 Depth=3
	v_ffbh_u32_e32 v20, v4
	v_min_u32_e32 v25, 32, v20
	v_and_b32_e32 v2, 0xff, v6
	v_mov_b32_e32 v7, v17
	v_subrev_u32_e32 v20, 29, v25
	v_bfe_u32 v2, v2, 2, 5
	v_lshlrev_b64 v[20:21], v20, v[6:7]
	v_sub_u32_e32 v7, 30, v25
	v_cmp_eq_u32_e32 vcc, 0, v2
	v_and_b32_e32 v20, 3, v20
	v_cndmask_b32_e32 v2, v2, v7, vcc
	v_and_b32_sdwa v6, sext(v6), s86 dst_sel:DWORD dst_unused:UNUSED_PAD src0_sel:WORD_0 src1_sel:DWORD
	v_cndmask_b32_e32 v4, v4, v20, vcc
	v_lshl_add_u32 v2, v2, 23, v6
	v_lshl_or_b32 v2, v4, 21, v2
	v_add_u32_e32 v2, 0x38000000, v2
                                        ; implicit-def: $vgpr4
                                        ; implicit-def: $vgpr6
.LBB4_11519:                            ;   in Loop: Header=BB4_10749 Depth=3
	s_andn2_saveexec_b64 s[36:37], s[36:37]
; %bb.11520:                            ;   in Loop: Header=BB4_10749 Depth=3
	v_cmp_lt_i16_e32 vcc, -1, v6
	v_mov_b32_e32 v2, 0xff800000
	v_mov_b32_e32 v6, 0x7f800000
	v_cndmask_b32_e32 v2, v2, v6, vcc
	v_cmp_eq_u32_e32 vcc, 0, v4
	v_mov_b32_e32 v4, 0x7f800001
	v_cndmask_b32_e32 v2, v4, v2, vcc
; %bb.11521:                            ;   in Loop: Header=BB4_10749 Depth=3
	s_or_b64 exec, exec, s[36:37]
.LBB4_11522:                            ;   in Loop: Header=BB4_10749 Depth=3
	s_or_b64 exec, exec, s[34:35]
.LBB4_11523:                            ;   in Loop: Header=BB4_10749 Depth=3
	s_or_b64 exec, exec, s[28:29]
	v_add_f32_e32 v7, v3, v2
	v_and_b32_e32 v3, 0x7f800000, v7
	v_mov_b32_e32 v4, v17
	v_cmp_ne_u64_e32 vcc, s[76:77], v[3:4]
	v_and_b32_e32 v2, 0x7fffff, v7
	v_mov_b32_e32 v3, v17
                                        ; implicit-def: $vgpr4
	s_and_saveexec_b64 s[28:29], vcc
	s_xor_b64 s[34:35], exec, s[28:29]
	s_cbranch_execz .LBB4_11541
; %bb.11524:                            ;   in Loop: Header=BB4_10749 Depth=3
	v_and_b32_e32 v20, 0x7fffffff, v7
	v_mov_b32_e32 v21, v17
	v_cmp_gt_u64_e32 vcc, s[78:79], v[20:21]
	v_and_b32_sdwa v6, v7, s96 dst_sel:DWORD dst_unused:UNUSED_PAD src0_sel:BYTE_3 src1_sel:DWORD
                                        ; implicit-def: $vgpr4
	s_and_saveexec_b64 s[28:29], vcc
	s_xor_b64 s[36:37], exec, s[28:29]
	s_cbranch_execz .LBB4_11538
; %bb.11525:                            ;   in Loop: Header=BB4_10749 Depth=3
	v_cmp_ne_u32_e32 vcc, 0, v7
	v_mov_b32_e32 v4, 0
	s_and_saveexec_b64 s[38:39], vcc
	s_cbranch_execz .LBB4_11537
; %bb.11526:                            ;   in Loop: Header=BB4_10749 Depth=3
	v_bfe_u32 v7, v7, 23, 8
	v_cmp_gt_u32_e64 s[28:29], s46, v7
	v_sub_u32_e32 v4, 0x71, v7
	v_cmp_eq_u32_e32 vcc, 0, v7
	v_cndmask_b32_e64 v4, 0, v4, s[28:29]
	v_mov_b32_e32 v20, 0x70
	v_cndmask_b32_e32 v20, v4, v20, vcc
	v_add_u32_e32 v4, 21, v20
	v_or_b32_e32 v21, 0x800000, v2
	v_lshlrev_b64 v[30:31], v4, -1
	v_cndmask_b32_e32 v2, v21, v2, vcc
	v_add_u32_e32 v4, 20, v20
	v_bfi_b32 v30, v30, 0, v2
	v_lshlrev_b64 v[48:49], v4, 1
	v_lshrrev_b64 v[2:3], v20, v[2:3]
	v_bfi_b32 v31, v31, 0, 0
	v_cmp_eq_u64_e64 s[28:29], v[30:31], v[48:49]
	v_mov_b32_e32 v4, v3
	v_mov_b32_e32 v3, v2
	s_and_saveexec_b64 s[48:49], s[28:29]
; %bb.11527:                            ;   in Loop: Header=BB4_10749 Depth=3
	v_bfe_u32 v3, v2, 21, 1
	v_add_co_u32_e64 v3, s[28:29], v2, v3
	v_add_co_u32_e64 v3, s[28:29], -1, v3
; %bb.11528:                            ;   in Loop: Header=BB4_10749 Depth=3
	s_or_b64 exec, exec, s[48:49]
	v_add_u32_e32 v4, 0xffffff81, v7
	v_mov_b32_e32 v7, 0xffffff82
	v_cndmask_b32_e32 v4, v4, v7, vcc
	v_lshrrev_b32_e32 v7, 23, v2
	v_add3_u32 v20, v20, v4, v7
	v_add_u32_e32 v4, 14, v20
	v_and_b32_e32 v3, 0x1fffff, v3
	v_add_u32_e32 v2, v3, v2
	v_mov_b32_e32 v3, v17
	v_cmp_ne_u32_e32 vcc, 0, v4
                                        ; implicit-def: $vgpr7
	s_and_saveexec_b64 s[28:29], vcc
	s_xor_b64 s[28:29], exec, s[28:29]
; %bb.11529:                            ;   in Loop: Header=BB4_10749 Depth=3
	v_cmp_lt_u64_e32 vcc, s[88:89], v[2:3]
	v_add_u32_e32 v7, 15, v20
	v_cndmask_b32_e32 v7, v4, v7, vcc
	v_cndmask_b32_e64 v4, 0, 1, vcc
	v_lshrrev_b64 v[2:3], v4, v[2:3]
; %bb.11530:                            ;   in Loop: Header=BB4_10749 Depth=3
	s_andn2_saveexec_b64 s[28:29], s[28:29]
; %bb.11531:                            ;   in Loop: Header=BB4_10749 Depth=3
	v_bfe_u32 v7, v2, 23, 1
; %bb.11532:                            ;   in Loop: Header=BB4_10749 Depth=3
	s_or_b64 exec, exec, s[28:29]
	v_lshrrev_b64 v[2:3], 21, v[2:3]
	v_cmp_gt_i32_e32 vcc, 32, v7
	v_cndmask_b32_e32 v3, 0, v3, vcc
	v_cndmask_b32_e32 v2, 3, v2, vcc
	v_cmp_ne_u64_e32 vcc, 0, v[2:3]
	v_cmp_ne_u32_e64 s[28:29], 0, v7
	s_or_b64 s[28:29], s[28:29], vcc
                                        ; implicit-def: $vgpr4
	s_and_saveexec_b64 vcc, s[28:29]
	s_xor_b64 s[28:29], exec, vcc
; %bb.11533:                            ;   in Loop: Header=BB4_10749 Depth=3
	v_min_i32_e32 v3, 31, v7
	v_lshl_or_b32 v3, v3, 2, v6
	v_and_or_b32 v4, v2, 3, v3
                                        ; implicit-def: $vgpr6
; %bb.11534:                            ;   in Loop: Header=BB4_10749 Depth=3
	s_andn2_saveexec_b64 s[28:29], s[28:29]
; %bb.11535:                            ;   in Loop: Header=BB4_10749 Depth=3
	v_mov_b32_e32 v4, v6
; %bb.11536:                            ;   in Loop: Header=BB4_10749 Depth=3
	s_or_b64 exec, exec, s[28:29]
.LBB4_11537:                            ;   in Loop: Header=BB4_10749 Depth=3
	s_or_b64 exec, exec, s[38:39]
                                        ; implicit-def: $vgpr6
.LBB4_11538:                            ;   in Loop: Header=BB4_10749 Depth=3
	s_andn2_saveexec_b64 s[28:29], s[36:37]
; %bb.11539:                            ;   in Loop: Header=BB4_10749 Depth=3
	v_or_b32_e32 v4, 0x7b, v6
; %bb.11540:                            ;   in Loop: Header=BB4_10749 Depth=3
	s_or_b64 exec, exec, s[28:29]
                                        ; implicit-def: $vgpr7
                                        ; implicit-def: $vgpr2_vgpr3
.LBB4_11541:                            ;   in Loop: Header=BB4_10749 Depth=3
	s_andn2_saveexec_b64 s[28:29], s[34:35]
	s_cbranch_execz .LBB4_11547
; %bb.11542:                            ;   in Loop: Header=BB4_10749 Depth=3
	v_cmp_ne_u64_e32 vcc, 0, v[2:3]
                                        ; implicit-def: $vgpr4
	s_and_saveexec_b64 s[34:35], vcc
	s_xor_b64 vcc, exec, s[34:35]
; %bb.11543:                            ;   in Loop: Header=BB4_10749 Depth=3
	v_or_b32_sdwa v4, v7, s47 dst_sel:DWORD dst_unused:UNUSED_PAD src0_sel:BYTE_3 src1_sel:DWORD
                                        ; implicit-def: $vgpr7
; %bb.11544:                            ;   in Loop: Header=BB4_10749 Depth=3
	s_andn2_saveexec_b64 s[34:35], vcc
; %bb.11545:                            ;   in Loop: Header=BB4_10749 Depth=3
	v_cmp_lt_i32_e32 vcc, -1, v7
	v_cndmask_b32_e32 v4, -4, v52, vcc
; %bb.11546:                            ;   in Loop: Header=BB4_10749 Depth=3
	s_or_b64 exec, exec, s[34:35]
.LBB4_11547:                            ;   in Loop: Header=BB4_10749 Depth=3
	s_or_b64 exec, exec, s[28:29]
	v_and_b32_e32 v7, 0xff, v19
	v_cmp_ne_u16_e32 vcc, 0, v7
	v_mov_b32_e32 v2, 0
	v_mov_b32_e32 v3, 0
	s_and_saveexec_b64 s[28:29], vcc
	s_cbranch_execz .LBB4_11555
; %bb.11548:                            ;   in Loop: Header=BB4_10749 Depth=3
	v_cmp_ne_u16_e32 vcc, s96, v7
	v_bfrev_b32_e32 v3, 1
	s_and_saveexec_b64 s[34:35], vcc
	s_cbranch_execz .LBB4_11554
; %bb.11549:                            ;   in Loop: Header=BB4_10749 Depth=3
	v_and_b32_e32 v3, 0x7c, v19
	v_and_b32_e32 v6, 3, v19
	v_cmp_ne_u32_e32 vcc, s85, v3
                                        ; implicit-def: $vgpr3
	s_and_saveexec_b64 s[36:37], vcc
	s_xor_b64 s[36:37], exec, s[36:37]
	s_cbranch_execz .LBB4_11551
; %bb.11550:                            ;   in Loop: Header=BB4_10749 Depth=3
	v_bfe_u32 v3, v7, 2, 5
	v_ffbh_u32_e32 v7, v6
	v_min_u32_e32 v7, 32, v7
	v_mov_b32_e32 v20, v17
	v_subrev_u32_e32 v21, 29, v7
	v_lshlrev_b64 v[20:21], v21, v[19:20]
	v_sub_u32_e32 v7, 30, v7
	v_cmp_eq_u32_e32 vcc, 0, v3
	v_cndmask_b32_e32 v3, v3, v7, vcc
	v_lshlrev_b32_e32 v7, 24, v19
	v_and_b32_e32 v20, 3, v20
	v_and_b32_e32 v7, 0x80000000, v7
	v_cndmask_b32_e32 v6, v6, v20, vcc
	v_lshl_add_u32 v3, v3, 23, v7
	v_lshl_or_b32 v3, v6, 21, v3
	v_add_u32_e32 v3, 0x38000000, v3
                                        ; implicit-def: $vgpr6
                                        ; implicit-def: $vgpr19
.LBB4_11551:                            ;   in Loop: Header=BB4_10749 Depth=3
	s_andn2_saveexec_b64 s[36:37], s[36:37]
; %bb.11552:                            ;   in Loop: Header=BB4_10749 Depth=3
	v_mov_b32_e32 v3, -1
	v_cmp_gt_i16_sdwa vcc, sext(v19), v3 src0_sel:BYTE_0 src1_sel:DWORD
	v_mov_b32_e32 v3, 0xff800000
	v_mov_b32_e32 v7, 0x7f800000
	v_cndmask_b32_e32 v3, v3, v7, vcc
	v_cmp_eq_u32_e32 vcc, 0, v6
	v_mov_b32_e32 v6, 0x7f800001
	v_cndmask_b32_e32 v3, v6, v3, vcc
; %bb.11553:                            ;   in Loop: Header=BB4_10749 Depth=3
	s_or_b64 exec, exec, s[36:37]
.LBB4_11554:                            ;   in Loop: Header=BB4_10749 Depth=3
	s_or_b64 exec, exec, s[34:35]
.LBB4_11555:                            ;   in Loop: Header=BB4_10749 Depth=3
	s_or_b64 exec, exec, s[28:29]
	v_cmp_ne_u16_e32 vcc, 0, v1
	s_and_saveexec_b64 s[28:29], vcc
	s_cbranch_execz .LBB4_11563
; %bb.11556:                            ;   in Loop: Header=BB4_10749 Depth=3
	v_cmp_ne_u16_e32 vcc, s97, v1
	v_bfrev_b32_e32 v2, 1
	s_and_saveexec_b64 s[34:35], vcc
	s_cbranch_execz .LBB4_11562
; %bb.11557:                            ;   in Loop: Header=BB4_10749 Depth=3
	v_and_b32_e32 v2, 0x7c, v1
	v_and_b32_e32 v6, 3, v1
	v_cmp_ne_u32_e32 vcc, s85, v2
                                        ; implicit-def: $vgpr2
	s_and_saveexec_b64 s[36:37], vcc
	s_xor_b64 s[36:37], exec, s[36:37]
	s_cbranch_execz .LBB4_11559
; %bb.11558:                            ;   in Loop: Header=BB4_10749 Depth=3
	v_ffbh_u32_e32 v19, v6
	v_min_u32_e32 v21, 32, v19
	v_and_b32_e32 v7, 0xff, v1
	v_mov_b32_e32 v2, v17
	v_subrev_u32_e32 v19, 29, v21
	v_bfe_u32 v7, v7, 2, 5
	v_lshlrev_b64 v[19:20], v19, v[1:2]
	v_sub_u32_e32 v2, 30, v21
	v_cmp_eq_u32_e32 vcc, 0, v7
	v_and_b32_e32 v19, 3, v19
	v_cndmask_b32_e32 v2, v7, v2, vcc
	v_and_b32_sdwa v1, sext(v1), s86 dst_sel:DWORD dst_unused:UNUSED_PAD src0_sel:WORD_0 src1_sel:DWORD
	v_cndmask_b32_e32 v6, v6, v19, vcc
	v_lshl_add_u32 v1, v2, 23, v1
	v_lshl_or_b32 v1, v6, 21, v1
	v_add_u32_e32 v2, 0x38000000, v1
                                        ; implicit-def: $vgpr6
                                        ; implicit-def: $vgpr1
.LBB4_11559:                            ;   in Loop: Header=BB4_10749 Depth=3
	s_andn2_saveexec_b64 s[36:37], s[36:37]
; %bb.11560:                            ;   in Loop: Header=BB4_10749 Depth=3
	v_cmp_lt_i16_e32 vcc, -1, v1
	v_mov_b32_e32 v1, 0xff800000
	v_mov_b32_e32 v2, 0x7f800000
	v_cndmask_b32_e32 v1, v1, v2, vcc
	v_cmp_eq_u32_e32 vcc, 0, v6
	v_mov_b32_e32 v2, 0x7f800001
	v_cndmask_b32_e32 v2, v2, v1, vcc
; %bb.11561:                            ;   in Loop: Header=BB4_10749 Depth=3
	s_or_b64 exec, exec, s[36:37]
.LBB4_11562:                            ;   in Loop: Header=BB4_10749 Depth=3
	s_or_b64 exec, exec, s[34:35]
.LBB4_11563:                            ;   in Loop: Header=BB4_10749 Depth=3
	s_or_b64 exec, exec, s[28:29]
	v_add_f32_e32 v7, v3, v2
	v_and_b32_e32 v2, 0x7f800000, v7
	v_mov_b32_e32 v3, v17
	v_cmp_ne_u64_e32 vcc, s[76:77], v[2:3]
	v_and_b32_e32 v1, 0x7fffff, v7
	v_mov_b32_e32 v2, v17
                                        ; implicit-def: $vgpr3
	s_and_saveexec_b64 s[28:29], vcc
	s_xor_b64 s[34:35], exec, s[28:29]
	s_cbranch_execz .LBB4_11581
; %bb.11564:                            ;   in Loop: Header=BB4_10749 Depth=3
	v_and_b32_e32 v19, 0x7fffffff, v7
	v_mov_b32_e32 v20, v17
	v_cmp_gt_u64_e32 vcc, s[78:79], v[19:20]
	v_and_b32_sdwa v6, v7, s96 dst_sel:DWORD dst_unused:UNUSED_PAD src0_sel:BYTE_3 src1_sel:DWORD
                                        ; implicit-def: $vgpr3
	s_and_saveexec_b64 s[28:29], vcc
	s_xor_b64 s[36:37], exec, s[28:29]
	s_cbranch_execz .LBB4_11578
; %bb.11565:                            ;   in Loop: Header=BB4_10749 Depth=3
	v_cmp_ne_u32_e32 vcc, 0, v7
	v_mov_b32_e32 v3, 0
	s_and_saveexec_b64 s[38:39], vcc
	s_cbranch_execz .LBB4_11577
; %bb.11566:                            ;   in Loop: Header=BB4_10749 Depth=3
	v_bfe_u32 v7, v7, 23, 8
	v_cmp_gt_u32_e64 s[28:29], s46, v7
	v_sub_u32_e32 v3, 0x71, v7
	v_cmp_eq_u32_e32 vcc, 0, v7
	v_cndmask_b32_e64 v3, 0, v3, s[28:29]
	v_mov_b32_e32 v19, 0x70
	v_cndmask_b32_e32 v19, v3, v19, vcc
	v_or_b32_e32 v20, 0x800000, v1
	v_add_u32_e32 v3, 21, v19
	v_cndmask_b32_e32 v1, v20, v1, vcc
	v_lshlrev_b64 v[20:21], v3, -1
	v_add_u32_e32 v3, 20, v19
	v_bfi_b32 v20, v20, 0, v1
	v_lshlrev_b64 v[30:31], v3, 1
	v_lshrrev_b64 v[1:2], v19, v[1:2]
	v_bfi_b32 v21, v21, 0, 0
	v_cmp_eq_u64_e64 s[28:29], v[20:21], v[30:31]
	v_mov_b32_e32 v3, v2
	v_mov_b32_e32 v2, v1
	s_and_saveexec_b64 s[48:49], s[28:29]
; %bb.11567:                            ;   in Loop: Header=BB4_10749 Depth=3
	v_bfe_u32 v2, v1, 21, 1
	v_add_co_u32_e64 v2, s[28:29], v1, v2
	v_add_co_u32_e64 v2, s[28:29], -1, v2
; %bb.11568:                            ;   in Loop: Header=BB4_10749 Depth=3
	s_or_b64 exec, exec, s[48:49]
	v_add_u32_e32 v3, 0xffffff81, v7
	v_mov_b32_e32 v7, 0xffffff82
	v_cndmask_b32_e32 v3, v3, v7, vcc
	v_lshrrev_b32_e32 v7, 23, v1
	v_add3_u32 v19, v19, v3, v7
	v_add_u32_e32 v3, 14, v19
	v_and_b32_e32 v2, 0x1fffff, v2
	v_add_u32_e32 v1, v2, v1
	v_mov_b32_e32 v2, v17
	v_cmp_ne_u32_e32 vcc, 0, v3
                                        ; implicit-def: $vgpr7
	s_and_saveexec_b64 s[28:29], vcc
	s_xor_b64 s[28:29], exec, s[28:29]
; %bb.11569:                            ;   in Loop: Header=BB4_10749 Depth=3
	v_cmp_lt_u64_e32 vcc, s[88:89], v[1:2]
	v_add_u32_e32 v7, 15, v19
	v_cndmask_b32_e32 v7, v3, v7, vcc
	v_cndmask_b32_e64 v3, 0, 1, vcc
	v_lshrrev_b64 v[1:2], v3, v[1:2]
; %bb.11570:                            ;   in Loop: Header=BB4_10749 Depth=3
	s_andn2_saveexec_b64 s[28:29], s[28:29]
; %bb.11571:                            ;   in Loop: Header=BB4_10749 Depth=3
	v_bfe_u32 v7, v1, 23, 1
; %bb.11572:                            ;   in Loop: Header=BB4_10749 Depth=3
	s_or_b64 exec, exec, s[28:29]
	v_lshrrev_b64 v[1:2], 21, v[1:2]
	v_cmp_gt_i32_e32 vcc, 32, v7
	v_cndmask_b32_e32 v2, 0, v2, vcc
	v_cndmask_b32_e32 v1, 3, v1, vcc
	v_cmp_ne_u64_e32 vcc, 0, v[1:2]
	v_cmp_ne_u32_e64 s[28:29], 0, v7
	s_or_b64 s[28:29], s[28:29], vcc
                                        ; implicit-def: $vgpr3
	s_and_saveexec_b64 vcc, s[28:29]
	s_xor_b64 s[28:29], exec, vcc
; %bb.11573:                            ;   in Loop: Header=BB4_10749 Depth=3
	v_min_i32_e32 v2, 31, v7
	v_lshl_or_b32 v2, v2, 2, v6
	v_and_or_b32 v3, v1, 3, v2
                                        ; implicit-def: $vgpr6
; %bb.11574:                            ;   in Loop: Header=BB4_10749 Depth=3
	s_andn2_saveexec_b64 s[28:29], s[28:29]
; %bb.11575:                            ;   in Loop: Header=BB4_10749 Depth=3
	v_mov_b32_e32 v3, v6
; %bb.11576:                            ;   in Loop: Header=BB4_10749 Depth=3
	s_or_b64 exec, exec, s[28:29]
.LBB4_11577:                            ;   in Loop: Header=BB4_10749 Depth=3
	s_or_b64 exec, exec, s[38:39]
                                        ; implicit-def: $vgpr6
.LBB4_11578:                            ;   in Loop: Header=BB4_10749 Depth=3
	s_andn2_saveexec_b64 s[28:29], s[36:37]
; %bb.11579:                            ;   in Loop: Header=BB4_10749 Depth=3
	v_or_b32_e32 v3, 0x7b, v6
; %bb.11580:                            ;   in Loop: Header=BB4_10749 Depth=3
	s_or_b64 exec, exec, s[28:29]
                                        ; implicit-def: $vgpr7
                                        ; implicit-def: $vgpr1_vgpr2
.LBB4_11581:                            ;   in Loop: Header=BB4_10749 Depth=3
	s_andn2_saveexec_b64 s[28:29], s[34:35]
	s_cbranch_execz .LBB4_11587
; %bb.11582:                            ;   in Loop: Header=BB4_10749 Depth=3
	v_cmp_ne_u64_e32 vcc, 0, v[1:2]
                                        ; implicit-def: $vgpr3
	s_and_saveexec_b64 s[34:35], vcc
	s_xor_b64 vcc, exec, s[34:35]
; %bb.11583:                            ;   in Loop: Header=BB4_10749 Depth=3
	v_or_b32_sdwa v3, v7, s47 dst_sel:DWORD dst_unused:UNUSED_PAD src0_sel:BYTE_3 src1_sel:DWORD
                                        ; implicit-def: $vgpr7
; %bb.11584:                            ;   in Loop: Header=BB4_10749 Depth=3
	s_andn2_saveexec_b64 s[34:35], vcc
; %bb.11585:                            ;   in Loop: Header=BB4_10749 Depth=3
	v_cmp_lt_i32_e32 vcc, -1, v7
	v_cndmask_b32_e32 v3, -4, v52, vcc
; %bb.11586:                            ;   in Loop: Header=BB4_10749 Depth=3
	s_or_b64 exec, exec, s[34:35]
.LBB4_11587:                            ;   in Loop: Header=BB4_10749 Depth=3
	s_or_b64 exec, exec, s[28:29]
	v_and_b32_e32 v7, 0xff, v18
	v_cmp_ne_u16_e32 vcc, 0, v7
	v_mov_b32_e32 v1, 0
	v_mov_b32_e32 v2, 0
	s_and_saveexec_b64 s[28:29], vcc
	s_cbranch_execz .LBB4_11595
; %bb.11588:                            ;   in Loop: Header=BB4_10749 Depth=3
	v_cmp_ne_u16_e32 vcc, s96, v7
	v_bfrev_b32_e32 v2, 1
	s_and_saveexec_b64 s[34:35], vcc
	s_cbranch_execz .LBB4_11594
; %bb.11589:                            ;   in Loop: Header=BB4_10749 Depth=3
	v_and_b32_e32 v2, 0x7c, v18
	v_and_b32_e32 v6, 3, v18
	v_cmp_ne_u32_e32 vcc, s85, v2
                                        ; implicit-def: $vgpr2
	s_and_saveexec_b64 s[36:37], vcc
	s_xor_b64 s[36:37], exec, s[36:37]
	s_cbranch_execz .LBB4_11591
; %bb.11590:                            ;   in Loop: Header=BB4_10749 Depth=3
	v_bfe_u32 v2, v7, 2, 5
	v_ffbh_u32_e32 v7, v6
	v_min_u32_e32 v7, 32, v7
	v_mov_b32_e32 v19, v17
	v_subrev_u32_e32 v20, 29, v7
	v_lshlrev_b64 v[19:20], v20, v[18:19]
	v_sub_u32_e32 v7, 30, v7
	v_cmp_eq_u32_e32 vcc, 0, v2
	v_cndmask_b32_e32 v2, v2, v7, vcc
	v_lshlrev_b32_e32 v7, 24, v18
	v_and_b32_e32 v19, 3, v19
	v_and_b32_e32 v7, 0x80000000, v7
	v_cndmask_b32_e32 v6, v6, v19, vcc
	v_lshl_add_u32 v2, v2, 23, v7
	v_lshl_or_b32 v2, v6, 21, v2
	v_add_u32_e32 v2, 0x38000000, v2
                                        ; implicit-def: $vgpr6
                                        ; implicit-def: $vgpr18
.LBB4_11591:                            ;   in Loop: Header=BB4_10749 Depth=3
	s_andn2_saveexec_b64 s[36:37], s[36:37]
; %bb.11592:                            ;   in Loop: Header=BB4_10749 Depth=3
	v_mov_b32_e32 v2, -1
	v_cmp_gt_i16_sdwa vcc, sext(v18), v2 src0_sel:BYTE_0 src1_sel:DWORD
	v_mov_b32_e32 v2, 0xff800000
	v_mov_b32_e32 v7, 0x7f800000
	v_cndmask_b32_e32 v2, v2, v7, vcc
	v_cmp_eq_u32_e32 vcc, 0, v6
	v_mov_b32_e32 v6, 0x7f800001
	v_cndmask_b32_e32 v2, v6, v2, vcc
; %bb.11593:                            ;   in Loop: Header=BB4_10749 Depth=3
	s_or_b64 exec, exec, s[36:37]
.LBB4_11594:                            ;   in Loop: Header=BB4_10749 Depth=3
	s_or_b64 exec, exec, s[34:35]
.LBB4_11595:                            ;   in Loop: Header=BB4_10749 Depth=3
	s_or_b64 exec, exec, s[28:29]
	v_cmp_ne_u16_e32 vcc, 0, v0
	s_and_saveexec_b64 s[28:29], vcc
	s_cbranch_execz .LBB4_11603
; %bb.11596:                            ;   in Loop: Header=BB4_10749 Depth=3
	v_cmp_ne_u16_e32 vcc, s97, v0
	v_bfrev_b32_e32 v1, 1
	s_and_saveexec_b64 s[34:35], vcc
	s_cbranch_execz .LBB4_11602
; %bb.11597:                            ;   in Loop: Header=BB4_10749 Depth=3
	v_and_b32_e32 v1, 0x7c, v0
	v_and_b32_e32 v6, 3, v0
	v_cmp_ne_u32_e32 vcc, s85, v1
                                        ; implicit-def: $vgpr1
	s_and_saveexec_b64 s[36:37], vcc
	s_xor_b64 s[36:37], exec, s[36:37]
	s_cbranch_execz .LBB4_11599
; %bb.11598:                            ;   in Loop: Header=BB4_10749 Depth=3
	v_ffbh_u32_e32 v18, v6
	v_min_u32_e32 v20, 32, v18
	v_and_b32_e32 v7, 0xff, v0
	v_mov_b32_e32 v1, v17
	v_subrev_u32_e32 v18, 29, v20
	v_bfe_u32 v7, v7, 2, 5
	v_lshlrev_b64 v[18:19], v18, v[0:1]
	v_sub_u32_e32 v1, 30, v20
	v_cmp_eq_u32_e32 vcc, 0, v7
	v_and_b32_e32 v18, 3, v18
	v_cndmask_b32_e32 v1, v7, v1, vcc
	v_and_b32_sdwa v0, sext(v0), s86 dst_sel:DWORD dst_unused:UNUSED_PAD src0_sel:WORD_0 src1_sel:DWORD
	v_cndmask_b32_e32 v6, v6, v18, vcc
	v_lshl_add_u32 v0, v1, 23, v0
	v_lshl_or_b32 v0, v6, 21, v0
	v_add_u32_e32 v1, 0x38000000, v0
                                        ; implicit-def: $vgpr6
                                        ; implicit-def: $vgpr0
.LBB4_11599:                            ;   in Loop: Header=BB4_10749 Depth=3
	s_andn2_saveexec_b64 s[36:37], s[36:37]
; %bb.11600:                            ;   in Loop: Header=BB4_10749 Depth=3
	v_cmp_lt_i16_e32 vcc, -1, v0
	v_mov_b32_e32 v0, 0xff800000
	v_mov_b32_e32 v1, 0x7f800000
	v_cndmask_b32_e32 v0, v0, v1, vcc
	v_cmp_eq_u32_e32 vcc, 0, v6
	v_mov_b32_e32 v1, 0x7f800001
	v_cndmask_b32_e32 v1, v1, v0, vcc
; %bb.11601:                            ;   in Loop: Header=BB4_10749 Depth=3
	s_or_b64 exec, exec, s[36:37]
.LBB4_11602:                            ;   in Loop: Header=BB4_10749 Depth=3
	s_or_b64 exec, exec, s[34:35]
.LBB4_11603:                            ;   in Loop: Header=BB4_10749 Depth=3
	s_or_b64 exec, exec, s[28:29]
	v_add_f32_e32 v2, v2, v1
	v_and_b32_e32 v6, 0x7f800000, v2
	v_mov_b32_e32 v7, v17
	v_cmp_ne_u64_e32 vcc, s[76:77], v[6:7]
	v_and_b32_e32 v0, 0x7fffff, v2
	v_mov_b32_e32 v1, v17
                                        ; implicit-def: $vgpr6
	s_and_saveexec_b64 s[28:29], vcc
	s_xor_b64 s[34:35], exec, s[28:29]
	s_cbranch_execz .LBB4_11621
; %bb.11604:                            ;   in Loop: Header=BB4_10749 Depth=3
	v_and_b32_e32 v6, 0x7fffffff, v2
	v_mov_b32_e32 v7, v17
	v_cmp_gt_u64_e32 vcc, s[78:79], v[6:7]
	v_and_b32_sdwa v7, v2, s96 dst_sel:DWORD dst_unused:UNUSED_PAD src0_sel:BYTE_3 src1_sel:DWORD
                                        ; implicit-def: $vgpr6
	s_and_saveexec_b64 s[28:29], vcc
	s_xor_b64 s[36:37], exec, s[28:29]
	s_cbranch_execz .LBB4_11618
; %bb.11605:                            ;   in Loop: Header=BB4_10749 Depth=3
	v_cmp_ne_u32_e32 vcc, 0, v2
	v_mov_b32_e32 v6, 0
	s_and_saveexec_b64 s[38:39], vcc
	s_cbranch_execz .LBB4_11617
; %bb.11606:                            ;   in Loop: Header=BB4_10749 Depth=3
	v_bfe_u32 v6, v2, 23, 8
	v_cmp_gt_u32_e64 s[28:29], s46, v6
	v_sub_u32_e32 v2, 0x71, v6
	v_cmp_eq_u32_e32 vcc, 0, v6
	v_cndmask_b32_e64 v2, 0, v2, s[28:29]
	v_mov_b32_e32 v18, 0x70
	v_cndmask_b32_e32 v18, v2, v18, vcc
	v_or_b32_e32 v19, 0x800000, v0
	v_add_u32_e32 v2, 21, v18
	v_cndmask_b32_e32 v0, v19, v0, vcc
	v_lshlrev_b64 v[19:20], v2, -1
	v_add_u32_e32 v2, 20, v18
	v_bfi_b32 v19, v19, 0, v0
	v_lshlrev_b64 v[30:31], v2, 1
	v_lshrrev_b64 v[0:1], v18, v[0:1]
	v_bfi_b32 v20, v20, 0, 0
	v_cmp_eq_u64_e64 s[28:29], v[19:20], v[30:31]
	v_mov_b32_e32 v2, v1
	v_mov_b32_e32 v1, v0
	s_and_saveexec_b64 s[48:49], s[28:29]
; %bb.11607:                            ;   in Loop: Header=BB4_10749 Depth=3
	v_bfe_u32 v1, v0, 21, 1
	v_add_co_u32_e64 v1, s[28:29], v0, v1
	v_add_co_u32_e64 v1, s[28:29], -1, v1
; %bb.11608:                            ;   in Loop: Header=BB4_10749 Depth=3
	s_or_b64 exec, exec, s[48:49]
	v_add_u32_e32 v2, 0xffffff81, v6
	v_mov_b32_e32 v6, 0xffffff82
	v_cndmask_b32_e32 v2, v2, v6, vcc
	v_lshrrev_b32_e32 v6, 23, v0
	v_add3_u32 v18, v18, v2, v6
	v_add_u32_e32 v6, 14, v18
	v_and_b32_e32 v1, 0x1fffff, v1
	v_add_u32_e32 v0, v1, v0
	v_mov_b32_e32 v1, v17
	v_cmp_ne_u32_e32 vcc, 0, v6
                                        ; implicit-def: $vgpr2
	s_and_saveexec_b64 s[28:29], vcc
	s_xor_b64 s[28:29], exec, s[28:29]
; %bb.11609:                            ;   in Loop: Header=BB4_10749 Depth=3
	v_cmp_lt_u64_e32 vcc, s[88:89], v[0:1]
	v_add_u32_e32 v2, 15, v18
	v_cndmask_b32_e32 v2, v6, v2, vcc
	v_cndmask_b32_e64 v6, 0, 1, vcc
	v_lshrrev_b64 v[0:1], v6, v[0:1]
; %bb.11610:                            ;   in Loop: Header=BB4_10749 Depth=3
	s_andn2_saveexec_b64 s[28:29], s[28:29]
; %bb.11611:                            ;   in Loop: Header=BB4_10749 Depth=3
	v_bfe_u32 v2, v0, 23, 1
; %bb.11612:                            ;   in Loop: Header=BB4_10749 Depth=3
	s_or_b64 exec, exec, s[28:29]
	v_lshrrev_b64 v[0:1], 21, v[0:1]
	v_cmp_gt_i32_e32 vcc, 32, v2
	v_cndmask_b32_e32 v1, 0, v1, vcc
	v_cndmask_b32_e32 v0, 3, v0, vcc
	v_cmp_ne_u64_e32 vcc, 0, v[0:1]
	v_cmp_ne_u32_e64 s[28:29], 0, v2
	s_or_b64 s[28:29], s[28:29], vcc
                                        ; implicit-def: $vgpr6
	s_and_saveexec_b64 vcc, s[28:29]
	s_xor_b64 s[28:29], exec, vcc
; %bb.11613:                            ;   in Loop: Header=BB4_10749 Depth=3
	v_min_i32_e32 v1, 31, v2
	v_lshl_or_b32 v1, v1, 2, v7
	v_and_or_b32 v6, v0, 3, v1
                                        ; implicit-def: $vgpr7
; %bb.11614:                            ;   in Loop: Header=BB4_10749 Depth=3
	s_andn2_saveexec_b64 s[28:29], s[28:29]
; %bb.11615:                            ;   in Loop: Header=BB4_10749 Depth=3
	v_mov_b32_e32 v6, v7
; %bb.11616:                            ;   in Loop: Header=BB4_10749 Depth=3
	s_or_b64 exec, exec, s[28:29]
.LBB4_11617:                            ;   in Loop: Header=BB4_10749 Depth=3
	s_or_b64 exec, exec, s[38:39]
                                        ; implicit-def: $vgpr7
.LBB4_11618:                            ;   in Loop: Header=BB4_10749 Depth=3
	s_andn2_saveexec_b64 s[28:29], s[36:37]
; %bb.11619:                            ;   in Loop: Header=BB4_10749 Depth=3
	v_or_b32_e32 v6, 0x7b, v7
; %bb.11620:                            ;   in Loop: Header=BB4_10749 Depth=3
	s_or_b64 exec, exec, s[28:29]
                                        ; implicit-def: $vgpr2
                                        ; implicit-def: $vgpr0_vgpr1
.LBB4_11621:                            ;   in Loop: Header=BB4_10749 Depth=3
	s_andn2_saveexec_b64 s[28:29], s[34:35]
	s_cbranch_execz .LBB4_11627
; %bb.11622:                            ;   in Loop: Header=BB4_10749 Depth=3
	v_cmp_ne_u64_e32 vcc, 0, v[0:1]
                                        ; implicit-def: $vgpr6
	s_and_saveexec_b64 s[34:35], vcc
	s_xor_b64 vcc, exec, s[34:35]
; %bb.11623:                            ;   in Loop: Header=BB4_10749 Depth=3
	v_or_b32_sdwa v6, v2, s47 dst_sel:DWORD dst_unused:UNUSED_PAD src0_sel:BYTE_3 src1_sel:DWORD
                                        ; implicit-def: $vgpr2
; %bb.11624:                            ;   in Loop: Header=BB4_10749 Depth=3
	s_andn2_saveexec_b64 s[34:35], vcc
; %bb.11625:                            ;   in Loop: Header=BB4_10749 Depth=3
	v_cmp_lt_i32_e32 vcc, -1, v2
	v_cndmask_b32_e32 v6, -4, v52, vcc
; %bb.11626:                            ;   in Loop: Header=BB4_10749 Depth=3
	s_or_b64 exec, exec, s[34:35]
.LBB4_11627:                            ;   in Loop: Header=BB4_10749 Depth=3
	s_or_b64 exec, exec, s[28:29]
	v_and_b32_e32 v7, 0xff, v58
	v_cmp_ne_u16_e32 vcc, 0, v7
	v_mov_b32_e32 v0, 0
	v_mov_b32_e32 v1, 0
	s_and_saveexec_b64 s[28:29], vcc
	s_cbranch_execz .LBB4_11635
; %bb.11628:                            ;   in Loop: Header=BB4_10749 Depth=3
	v_cmp_ne_u16_e32 vcc, s96, v7
	v_bfrev_b32_e32 v1, 1
	s_and_saveexec_b64 s[34:35], vcc
	s_cbranch_execz .LBB4_11634
; %bb.11629:                            ;   in Loop: Header=BB4_10749 Depth=3
	v_and_b32_e32 v1, 0x7c, v58
	v_and_b32_e32 v2, 3, v58
	v_cmp_ne_u32_e32 vcc, s85, v1
                                        ; implicit-def: $vgpr1
	s_and_saveexec_b64 s[36:37], vcc
	s_xor_b64 s[36:37], exec, s[36:37]
	s_cbranch_execz .LBB4_11631
; %bb.11630:                            ;   in Loop: Header=BB4_10749 Depth=3
	v_bfe_u32 v1, v7, 2, 5
	v_ffbh_u32_e32 v7, v2
	v_min_u32_e32 v7, 32, v7
	v_mov_b32_e32 v59, v17
	v_subrev_u32_e32 v18, 29, v7
	v_lshlrev_b64 v[18:19], v18, v[58:59]
	v_sub_u32_e32 v7, 30, v7
	v_cmp_eq_u32_e32 vcc, 0, v1
	v_cndmask_b32_e32 v1, v1, v7, vcc
	v_lshlrev_b32_e32 v7, 24, v58
	v_and_b32_e32 v18, 3, v18
	v_and_b32_e32 v7, 0x80000000, v7
	v_cndmask_b32_e32 v2, v2, v18, vcc
	v_lshl_add_u32 v1, v1, 23, v7
	v_lshl_or_b32 v1, v2, 21, v1
	v_add_u32_e32 v1, 0x38000000, v1
                                        ; implicit-def: $vgpr2
                                        ; implicit-def: $vgpr58
.LBB4_11631:                            ;   in Loop: Header=BB4_10749 Depth=3
	s_andn2_saveexec_b64 s[36:37], s[36:37]
; %bb.11632:                            ;   in Loop: Header=BB4_10749 Depth=3
	v_mov_b32_e32 v1, -1
	v_cmp_gt_i16_sdwa vcc, sext(v58), v1 src0_sel:BYTE_0 src1_sel:DWORD
	v_mov_b32_e32 v1, 0xff800000
	v_mov_b32_e32 v7, 0x7f800000
	v_cndmask_b32_e32 v1, v1, v7, vcc
	v_cmp_eq_u32_e32 vcc, 0, v2
	v_mov_b32_e32 v2, 0x7f800001
	v_cndmask_b32_e32 v1, v2, v1, vcc
; %bb.11633:                            ;   in Loop: Header=BB4_10749 Depth=3
	s_or_b64 exec, exec, s[36:37]
.LBB4_11634:                            ;   in Loop: Header=BB4_10749 Depth=3
	s_or_b64 exec, exec, s[34:35]
.LBB4_11635:                            ;   in Loop: Header=BB4_10749 Depth=3
	s_or_b64 exec, exec, s[28:29]
	v_cmp_ne_u16_e32 vcc, 0, v26
	s_and_saveexec_b64 s[28:29], vcc
	s_cbranch_execz .LBB4_11643
; %bb.11636:                            ;   in Loop: Header=BB4_10749 Depth=3
	v_cmp_ne_u16_e32 vcc, s97, v26
	v_bfrev_b32_e32 v0, 1
	s_and_saveexec_b64 s[34:35], vcc
	s_cbranch_execz .LBB4_11642
; %bb.11637:                            ;   in Loop: Header=BB4_10749 Depth=3
	v_and_b32_e32 v0, 0x7c, v26
	v_and_b32_e32 v2, 3, v26
	v_cmp_ne_u32_e32 vcc, s85, v0
                                        ; implicit-def: $vgpr0
	s_and_saveexec_b64 s[36:37], vcc
	s_xor_b64 s[36:37], exec, s[36:37]
	s_cbranch_execz .LBB4_11639
; %bb.11638:                            ;   in Loop: Header=BB4_10749 Depth=3
	v_ffbh_u32_e32 v7, v2
	v_min_u32_e32 v7, 32, v7
	v_and_b32_e32 v0, 0xff, v26
	v_mov_b32_e32 v20, v27
	v_mov_b32_e32 v27, v17
	v_subrev_u32_e32 v18, 29, v7
	v_bfe_u32 v0, v0, 2, 5
	v_lshlrev_b64 v[18:19], v18, v[26:27]
	v_sub_u32_e32 v7, 30, v7
	v_cmp_eq_u32_e32 vcc, 0, v0
	v_and_b32_e32 v18, 3, v18
	v_cndmask_b32_e32 v0, v0, v7, vcc
	v_and_b32_sdwa v7, sext(v26), s86 dst_sel:DWORD dst_unused:UNUSED_PAD src0_sel:WORD_0 src1_sel:DWORD
	v_cndmask_b32_e32 v2, v2, v18, vcc
	v_lshl_add_u32 v0, v0, 23, v7
	v_lshl_or_b32 v0, v2, 21, v0
	v_mov_b32_e32 v27, v20
	v_add_u32_e32 v0, 0x38000000, v0
                                        ; implicit-def: $vgpr2
                                        ; implicit-def: $vgpr26
.LBB4_11639:                            ;   in Loop: Header=BB4_10749 Depth=3
	s_andn2_saveexec_b64 s[36:37], s[36:37]
; %bb.11640:                            ;   in Loop: Header=BB4_10749 Depth=3
	v_cmp_lt_i16_e32 vcc, -1, v26
	v_mov_b32_e32 v0, 0xff800000
	v_mov_b32_e32 v7, 0x7f800000
	v_cndmask_b32_e32 v0, v0, v7, vcc
	v_cmp_eq_u32_e32 vcc, 0, v2
	v_mov_b32_e32 v2, 0x7f800001
	v_cndmask_b32_e32 v0, v2, v0, vcc
; %bb.11641:                            ;   in Loop: Header=BB4_10749 Depth=3
	s_or_b64 exec, exec, s[36:37]
.LBB4_11642:                            ;   in Loop: Header=BB4_10749 Depth=3
	s_or_b64 exec, exec, s[34:35]
.LBB4_11643:                            ;   in Loop: Header=BB4_10749 Depth=3
	s_or_b64 exec, exec, s[28:29]
	v_add_f32_e32 v2, v1, v0
	v_and_b32_e32 v18, 0x7f800000, v2
	v_mov_b32_e32 v19, v17
	v_cmp_ne_u64_e32 vcc, s[76:77], v[18:19]
	v_and_b32_e32 v0, 0x7fffff, v2
	v_mov_b32_e32 v1, v17
                                        ; implicit-def: $vgpr7
	s_and_saveexec_b64 s[28:29], vcc
	s_xor_b64 s[34:35], exec, s[28:29]
	s_cbranch_execz .LBB4_11661
; %bb.11644:                            ;   in Loop: Header=BB4_10749 Depth=3
	v_and_b32_e32 v18, 0x7fffffff, v2
	v_mov_b32_e32 v19, v17
	v_cmp_gt_u64_e32 vcc, s[78:79], v[18:19]
	v_and_b32_sdwa v18, v2, s96 dst_sel:DWORD dst_unused:UNUSED_PAD src0_sel:BYTE_3 src1_sel:DWORD
                                        ; implicit-def: $vgpr7
	s_and_saveexec_b64 s[28:29], vcc
	s_xor_b64 s[36:37], exec, s[28:29]
	s_cbranch_execz .LBB4_11658
; %bb.11645:                            ;   in Loop: Header=BB4_10749 Depth=3
	v_cmp_ne_u32_e32 vcc, 0, v2
	v_mov_b32_e32 v7, 0
	s_and_saveexec_b64 s[38:39], vcc
	s_cbranch_execz .LBB4_11657
; %bb.11646:                            ;   in Loop: Header=BB4_10749 Depth=3
	v_bfe_u32 v7, v2, 23, 8
	v_cmp_gt_u32_e64 s[28:29], s46, v7
	v_sub_u32_e32 v2, 0x71, v7
	v_cmp_eq_u32_e32 vcc, 0, v7
	v_cndmask_b32_e64 v2, 0, v2, s[28:29]
	v_mov_b32_e32 v19, 0x70
	v_cndmask_b32_e32 v19, v2, v19, vcc
	v_or_b32_e32 v20, 0x800000, v0
	v_add_u32_e32 v2, 21, v19
	v_cndmask_b32_e32 v0, v20, v0, vcc
	v_lshlrev_b64 v[20:21], v2, -1
	v_add_u32_e32 v2, 20, v19
	v_bfi_b32 v20, v20, 0, v0
	v_lshlrev_b64 v[25:26], v2, 1
	v_lshrrev_b64 v[0:1], v19, v[0:1]
	v_bfi_b32 v21, v21, 0, 0
	v_cmp_eq_u64_e64 s[28:29], v[20:21], v[25:26]
	v_mov_b32_e32 v2, v1
	v_mov_b32_e32 v1, v0
	s_and_saveexec_b64 s[48:49], s[28:29]
; %bb.11647:                            ;   in Loop: Header=BB4_10749 Depth=3
	v_bfe_u32 v1, v0, 21, 1
	v_add_co_u32_e64 v1, s[28:29], v0, v1
	v_add_co_u32_e64 v1, s[28:29], -1, v1
; %bb.11648:                            ;   in Loop: Header=BB4_10749 Depth=3
	s_or_b64 exec, exec, s[48:49]
	v_add_u32_e32 v2, 0xffffff81, v7
	v_mov_b32_e32 v7, 0xffffff82
	v_cndmask_b32_e32 v2, v2, v7, vcc
	v_lshrrev_b32_e32 v7, 23, v0
	v_add3_u32 v19, v19, v2, v7
	v_add_u32_e32 v7, 14, v19
	v_and_b32_e32 v1, 0x1fffff, v1
	v_add_u32_e32 v0, v1, v0
	v_mov_b32_e32 v1, v17
	v_cmp_ne_u32_e32 vcc, 0, v7
                                        ; implicit-def: $vgpr2
	s_and_saveexec_b64 s[28:29], vcc
	s_xor_b64 s[28:29], exec, s[28:29]
; %bb.11649:                            ;   in Loop: Header=BB4_10749 Depth=3
	v_cmp_lt_u64_e32 vcc, s[88:89], v[0:1]
	v_add_u32_e32 v2, 15, v19
	v_cndmask_b32_e32 v2, v7, v2, vcc
	v_cndmask_b32_e64 v7, 0, 1, vcc
	v_lshrrev_b64 v[0:1], v7, v[0:1]
; %bb.11650:                            ;   in Loop: Header=BB4_10749 Depth=3
	s_andn2_saveexec_b64 s[28:29], s[28:29]
; %bb.11651:                            ;   in Loop: Header=BB4_10749 Depth=3
	v_bfe_u32 v2, v0, 23, 1
; %bb.11652:                            ;   in Loop: Header=BB4_10749 Depth=3
	s_or_b64 exec, exec, s[28:29]
	v_lshrrev_b64 v[0:1], 21, v[0:1]
	v_cmp_gt_i32_e32 vcc, 32, v2
	v_cndmask_b32_e32 v1, 0, v1, vcc
	v_cndmask_b32_e32 v0, 3, v0, vcc
	v_cmp_ne_u64_e32 vcc, 0, v[0:1]
	v_cmp_ne_u32_e64 s[28:29], 0, v2
	s_or_b64 s[28:29], s[28:29], vcc
                                        ; implicit-def: $vgpr7
	s_and_saveexec_b64 vcc, s[28:29]
	s_xor_b64 s[28:29], exec, vcc
; %bb.11653:                            ;   in Loop: Header=BB4_10749 Depth=3
	v_min_i32_e32 v1, 31, v2
	v_lshl_or_b32 v1, v1, 2, v18
	v_and_or_b32 v7, v0, 3, v1
                                        ; implicit-def: $vgpr18
; %bb.11654:                            ;   in Loop: Header=BB4_10749 Depth=3
	s_andn2_saveexec_b64 s[28:29], s[28:29]
; %bb.11655:                            ;   in Loop: Header=BB4_10749 Depth=3
	v_mov_b32_e32 v7, v18
; %bb.11656:                            ;   in Loop: Header=BB4_10749 Depth=3
	s_or_b64 exec, exec, s[28:29]
.LBB4_11657:                            ;   in Loop: Header=BB4_10749 Depth=3
	s_or_b64 exec, exec, s[38:39]
                                        ; implicit-def: $vgpr18
.LBB4_11658:                            ;   in Loop: Header=BB4_10749 Depth=3
	s_andn2_saveexec_b64 s[28:29], s[36:37]
; %bb.11659:                            ;   in Loop: Header=BB4_10749 Depth=3
	v_or_b32_e32 v7, 0x7b, v18
; %bb.11660:                            ;   in Loop: Header=BB4_10749 Depth=3
	s_or_b64 exec, exec, s[28:29]
                                        ; implicit-def: $vgpr2
                                        ; implicit-def: $vgpr0_vgpr1
.LBB4_11661:                            ;   in Loop: Header=BB4_10749 Depth=3
	s_andn2_saveexec_b64 s[28:29], s[34:35]
	s_cbranch_execz .LBB4_11667
; %bb.11662:                            ;   in Loop: Header=BB4_10749 Depth=3
	v_cmp_ne_u64_e32 vcc, 0, v[0:1]
                                        ; implicit-def: $vgpr7
	s_and_saveexec_b64 s[34:35], vcc
	s_xor_b64 vcc, exec, s[34:35]
; %bb.11663:                            ;   in Loop: Header=BB4_10749 Depth=3
	v_or_b32_sdwa v7, v2, s47 dst_sel:DWORD dst_unused:UNUSED_PAD src0_sel:BYTE_3 src1_sel:DWORD
                                        ; implicit-def: $vgpr2
; %bb.11664:                            ;   in Loop: Header=BB4_10749 Depth=3
	s_andn2_saveexec_b64 s[34:35], vcc
; %bb.11665:                            ;   in Loop: Header=BB4_10749 Depth=3
	v_cmp_lt_i32_e32 vcc, -1, v2
	v_cndmask_b32_e32 v7, -4, v52, vcc
; %bb.11666:                            ;   in Loop: Header=BB4_10749 Depth=3
	s_or_b64 exec, exec, s[34:35]
.LBB4_11667:                            ;   in Loop: Header=BB4_10749 Depth=3
	s_or_b64 exec, exec, s[28:29]
	v_and_b32_e32 v18, 0xff, v57
	v_cmp_ne_u16_e32 vcc, 0, v18
	v_mov_b32_e32 v0, 0
	v_mov_b32_e32 v1, 0
	s_and_saveexec_b64 s[28:29], vcc
	s_cbranch_execz .LBB4_11675
; %bb.11668:                            ;   in Loop: Header=BB4_10749 Depth=3
	v_cmp_ne_u16_e32 vcc, s96, v18
	v_bfrev_b32_e32 v1, 1
	s_and_saveexec_b64 s[34:35], vcc
	s_cbranch_execz .LBB4_11674
; %bb.11669:                            ;   in Loop: Header=BB4_10749 Depth=3
	v_and_b32_e32 v1, 0x7c, v57
	v_and_b32_e32 v2, 3, v57
	v_cmp_ne_u32_e32 vcc, s85, v1
                                        ; implicit-def: $vgpr1
	s_and_saveexec_b64 s[36:37], vcc
	s_xor_b64 s[36:37], exec, s[36:37]
	s_cbranch_execz .LBB4_11671
; %bb.11670:                            ;   in Loop: Header=BB4_10749 Depth=3
	v_bfe_u32 v1, v18, 2, 5
	v_ffbh_u32_e32 v18, v2
	v_min_u32_e32 v20, 32, v18
	v_mov_b32_e32 v58, v17
	v_subrev_u32_e32 v18, 29, v20
	v_lshlrev_b64 v[18:19], v18, v[57:58]
	v_cmp_eq_u32_e32 vcc, 0, v1
	v_and_b32_e32 v18, 3, v18
	v_sub_u32_e32 v19, 30, v20
	v_cndmask_b32_e32 v2, v2, v18, vcc
	v_lshlrev_b32_e32 v18, 24, v57
	v_cndmask_b32_e32 v1, v1, v19, vcc
	v_and_b32_e32 v18, 0x80000000, v18
	v_lshl_add_u32 v1, v1, 23, v18
	v_lshl_or_b32 v1, v2, 21, v1
	v_add_u32_e32 v1, 0x38000000, v1
                                        ; implicit-def: $vgpr2
                                        ; implicit-def: $vgpr57
.LBB4_11671:                            ;   in Loop: Header=BB4_10749 Depth=3
	s_andn2_saveexec_b64 s[36:37], s[36:37]
; %bb.11672:                            ;   in Loop: Header=BB4_10749 Depth=3
	v_mov_b32_e32 v1, -1
	v_cmp_gt_i16_sdwa vcc, sext(v57), v1 src0_sel:BYTE_0 src1_sel:DWORD
	v_mov_b32_e32 v1, 0xff800000
	v_mov_b32_e32 v18, 0x7f800000
	v_cndmask_b32_e32 v1, v1, v18, vcc
	v_cmp_eq_u32_e32 vcc, 0, v2
	v_mov_b32_e32 v2, 0x7f800001
	v_cndmask_b32_e32 v1, v2, v1, vcc
; %bb.11673:                            ;   in Loop: Header=BB4_10749 Depth=3
	s_or_b64 exec, exec, s[36:37]
.LBB4_11674:                            ;   in Loop: Header=BB4_10749 Depth=3
	s_or_b64 exec, exec, s[34:35]
.LBB4_11675:                            ;   in Loop: Header=BB4_10749 Depth=3
	s_or_b64 exec, exec, s[28:29]
	v_cmp_ne_u16_e32 vcc, 0, v38
	s_and_saveexec_b64 s[28:29], vcc
	s_cbranch_execz .LBB4_11683
; %bb.11676:                            ;   in Loop: Header=BB4_10749 Depth=3
	v_cmp_ne_u16_e32 vcc, s97, v38
	v_bfrev_b32_e32 v0, 1
	s_and_saveexec_b64 s[34:35], vcc
	s_cbranch_execz .LBB4_11682
; %bb.11677:                            ;   in Loop: Header=BB4_10749 Depth=3
	v_and_b32_e32 v0, 0x7c, v38
	v_and_b32_e32 v2, 3, v38
	v_cmp_ne_u32_e32 vcc, s85, v0
                                        ; implicit-def: $vgpr0
	s_and_saveexec_b64 s[36:37], vcc
	s_xor_b64 s[36:37], exec, s[36:37]
	s_cbranch_execz .LBB4_11679
; %bb.11678:                            ;   in Loop: Header=BB4_10749 Depth=3
	v_ffbh_u32_e32 v18, v2
	v_min_u32_e32 v20, 32, v18
	v_mov_b32_e32 v39, v17
	v_subrev_u32_e32 v18, 29, v20
	v_and_b32_e32 v0, 0xff, v38
	v_lshlrev_b64 v[18:19], v18, v[38:39]
	v_bfe_u32 v0, v0, 2, 5
	v_sub_u32_e32 v19, 30, v20
	v_and_b32_e32 v18, 3, v18
	v_cmp_eq_u32_e32 vcc, 0, v0
	v_cndmask_b32_e32 v0, v0, v19, vcc
	v_cndmask_b32_e32 v2, v2, v18, vcc
	v_and_b32_sdwa v18, sext(v38), s86 dst_sel:DWORD dst_unused:UNUSED_PAD src0_sel:WORD_0 src1_sel:DWORD
	v_lshl_add_u32 v0, v0, 23, v18
	v_lshl_or_b32 v0, v2, 21, v0
	v_add_u32_e32 v0, 0x38000000, v0
                                        ; implicit-def: $vgpr2
                                        ; implicit-def: $vgpr38
.LBB4_11679:                            ;   in Loop: Header=BB4_10749 Depth=3
	s_andn2_saveexec_b64 s[36:37], s[36:37]
; %bb.11680:                            ;   in Loop: Header=BB4_10749 Depth=3
	v_cmp_lt_i16_e32 vcc, -1, v38
	v_mov_b32_e32 v0, 0xff800000
	v_mov_b32_e32 v18, 0x7f800000
	v_cndmask_b32_e32 v0, v0, v18, vcc
	v_cmp_eq_u32_e32 vcc, 0, v2
	v_mov_b32_e32 v2, 0x7f800001
	v_cndmask_b32_e32 v0, v2, v0, vcc
; %bb.11681:                            ;   in Loop: Header=BB4_10749 Depth=3
	s_or_b64 exec, exec, s[36:37]
.LBB4_11682:                            ;   in Loop: Header=BB4_10749 Depth=3
	s_or_b64 exec, exec, s[34:35]
.LBB4_11683:                            ;   in Loop: Header=BB4_10749 Depth=3
	s_or_b64 exec, exec, s[28:29]
	v_add_f32_e32 v2, v1, v0
	v_and_b32_e32 v18, 0x7f800000, v2
	v_mov_b32_e32 v19, v17
	v_cmp_ne_u64_e32 vcc, s[76:77], v[18:19]
	v_and_b32_e32 v0, 0x7fffff, v2
	v_mov_b32_e32 v1, v17
                                        ; implicit-def: $vgpr18
	s_and_saveexec_b64 s[28:29], vcc
	s_xor_b64 s[34:35], exec, s[28:29]
	s_cbranch_execz .LBB4_11701
; %bb.11684:                            ;   in Loop: Header=BB4_10749 Depth=3
	v_and_b32_e32 v18, 0x7fffffff, v2
	v_mov_b32_e32 v19, v17
	v_cmp_gt_u64_e32 vcc, s[78:79], v[18:19]
	v_and_b32_sdwa v19, v2, s96 dst_sel:DWORD dst_unused:UNUSED_PAD src0_sel:BYTE_3 src1_sel:DWORD
                                        ; implicit-def: $vgpr18
	s_and_saveexec_b64 s[28:29], vcc
	s_xor_b64 s[36:37], exec, s[28:29]
	s_cbranch_execz .LBB4_11698
; %bb.11685:                            ;   in Loop: Header=BB4_10749 Depth=3
	v_cmp_ne_u32_e32 vcc, 0, v2
	v_mov_b32_e32 v18, 0
	s_and_saveexec_b64 s[38:39], vcc
	s_cbranch_execz .LBB4_11697
; %bb.11686:                            ;   in Loop: Header=BB4_10749 Depth=3
	v_bfe_u32 v18, v2, 23, 8
	v_cmp_gt_u32_e64 s[28:29], s46, v18
	v_sub_u32_e32 v2, 0x71, v18
	v_cmp_eq_u32_e32 vcc, 0, v18
	v_cndmask_b32_e64 v2, 0, v2, s[28:29]
	v_mov_b32_e32 v20, 0x70
	v_cndmask_b32_e32 v20, v2, v20, vcc
	v_add_u32_e32 v2, 21, v20
	v_or_b32_e32 v21, 0x800000, v0
	v_lshlrev_b64 v[25:26], v2, -1
	v_cndmask_b32_e32 v0, v21, v0, vcc
	v_add_u32_e32 v2, 20, v20
	v_bfi_b32 v25, v25, 0, v0
	v_lshlrev_b64 v[30:31], v2, 1
	v_lshrrev_b64 v[0:1], v20, v[0:1]
	v_bfi_b32 v26, v26, 0, 0
	v_cmp_eq_u64_e64 s[28:29], v[25:26], v[30:31]
	v_mov_b32_e32 v2, v1
	v_mov_b32_e32 v1, v0
	s_and_saveexec_b64 s[48:49], s[28:29]
; %bb.11687:                            ;   in Loop: Header=BB4_10749 Depth=3
	v_bfe_u32 v1, v0, 21, 1
	v_add_co_u32_e64 v1, s[28:29], v0, v1
	v_add_co_u32_e64 v1, s[28:29], -1, v1
; %bb.11688:                            ;   in Loop: Header=BB4_10749 Depth=3
	s_or_b64 exec, exec, s[48:49]
	v_add_u32_e32 v2, 0xffffff81, v18
	v_mov_b32_e32 v18, 0xffffff82
	v_cndmask_b32_e32 v2, v2, v18, vcc
	v_lshrrev_b32_e32 v18, 23, v0
	v_add3_u32 v20, v20, v2, v18
	v_add_u32_e32 v18, 14, v20
	v_and_b32_e32 v1, 0x1fffff, v1
	v_add_u32_e32 v0, v1, v0
	v_mov_b32_e32 v1, v17
	v_cmp_ne_u32_e32 vcc, 0, v18
                                        ; implicit-def: $vgpr2
	s_and_saveexec_b64 s[28:29], vcc
	s_xor_b64 s[28:29], exec, s[28:29]
; %bb.11689:                            ;   in Loop: Header=BB4_10749 Depth=3
	v_cmp_lt_u64_e32 vcc, s[88:89], v[0:1]
	v_add_u32_e32 v2, 15, v20
	v_cndmask_b32_e32 v2, v18, v2, vcc
	v_cndmask_b32_e64 v18, 0, 1, vcc
	v_lshrrev_b64 v[0:1], v18, v[0:1]
; %bb.11690:                            ;   in Loop: Header=BB4_10749 Depth=3
	s_andn2_saveexec_b64 s[28:29], s[28:29]
; %bb.11691:                            ;   in Loop: Header=BB4_10749 Depth=3
	v_bfe_u32 v2, v0, 23, 1
; %bb.11692:                            ;   in Loop: Header=BB4_10749 Depth=3
	s_or_b64 exec, exec, s[28:29]
	v_lshrrev_b64 v[0:1], 21, v[0:1]
	v_cmp_gt_i32_e32 vcc, 32, v2
	v_cndmask_b32_e32 v1, 0, v1, vcc
	v_cndmask_b32_e32 v0, 3, v0, vcc
	v_cmp_ne_u64_e32 vcc, 0, v[0:1]
	v_cmp_ne_u32_e64 s[28:29], 0, v2
	s_or_b64 s[28:29], s[28:29], vcc
                                        ; implicit-def: $vgpr18
	s_and_saveexec_b64 vcc, s[28:29]
	s_xor_b64 s[28:29], exec, vcc
; %bb.11693:                            ;   in Loop: Header=BB4_10749 Depth=3
	v_min_i32_e32 v1, 31, v2
	v_lshl_or_b32 v1, v1, 2, v19
	v_and_or_b32 v18, v0, 3, v1
                                        ; implicit-def: $vgpr19
; %bb.11694:                            ;   in Loop: Header=BB4_10749 Depth=3
	s_andn2_saveexec_b64 s[28:29], s[28:29]
; %bb.11695:                            ;   in Loop: Header=BB4_10749 Depth=3
	v_mov_b32_e32 v18, v19
; %bb.11696:                            ;   in Loop: Header=BB4_10749 Depth=3
	s_or_b64 exec, exec, s[28:29]
.LBB4_11697:                            ;   in Loop: Header=BB4_10749 Depth=3
	s_or_b64 exec, exec, s[38:39]
                                        ; implicit-def: $vgpr19
.LBB4_11698:                            ;   in Loop: Header=BB4_10749 Depth=3
	s_andn2_saveexec_b64 s[28:29], s[36:37]
; %bb.11699:                            ;   in Loop: Header=BB4_10749 Depth=3
	v_or_b32_e32 v18, 0x7b, v19
; %bb.11700:                            ;   in Loop: Header=BB4_10749 Depth=3
	s_or_b64 exec, exec, s[28:29]
                                        ; implicit-def: $vgpr2
                                        ; implicit-def: $vgpr0_vgpr1
.LBB4_11701:                            ;   in Loop: Header=BB4_10749 Depth=3
	s_andn2_saveexec_b64 s[28:29], s[34:35]
	s_cbranch_execz .LBB4_11707
; %bb.11702:                            ;   in Loop: Header=BB4_10749 Depth=3
	v_cmp_ne_u64_e32 vcc, 0, v[0:1]
                                        ; implicit-def: $vgpr18
	s_and_saveexec_b64 s[34:35], vcc
	s_xor_b64 vcc, exec, s[34:35]
; %bb.11703:                            ;   in Loop: Header=BB4_10749 Depth=3
	v_or_b32_sdwa v18, v2, s47 dst_sel:DWORD dst_unused:UNUSED_PAD src0_sel:BYTE_3 src1_sel:DWORD
                                        ; implicit-def: $vgpr2
; %bb.11704:                            ;   in Loop: Header=BB4_10749 Depth=3
	s_andn2_saveexec_b64 s[34:35], vcc
; %bb.11705:                            ;   in Loop: Header=BB4_10749 Depth=3
	v_cmp_lt_i32_e32 vcc, -1, v2
	v_cndmask_b32_e32 v18, -4, v52, vcc
; %bb.11706:                            ;   in Loop: Header=BB4_10749 Depth=3
	s_or_b64 exec, exec, s[34:35]
.LBB4_11707:                            ;   in Loop: Header=BB4_10749 Depth=3
	s_or_b64 exec, exec, s[28:29]
	v_and_b32_e32 v19, 0xff, v56
	v_cmp_ne_u16_e32 vcc, 0, v19
	v_mov_b32_e32 v0, 0
	v_mov_b32_e32 v1, 0
	s_and_saveexec_b64 s[28:29], vcc
	s_cbranch_execz .LBB4_11715
; %bb.11708:                            ;   in Loop: Header=BB4_10749 Depth=3
	v_cmp_ne_u16_e32 vcc, s96, v19
	v_bfrev_b32_e32 v1, 1
	s_and_saveexec_b64 s[34:35], vcc
	s_cbranch_execz .LBB4_11714
; %bb.11709:                            ;   in Loop: Header=BB4_10749 Depth=3
	v_and_b32_e32 v1, 0x7c, v56
	v_and_b32_e32 v2, 3, v56
	v_cmp_ne_u32_e32 vcc, s85, v1
                                        ; implicit-def: $vgpr1
	s_and_saveexec_b64 s[36:37], vcc
	s_xor_b64 s[36:37], exec, s[36:37]
	s_cbranch_execz .LBB4_11711
; %bb.11710:                            ;   in Loop: Header=BB4_10749 Depth=3
	v_bfe_u32 v1, v19, 2, 5
	v_ffbh_u32_e32 v19, v2
	v_min_u32_e32 v21, 32, v19
	v_mov_b32_e32 v57, v17
	v_subrev_u32_e32 v19, 29, v21
	v_lshlrev_b64 v[19:20], v19, v[56:57]
	v_cmp_eq_u32_e32 vcc, 0, v1
	v_and_b32_e32 v19, 3, v19
	v_sub_u32_e32 v20, 30, v21
	v_cndmask_b32_e32 v2, v2, v19, vcc
	v_lshlrev_b32_e32 v19, 24, v56
	v_cndmask_b32_e32 v1, v1, v20, vcc
	v_and_b32_e32 v19, 0x80000000, v19
	v_lshl_add_u32 v1, v1, 23, v19
	v_lshl_or_b32 v1, v2, 21, v1
	v_add_u32_e32 v1, 0x38000000, v1
                                        ; implicit-def: $vgpr2
                                        ; implicit-def: $vgpr56
.LBB4_11711:                            ;   in Loop: Header=BB4_10749 Depth=3
	s_andn2_saveexec_b64 s[36:37], s[36:37]
; %bb.11712:                            ;   in Loop: Header=BB4_10749 Depth=3
	v_mov_b32_e32 v1, -1
	v_cmp_gt_i16_sdwa vcc, sext(v56), v1 src0_sel:BYTE_0 src1_sel:DWORD
	v_mov_b32_e32 v1, 0xff800000
	v_mov_b32_e32 v19, 0x7f800000
	v_cndmask_b32_e32 v1, v1, v19, vcc
	v_cmp_eq_u32_e32 vcc, 0, v2
	v_mov_b32_e32 v2, 0x7f800001
	v_cndmask_b32_e32 v1, v2, v1, vcc
; %bb.11713:                            ;   in Loop: Header=BB4_10749 Depth=3
	s_or_b64 exec, exec, s[36:37]
.LBB4_11714:                            ;   in Loop: Header=BB4_10749 Depth=3
	s_or_b64 exec, exec, s[34:35]
.LBB4_11715:                            ;   in Loop: Header=BB4_10749 Depth=3
	s_or_b64 exec, exec, s[28:29]
	v_cmp_ne_u16_e32 vcc, 0, v35
	s_and_saveexec_b64 s[28:29], vcc
	s_cbranch_execz .LBB4_11723
; %bb.11716:                            ;   in Loop: Header=BB4_10749 Depth=3
	v_cmp_ne_u16_e32 vcc, s97, v35
	v_bfrev_b32_e32 v0, 1
	s_and_saveexec_b64 s[34:35], vcc
	s_cbranch_execz .LBB4_11722
; %bb.11717:                            ;   in Loop: Header=BB4_10749 Depth=3
	v_and_b32_e32 v0, 0x7c, v35
	v_and_b32_e32 v2, 3, v35
	v_cmp_ne_u32_e32 vcc, s85, v0
                                        ; implicit-def: $vgpr0
	s_and_saveexec_b64 s[36:37], vcc
	s_xor_b64 s[36:37], exec, s[36:37]
	s_cbranch_execz .LBB4_11719
; %bb.11718:                            ;   in Loop: Header=BB4_10749 Depth=3
	v_ffbh_u32_e32 v19, v2
	v_min_u32_e32 v21, 32, v19
	v_mov_b32_e32 v36, v17
	v_subrev_u32_e32 v19, 29, v21
	v_and_b32_e32 v0, 0xff, v35
	v_lshlrev_b64 v[19:20], v19, v[35:36]
	v_bfe_u32 v0, v0, 2, 5
	v_sub_u32_e32 v20, 30, v21
	v_and_b32_e32 v19, 3, v19
	v_cmp_eq_u32_e32 vcc, 0, v0
	v_cndmask_b32_e32 v0, v0, v20, vcc
	v_cndmask_b32_e32 v2, v2, v19, vcc
	v_and_b32_sdwa v19, sext(v35), s86 dst_sel:DWORD dst_unused:UNUSED_PAD src0_sel:WORD_0 src1_sel:DWORD
	v_lshl_add_u32 v0, v0, 23, v19
	v_lshl_or_b32 v0, v2, 21, v0
	v_add_u32_e32 v0, 0x38000000, v0
                                        ; implicit-def: $vgpr2
                                        ; implicit-def: $vgpr35
.LBB4_11719:                            ;   in Loop: Header=BB4_10749 Depth=3
	s_andn2_saveexec_b64 s[36:37], s[36:37]
; %bb.11720:                            ;   in Loop: Header=BB4_10749 Depth=3
	v_cmp_lt_i16_e32 vcc, -1, v35
	v_mov_b32_e32 v0, 0xff800000
	v_mov_b32_e32 v19, 0x7f800000
	v_cndmask_b32_e32 v0, v0, v19, vcc
	v_cmp_eq_u32_e32 vcc, 0, v2
	v_mov_b32_e32 v2, 0x7f800001
	v_cndmask_b32_e32 v0, v2, v0, vcc
; %bb.11721:                            ;   in Loop: Header=BB4_10749 Depth=3
	s_or_b64 exec, exec, s[36:37]
.LBB4_11722:                            ;   in Loop: Header=BB4_10749 Depth=3
	s_or_b64 exec, exec, s[34:35]
.LBB4_11723:                            ;   in Loop: Header=BB4_10749 Depth=3
	s_or_b64 exec, exec, s[28:29]
	v_add_f32_e32 v2, v1, v0
	v_and_b32_e32 v19, 0x7f800000, v2
	v_mov_b32_e32 v20, v17
	v_cmp_ne_u64_e32 vcc, s[76:77], v[19:20]
	v_and_b32_e32 v0, 0x7fffff, v2
	v_mov_b32_e32 v1, v17
                                        ; implicit-def: $vgpr19
	s_and_saveexec_b64 s[28:29], vcc
	s_xor_b64 s[34:35], exec, s[28:29]
	s_cbranch_execz .LBB4_11741
; %bb.11724:                            ;   in Loop: Header=BB4_10749 Depth=3
	v_and_b32_e32 v19, 0x7fffffff, v2
	v_mov_b32_e32 v20, v17
	v_cmp_gt_u64_e32 vcc, s[78:79], v[19:20]
	v_and_b32_sdwa v20, v2, s96 dst_sel:DWORD dst_unused:UNUSED_PAD src0_sel:BYTE_3 src1_sel:DWORD
                                        ; implicit-def: $vgpr19
	s_and_saveexec_b64 s[28:29], vcc
	s_xor_b64 s[36:37], exec, s[28:29]
	s_cbranch_execz .LBB4_11738
; %bb.11725:                            ;   in Loop: Header=BB4_10749 Depth=3
	v_cmp_ne_u32_e32 vcc, 0, v2
	v_mov_b32_e32 v19, 0
	s_and_saveexec_b64 s[38:39], vcc
	s_cbranch_execz .LBB4_11737
; %bb.11726:                            ;   in Loop: Header=BB4_10749 Depth=3
	v_bfe_u32 v19, v2, 23, 8
	v_cmp_gt_u32_e64 s[28:29], s46, v19
	v_sub_u32_e32 v2, 0x71, v19
	v_cmp_eq_u32_e32 vcc, 0, v19
	v_cndmask_b32_e64 v2, 0, v2, s[28:29]
	v_mov_b32_e32 v21, 0x70
	v_cndmask_b32_e32 v21, v2, v21, vcc
	v_or_b32_e32 v25, 0x800000, v0
	v_add_u32_e32 v2, 21, v21
	v_cndmask_b32_e32 v0, v25, v0, vcc
	v_lshlrev_b64 v[25:26], v2, -1
	v_add_u32_e32 v2, 20, v21
	v_bfi_b32 v25, v25, 0, v0
	v_lshlrev_b64 v[30:31], v2, 1
	v_lshrrev_b64 v[0:1], v21, v[0:1]
	v_bfi_b32 v26, v26, 0, 0
	v_cmp_eq_u64_e64 s[28:29], v[25:26], v[30:31]
	v_mov_b32_e32 v2, v1
	v_mov_b32_e32 v1, v0
	s_and_saveexec_b64 s[48:49], s[28:29]
; %bb.11727:                            ;   in Loop: Header=BB4_10749 Depth=3
	v_bfe_u32 v1, v0, 21, 1
	v_add_co_u32_e64 v1, s[28:29], v0, v1
	v_add_co_u32_e64 v1, s[28:29], -1, v1
; %bb.11728:                            ;   in Loop: Header=BB4_10749 Depth=3
	s_or_b64 exec, exec, s[48:49]
	v_add_u32_e32 v2, 0xffffff81, v19
	v_mov_b32_e32 v19, 0xffffff82
	v_cndmask_b32_e32 v2, v2, v19, vcc
	v_lshrrev_b32_e32 v19, 23, v0
	v_add3_u32 v21, v21, v2, v19
	v_add_u32_e32 v19, 14, v21
	v_and_b32_e32 v1, 0x1fffff, v1
	v_add_u32_e32 v0, v1, v0
	v_mov_b32_e32 v1, v17
	v_cmp_ne_u32_e32 vcc, 0, v19
                                        ; implicit-def: $vgpr2
	s_and_saveexec_b64 s[28:29], vcc
	s_xor_b64 s[28:29], exec, s[28:29]
; %bb.11729:                            ;   in Loop: Header=BB4_10749 Depth=3
	v_cmp_lt_u64_e32 vcc, s[88:89], v[0:1]
	v_add_u32_e32 v2, 15, v21
	v_cndmask_b32_e32 v2, v19, v2, vcc
	v_cndmask_b32_e64 v19, 0, 1, vcc
	v_lshrrev_b64 v[0:1], v19, v[0:1]
; %bb.11730:                            ;   in Loop: Header=BB4_10749 Depth=3
	s_andn2_saveexec_b64 s[28:29], s[28:29]
; %bb.11731:                            ;   in Loop: Header=BB4_10749 Depth=3
	v_bfe_u32 v2, v0, 23, 1
; %bb.11732:                            ;   in Loop: Header=BB4_10749 Depth=3
	s_or_b64 exec, exec, s[28:29]
	v_lshrrev_b64 v[0:1], 21, v[0:1]
	v_cmp_gt_i32_e32 vcc, 32, v2
	v_cndmask_b32_e32 v1, 0, v1, vcc
	v_cndmask_b32_e32 v0, 3, v0, vcc
	v_cmp_ne_u64_e32 vcc, 0, v[0:1]
	v_cmp_ne_u32_e64 s[28:29], 0, v2
	s_or_b64 s[28:29], s[28:29], vcc
                                        ; implicit-def: $vgpr19
	s_and_saveexec_b64 vcc, s[28:29]
	s_xor_b64 s[28:29], exec, vcc
; %bb.11733:                            ;   in Loop: Header=BB4_10749 Depth=3
	v_min_i32_e32 v1, 31, v2
	v_lshl_or_b32 v1, v1, 2, v20
	v_and_or_b32 v19, v0, 3, v1
                                        ; implicit-def: $vgpr20
; %bb.11734:                            ;   in Loop: Header=BB4_10749 Depth=3
	s_andn2_saveexec_b64 s[28:29], s[28:29]
; %bb.11735:                            ;   in Loop: Header=BB4_10749 Depth=3
	v_mov_b32_e32 v19, v20
; %bb.11736:                            ;   in Loop: Header=BB4_10749 Depth=3
	s_or_b64 exec, exec, s[28:29]
.LBB4_11737:                            ;   in Loop: Header=BB4_10749 Depth=3
	s_or_b64 exec, exec, s[38:39]
                                        ; implicit-def: $vgpr20
.LBB4_11738:                            ;   in Loop: Header=BB4_10749 Depth=3
	s_andn2_saveexec_b64 s[28:29], s[36:37]
; %bb.11739:                            ;   in Loop: Header=BB4_10749 Depth=3
	v_or_b32_e32 v19, 0x7b, v20
; %bb.11740:                            ;   in Loop: Header=BB4_10749 Depth=3
	s_or_b64 exec, exec, s[28:29]
                                        ; implicit-def: $vgpr2
                                        ; implicit-def: $vgpr0_vgpr1
.LBB4_11741:                            ;   in Loop: Header=BB4_10749 Depth=3
	s_andn2_saveexec_b64 s[28:29], s[34:35]
	s_cbranch_execz .LBB4_11747
; %bb.11742:                            ;   in Loop: Header=BB4_10749 Depth=3
	v_cmp_ne_u64_e32 vcc, 0, v[0:1]
                                        ; implicit-def: $vgpr19
	s_and_saveexec_b64 s[34:35], vcc
	s_xor_b64 vcc, exec, s[34:35]
; %bb.11743:                            ;   in Loop: Header=BB4_10749 Depth=3
	v_or_b32_sdwa v19, v2, s47 dst_sel:DWORD dst_unused:UNUSED_PAD src0_sel:BYTE_3 src1_sel:DWORD
                                        ; implicit-def: $vgpr2
; %bb.11744:                            ;   in Loop: Header=BB4_10749 Depth=3
	s_andn2_saveexec_b64 s[34:35], vcc
; %bb.11745:                            ;   in Loop: Header=BB4_10749 Depth=3
	v_cmp_lt_i32_e32 vcc, -1, v2
	v_cndmask_b32_e32 v19, -4, v52, vcc
; %bb.11746:                            ;   in Loop: Header=BB4_10749 Depth=3
	s_or_b64 exec, exec, s[34:35]
.LBB4_11747:                            ;   in Loop: Header=BB4_10749 Depth=3
	s_or_b64 exec, exec, s[28:29]
	v_and_b32_e32 v20, 0xff, v55
	v_cmp_ne_u16_e32 vcc, 0, v20
	v_mov_b32_e32 v0, 0
	v_mov_b32_e32 v1, 0
	s_and_saveexec_b64 s[28:29], vcc
	s_cbranch_execz .LBB4_11755
; %bb.11748:                            ;   in Loop: Header=BB4_10749 Depth=3
	v_cmp_ne_u16_e32 vcc, s96, v20
	v_bfrev_b32_e32 v1, 1
	s_and_saveexec_b64 s[34:35], vcc
	s_cbranch_execz .LBB4_11754
; %bb.11749:                            ;   in Loop: Header=BB4_10749 Depth=3
	v_and_b32_e32 v1, 0x7c, v55
	v_and_b32_e32 v2, 3, v55
	v_cmp_ne_u32_e32 vcc, s85, v1
                                        ; implicit-def: $vgpr1
	s_and_saveexec_b64 s[36:37], vcc
	s_xor_b64 s[36:37], exec, s[36:37]
	s_cbranch_execz .LBB4_11751
; %bb.11750:                            ;   in Loop: Header=BB4_10749 Depth=3
	v_bfe_u32 v1, v20, 2, 5
	v_ffbh_u32_e32 v20, v2
	v_min_u32_e32 v25, 32, v20
	v_mov_b32_e32 v56, v17
	v_subrev_u32_e32 v20, 29, v25
	v_lshlrev_b64 v[20:21], v20, v[55:56]
	v_cmp_eq_u32_e32 vcc, 0, v1
	v_and_b32_e32 v20, 3, v20
	v_sub_u32_e32 v21, 30, v25
	v_cndmask_b32_e32 v2, v2, v20, vcc
	v_lshlrev_b32_e32 v20, 24, v55
	v_cndmask_b32_e32 v1, v1, v21, vcc
	v_and_b32_e32 v20, 0x80000000, v20
	v_lshl_add_u32 v1, v1, 23, v20
	v_lshl_or_b32 v1, v2, 21, v1
	v_add_u32_e32 v1, 0x38000000, v1
                                        ; implicit-def: $vgpr2
                                        ; implicit-def: $vgpr55
.LBB4_11751:                            ;   in Loop: Header=BB4_10749 Depth=3
	s_andn2_saveexec_b64 s[36:37], s[36:37]
; %bb.11752:                            ;   in Loop: Header=BB4_10749 Depth=3
	v_mov_b32_e32 v1, -1
	v_cmp_gt_i16_sdwa vcc, sext(v55), v1 src0_sel:BYTE_0 src1_sel:DWORD
	v_mov_b32_e32 v1, 0xff800000
	v_mov_b32_e32 v20, 0x7f800000
	v_cndmask_b32_e32 v1, v1, v20, vcc
	v_cmp_eq_u32_e32 vcc, 0, v2
	v_mov_b32_e32 v2, 0x7f800001
	v_cndmask_b32_e32 v1, v2, v1, vcc
; %bb.11753:                            ;   in Loop: Header=BB4_10749 Depth=3
	s_or_b64 exec, exec, s[36:37]
.LBB4_11754:                            ;   in Loop: Header=BB4_10749 Depth=3
	s_or_b64 exec, exec, s[34:35]
.LBB4_11755:                            ;   in Loop: Header=BB4_10749 Depth=3
	s_or_b64 exec, exec, s[28:29]
	v_cmp_ne_u16_e32 vcc, 0, v40
	s_and_saveexec_b64 s[28:29], vcc
	s_cbranch_execz .LBB4_11763
; %bb.11756:                            ;   in Loop: Header=BB4_10749 Depth=3
	v_cmp_ne_u16_e32 vcc, s97, v40
	v_bfrev_b32_e32 v0, 1
	s_and_saveexec_b64 s[34:35], vcc
	s_cbranch_execz .LBB4_11762
; %bb.11757:                            ;   in Loop: Header=BB4_10749 Depth=3
	v_and_b32_e32 v0, 0x7c, v40
	v_and_b32_e32 v2, 3, v40
	v_cmp_ne_u32_e32 vcc, s85, v0
                                        ; implicit-def: $vgpr0
	s_and_saveexec_b64 s[36:37], vcc
	s_xor_b64 s[36:37], exec, s[36:37]
	s_cbranch_execz .LBB4_11759
; %bb.11758:                            ;   in Loop: Header=BB4_10749 Depth=3
	v_ffbh_u32_e32 v20, v2
	v_min_u32_e32 v25, 32, v20
	v_mov_b32_e32 v41, v17
	v_subrev_u32_e32 v20, 29, v25
	v_and_b32_e32 v0, 0xff, v40
	v_lshlrev_b64 v[20:21], v20, v[40:41]
	v_bfe_u32 v0, v0, 2, 5
	v_sub_u32_e32 v21, 30, v25
	v_and_b32_e32 v20, 3, v20
	v_cmp_eq_u32_e32 vcc, 0, v0
	v_cndmask_b32_e32 v0, v0, v21, vcc
	v_cndmask_b32_e32 v2, v2, v20, vcc
	v_and_b32_sdwa v20, sext(v40), s86 dst_sel:DWORD dst_unused:UNUSED_PAD src0_sel:WORD_0 src1_sel:DWORD
	v_lshl_add_u32 v0, v0, 23, v20
	v_lshl_or_b32 v0, v2, 21, v0
	v_add_u32_e32 v0, 0x38000000, v0
                                        ; implicit-def: $vgpr2
                                        ; implicit-def: $vgpr40
.LBB4_11759:                            ;   in Loop: Header=BB4_10749 Depth=3
	s_andn2_saveexec_b64 s[36:37], s[36:37]
; %bb.11760:                            ;   in Loop: Header=BB4_10749 Depth=3
	v_cmp_lt_i16_e32 vcc, -1, v40
	v_mov_b32_e32 v0, 0xff800000
	v_mov_b32_e32 v20, 0x7f800000
	v_cndmask_b32_e32 v0, v0, v20, vcc
	v_cmp_eq_u32_e32 vcc, 0, v2
	v_mov_b32_e32 v2, 0x7f800001
	v_cndmask_b32_e32 v0, v2, v0, vcc
; %bb.11761:                            ;   in Loop: Header=BB4_10749 Depth=3
	s_or_b64 exec, exec, s[36:37]
.LBB4_11762:                            ;   in Loop: Header=BB4_10749 Depth=3
	s_or_b64 exec, exec, s[34:35]
.LBB4_11763:                            ;   in Loop: Header=BB4_10749 Depth=3
	s_or_b64 exec, exec, s[28:29]
	v_add_f32_e32 v2, v1, v0
	v_and_b32_e32 v20, 0x7f800000, v2
	v_mov_b32_e32 v21, v17
	v_cmp_ne_u64_e32 vcc, s[76:77], v[20:21]
	v_and_b32_e32 v0, 0x7fffff, v2
	v_mov_b32_e32 v1, v17
                                        ; implicit-def: $vgpr20
	s_and_saveexec_b64 s[28:29], vcc
	s_xor_b64 s[34:35], exec, s[28:29]
	s_cbranch_execz .LBB4_11781
; %bb.11764:                            ;   in Loop: Header=BB4_10749 Depth=3
	v_and_b32_e32 v20, 0x7fffffff, v2
	v_mov_b32_e32 v21, v17
	v_cmp_gt_u64_e32 vcc, s[78:79], v[20:21]
	v_and_b32_sdwa v21, v2, s96 dst_sel:DWORD dst_unused:UNUSED_PAD src0_sel:BYTE_3 src1_sel:DWORD
                                        ; implicit-def: $vgpr20
	s_and_saveexec_b64 s[28:29], vcc
	s_xor_b64 s[36:37], exec, s[28:29]
	s_cbranch_execz .LBB4_11778
; %bb.11765:                            ;   in Loop: Header=BB4_10749 Depth=3
	v_cmp_ne_u32_e32 vcc, 0, v2
	v_mov_b32_e32 v20, 0
	s_and_saveexec_b64 s[38:39], vcc
	s_cbranch_execz .LBB4_11777
; %bb.11766:                            ;   in Loop: Header=BB4_10749 Depth=3
	v_bfe_u32 v20, v2, 23, 8
	v_cmp_gt_u32_e64 s[28:29], s46, v20
	v_sub_u32_e32 v2, 0x71, v20
	v_cmp_eq_u32_e32 vcc, 0, v20
	v_cndmask_b32_e64 v2, 0, v2, s[28:29]
	v_mov_b32_e32 v25, 0x70
	v_cndmask_b32_e32 v25, v2, v25, vcc
	v_or_b32_e32 v26, 0x800000, v0
	v_add_u32_e32 v2, 21, v25
	v_mov_b32_e32 v28, v27
	v_cndmask_b32_e32 v0, v26, v0, vcc
	v_lshlrev_b64 v[26:27], v2, -1
	v_add_u32_e32 v2, 20, v25
	v_bfi_b32 v26, v26, 0, v0
	v_lshlrev_b64 v[30:31], v2, 1
	v_lshrrev_b64 v[0:1], v25, v[0:1]
	v_bfi_b32 v27, v27, 0, 0
	v_cmp_eq_u64_e64 s[28:29], v[26:27], v[30:31]
	v_mov_b32_e32 v2, v1
	v_mov_b32_e32 v1, v0
	s_and_saveexec_b64 s[48:49], s[28:29]
; %bb.11767:                            ;   in Loop: Header=BB4_10749 Depth=3
	v_bfe_u32 v1, v0, 21, 1
	v_add_co_u32_e64 v1, s[28:29], v0, v1
	v_add_co_u32_e64 v1, s[28:29], -1, v1
; %bb.11768:                            ;   in Loop: Header=BB4_10749 Depth=3
	s_or_b64 exec, exec, s[48:49]
	v_add_u32_e32 v2, 0xffffff81, v20
	v_mov_b32_e32 v20, 0xffffff82
	v_cndmask_b32_e32 v2, v2, v20, vcc
	v_lshrrev_b32_e32 v20, 23, v0
	v_add3_u32 v25, v25, v2, v20
	v_add_u32_e32 v20, 14, v25
	v_and_b32_e32 v1, 0x1fffff, v1
	v_add_u32_e32 v0, v1, v0
	v_mov_b32_e32 v1, v17
	v_cmp_ne_u32_e32 vcc, 0, v20
                                        ; implicit-def: $vgpr2
	s_and_saveexec_b64 s[28:29], vcc
	s_xor_b64 s[28:29], exec, s[28:29]
; %bb.11769:                            ;   in Loop: Header=BB4_10749 Depth=3
	v_cmp_lt_u64_e32 vcc, s[88:89], v[0:1]
	v_add_u32_e32 v2, 15, v25
	v_cndmask_b32_e32 v2, v20, v2, vcc
	v_cndmask_b32_e64 v20, 0, 1, vcc
	v_lshrrev_b64 v[0:1], v20, v[0:1]
; %bb.11770:                            ;   in Loop: Header=BB4_10749 Depth=3
	s_or_saveexec_b64 s[28:29], s[28:29]
	v_mov_b32_e32 v27, v28
	s_xor_b64 exec, exec, s[28:29]
; %bb.11771:                            ;   in Loop: Header=BB4_10749 Depth=3
	v_bfe_u32 v2, v0, 23, 1
; %bb.11772:                            ;   in Loop: Header=BB4_10749 Depth=3
	s_or_b64 exec, exec, s[28:29]
	v_lshrrev_b64 v[0:1], 21, v[0:1]
	v_cmp_gt_i32_e32 vcc, 32, v2
	v_cndmask_b32_e32 v1, 0, v1, vcc
	v_cndmask_b32_e32 v0, 3, v0, vcc
	v_cmp_ne_u64_e32 vcc, 0, v[0:1]
	v_cmp_ne_u32_e64 s[28:29], 0, v2
	s_or_b64 s[28:29], s[28:29], vcc
                                        ; implicit-def: $vgpr20
	s_and_saveexec_b64 vcc, s[28:29]
	s_xor_b64 s[28:29], exec, vcc
; %bb.11773:                            ;   in Loop: Header=BB4_10749 Depth=3
	v_min_i32_e32 v1, 31, v2
	v_lshl_or_b32 v1, v1, 2, v21
	v_and_or_b32 v20, v0, 3, v1
                                        ; implicit-def: $vgpr21
; %bb.11774:                            ;   in Loop: Header=BB4_10749 Depth=3
	s_andn2_saveexec_b64 s[28:29], s[28:29]
; %bb.11775:                            ;   in Loop: Header=BB4_10749 Depth=3
	v_mov_b32_e32 v20, v21
; %bb.11776:                            ;   in Loop: Header=BB4_10749 Depth=3
	s_or_b64 exec, exec, s[28:29]
.LBB4_11777:                            ;   in Loop: Header=BB4_10749 Depth=3
	s_or_b64 exec, exec, s[38:39]
                                        ; implicit-def: $vgpr21
.LBB4_11778:                            ;   in Loop: Header=BB4_10749 Depth=3
	s_andn2_saveexec_b64 s[28:29], s[36:37]
; %bb.11779:                            ;   in Loop: Header=BB4_10749 Depth=3
	v_or_b32_e32 v20, 0x7b, v21
; %bb.11780:                            ;   in Loop: Header=BB4_10749 Depth=3
	s_or_b64 exec, exec, s[28:29]
                                        ; implicit-def: $vgpr2
                                        ; implicit-def: $vgpr0_vgpr1
.LBB4_11781:                            ;   in Loop: Header=BB4_10749 Depth=3
	s_andn2_saveexec_b64 s[28:29], s[34:35]
	s_cbranch_execz .LBB4_11787
; %bb.11782:                            ;   in Loop: Header=BB4_10749 Depth=3
	v_cmp_ne_u64_e32 vcc, 0, v[0:1]
                                        ; implicit-def: $vgpr20
	s_and_saveexec_b64 s[34:35], vcc
	s_xor_b64 vcc, exec, s[34:35]
; %bb.11783:                            ;   in Loop: Header=BB4_10749 Depth=3
	v_or_b32_sdwa v20, v2, s47 dst_sel:DWORD dst_unused:UNUSED_PAD src0_sel:BYTE_3 src1_sel:DWORD
                                        ; implicit-def: $vgpr2
; %bb.11784:                            ;   in Loop: Header=BB4_10749 Depth=3
	s_andn2_saveexec_b64 s[34:35], vcc
; %bb.11785:                            ;   in Loop: Header=BB4_10749 Depth=3
	v_cmp_lt_i32_e32 vcc, -1, v2
	v_cndmask_b32_e32 v20, -4, v52, vcc
; %bb.11786:                            ;   in Loop: Header=BB4_10749 Depth=3
	s_or_b64 exec, exec, s[34:35]
.LBB4_11787:                            ;   in Loop: Header=BB4_10749 Depth=3
	s_or_b64 exec, exec, s[28:29]
	v_and_b32_e32 v21, 0xff, v22
	v_cmp_ne_u16_e32 vcc, 0, v21
	v_mov_b32_e32 v0, 0
	v_mov_b32_e32 v1, 0
	s_and_saveexec_b64 s[28:29], vcc
	s_cbranch_execz .LBB4_11795
; %bb.11788:                            ;   in Loop: Header=BB4_10749 Depth=3
	v_cmp_ne_u16_e32 vcc, s96, v21
	v_bfrev_b32_e32 v1, 1
	s_and_saveexec_b64 s[34:35], vcc
	s_cbranch_execz .LBB4_11794
; %bb.11789:                            ;   in Loop: Header=BB4_10749 Depth=3
	v_mov_b32_e32 v1, v22
	v_and_b32_e32 v2, 3, v1
	v_and_b32_e32 v1, 0x7c, v1
	v_cmp_ne_u32_e32 vcc, s85, v1
                                        ; implicit-def: $vgpr1
	s_and_saveexec_b64 s[36:37], vcc
	s_xor_b64 s[36:37], exec, s[36:37]
	s_cbranch_execz .LBB4_11791
; %bb.11790:                            ;   in Loop: Header=BB4_10749 Depth=3
	v_bfe_u32 v1, v21, 2, 5
	v_ffbh_u32_e32 v21, v2
	v_min_u32_e32 v21, 32, v21
	v_mov_b32_e32 v30, v22
	v_mov_b32_e32 v31, v17
	v_subrev_u32_e32 v25, 29, v21
	v_lshlrev_b64 v[25:26], v25, v[30:31]
	v_sub_u32_e32 v21, 30, v21
	v_cmp_eq_u32_e32 vcc, 0, v1
	v_cndmask_b32_e32 v1, v1, v21, vcc
	v_lshlrev_b32_e32 v21, 24, v30
	v_and_b32_e32 v25, 3, v25
	v_and_b32_e32 v21, 0x80000000, v21
	v_cndmask_b32_e32 v2, v2, v25, vcc
	v_lshl_add_u32 v1, v1, 23, v21
	v_lshl_or_b32 v1, v2, 21, v1
	v_add_u32_e32 v1, 0x38000000, v1
                                        ; implicit-def: $vgpr2
                                        ; implicit-def: $vgpr22
.LBB4_11791:                            ;   in Loop: Header=BB4_10749 Depth=3
	s_andn2_saveexec_b64 s[36:37], s[36:37]
; %bb.11792:                            ;   in Loop: Header=BB4_10749 Depth=3
	v_mov_b32_e32 v1, -1
	v_cmp_gt_i16_sdwa vcc, sext(v22), v1 src0_sel:BYTE_0 src1_sel:DWORD
	v_mov_b32_e32 v1, 0xff800000
	v_mov_b32_e32 v21, 0x7f800000
	v_cndmask_b32_e32 v1, v1, v21, vcc
	v_cmp_eq_u32_e32 vcc, 0, v2
	v_mov_b32_e32 v2, 0x7f800001
	v_cndmask_b32_e32 v1, v2, v1, vcc
; %bb.11793:                            ;   in Loop: Header=BB4_10749 Depth=3
	s_or_b64 exec, exec, s[36:37]
.LBB4_11794:                            ;   in Loop: Header=BB4_10749 Depth=3
	s_or_b64 exec, exec, s[34:35]
.LBB4_11795:                            ;   in Loop: Header=BB4_10749 Depth=3
	s_or_b64 exec, exec, s[28:29]
	v_cmp_ne_u16_e32 vcc, 0, v34
	s_and_saveexec_b64 s[28:29], vcc
	s_cbranch_execz .LBB4_11803
; %bb.11796:                            ;   in Loop: Header=BB4_10749 Depth=3
	v_cmp_ne_u16_e32 vcc, s97, v34
	v_bfrev_b32_e32 v0, 1
	s_and_saveexec_b64 s[34:35], vcc
	s_cbranch_execz .LBB4_11802
; %bb.11797:                            ;   in Loop: Header=BB4_10749 Depth=3
	v_and_b32_e32 v0, 0x7c, v34
	v_and_b32_e32 v2, 3, v34
	v_cmp_ne_u32_e32 vcc, s85, v0
                                        ; implicit-def: $vgpr0
	s_and_saveexec_b64 s[36:37], vcc
	s_xor_b64 s[36:37], exec, s[36:37]
	s_cbranch_execz .LBB4_11799
; %bb.11798:                            ;   in Loop: Header=BB4_10749 Depth=3
	v_ffbh_u32_e32 v21, v2
	v_min_u32_e32 v21, 32, v21
	v_and_b32_e32 v0, 0xff, v34
	v_mov_b32_e32 v35, v17
	v_subrev_u32_e32 v25, 29, v21
	v_bfe_u32 v0, v0, 2, 5
	v_lshlrev_b64 v[25:26], v25, v[34:35]
	v_sub_u32_e32 v21, 30, v21
	v_cmp_eq_u32_e32 vcc, 0, v0
	v_and_b32_e32 v25, 3, v25
	v_cndmask_b32_e32 v0, v0, v21, vcc
	v_and_b32_sdwa v21, sext(v34), s86 dst_sel:DWORD dst_unused:UNUSED_PAD src0_sel:WORD_0 src1_sel:DWORD
	v_cndmask_b32_e32 v2, v2, v25, vcc
	v_lshl_add_u32 v0, v0, 23, v21
	v_lshl_or_b32 v0, v2, 21, v0
	v_add_u32_e32 v0, 0x38000000, v0
                                        ; implicit-def: $vgpr2
                                        ; implicit-def: $vgpr34
.LBB4_11799:                            ;   in Loop: Header=BB4_10749 Depth=3
	s_andn2_saveexec_b64 s[36:37], s[36:37]
; %bb.11800:                            ;   in Loop: Header=BB4_10749 Depth=3
	v_cmp_lt_i16_e32 vcc, -1, v34
	v_mov_b32_e32 v0, 0xff800000
	v_mov_b32_e32 v21, 0x7f800000
	v_cndmask_b32_e32 v0, v0, v21, vcc
	v_cmp_eq_u32_e32 vcc, 0, v2
	v_mov_b32_e32 v2, 0x7f800001
	v_cndmask_b32_e32 v0, v2, v0, vcc
; %bb.11801:                            ;   in Loop: Header=BB4_10749 Depth=3
	s_or_b64 exec, exec, s[36:37]
.LBB4_11802:                            ;   in Loop: Header=BB4_10749 Depth=3
	s_or_b64 exec, exec, s[34:35]
.LBB4_11803:                            ;   in Loop: Header=BB4_10749 Depth=3
	s_or_b64 exec, exec, s[28:29]
	v_add_f32_e32 v2, v1, v0
	v_and_b32_e32 v25, 0x7f800000, v2
	v_mov_b32_e32 v26, v17
	v_cmp_ne_u64_e32 vcc, s[76:77], v[25:26]
	v_and_b32_e32 v0, 0x7fffff, v2
	v_mov_b32_e32 v1, v17
                                        ; implicit-def: $vgpr21
	s_and_saveexec_b64 s[28:29], vcc
	s_xor_b64 s[34:35], exec, s[28:29]
	s_cbranch_execz .LBB4_11821
; %bb.11804:                            ;   in Loop: Header=BB4_10749 Depth=3
	v_and_b32_e32 v25, 0x7fffffff, v2
	v_mov_b32_e32 v26, v17
	v_cmp_gt_u64_e32 vcc, s[78:79], v[25:26]
	v_and_b32_sdwa v25, v2, s96 dst_sel:DWORD dst_unused:UNUSED_PAD src0_sel:BYTE_3 src1_sel:DWORD
                                        ; implicit-def: $vgpr21
	s_and_saveexec_b64 s[28:29], vcc
	s_xor_b64 s[36:37], exec, s[28:29]
	s_cbranch_execz .LBB4_11818
; %bb.11805:                            ;   in Loop: Header=BB4_10749 Depth=3
	v_cmp_ne_u32_e32 vcc, 0, v2
	v_mov_b32_e32 v21, 0
	s_and_saveexec_b64 s[38:39], vcc
	s_cbranch_execz .LBB4_11817
; %bb.11806:                            ;   in Loop: Header=BB4_10749 Depth=3
	v_bfe_u32 v21, v2, 23, 8
	v_cmp_gt_u32_e64 s[28:29], s46, v21
	v_sub_u32_e32 v2, 0x71, v21
	v_cmp_eq_u32_e32 vcc, 0, v21
	v_cndmask_b32_e64 v2, 0, v2, s[28:29]
	v_mov_b32_e32 v26, 0x70
	v_cndmask_b32_e32 v26, v2, v26, vcc
	v_add_u32_e32 v2, 21, v26
	v_mov_b32_e32 v28, v27
	v_or_b32_e32 v27, 0x800000, v0
	v_lshlrev_b64 v[30:31], v2, -1
	v_cndmask_b32_e32 v0, v27, v0, vcc
	v_add_u32_e32 v2, 20, v26
	v_bfi_b32 v30, v30, 0, v0
	v_lshlrev_b64 v[34:35], v2, 1
	v_lshrrev_b64 v[0:1], v26, v[0:1]
	v_bfi_b32 v31, v31, 0, 0
	v_cmp_eq_u64_e64 s[28:29], v[30:31], v[34:35]
	v_mov_b32_e32 v2, v1
	v_mov_b32_e32 v1, v0
	s_and_saveexec_b64 s[48:49], s[28:29]
; %bb.11807:                            ;   in Loop: Header=BB4_10749 Depth=3
	v_bfe_u32 v1, v0, 21, 1
	v_add_co_u32_e64 v1, s[28:29], v0, v1
	v_add_co_u32_e64 v1, s[28:29], -1, v1
; %bb.11808:                            ;   in Loop: Header=BB4_10749 Depth=3
	s_or_b64 exec, exec, s[48:49]
	v_add_u32_e32 v2, 0xffffff81, v21
	v_mov_b32_e32 v21, 0xffffff82
	v_cndmask_b32_e32 v2, v2, v21, vcc
	v_lshrrev_b32_e32 v21, 23, v0
	v_add3_u32 v26, v26, v2, v21
	v_add_u32_e32 v21, 14, v26
	v_and_b32_e32 v1, 0x1fffff, v1
	v_add_u32_e32 v0, v1, v0
	v_mov_b32_e32 v1, v17
	v_cmp_ne_u32_e32 vcc, 0, v21
                                        ; implicit-def: $vgpr2
	s_and_saveexec_b64 s[28:29], vcc
	s_xor_b64 s[28:29], exec, s[28:29]
; %bb.11809:                            ;   in Loop: Header=BB4_10749 Depth=3
	v_cmp_lt_u64_e32 vcc, s[88:89], v[0:1]
	v_add_u32_e32 v2, 15, v26
	v_cndmask_b32_e32 v2, v21, v2, vcc
	v_cndmask_b32_e64 v21, 0, 1, vcc
	v_lshrrev_b64 v[0:1], v21, v[0:1]
; %bb.11810:                            ;   in Loop: Header=BB4_10749 Depth=3
	s_or_saveexec_b64 s[28:29], s[28:29]
	v_mov_b32_e32 v27, v28
	s_xor_b64 exec, exec, s[28:29]
; %bb.11811:                            ;   in Loop: Header=BB4_10749 Depth=3
	v_bfe_u32 v2, v0, 23, 1
; %bb.11812:                            ;   in Loop: Header=BB4_10749 Depth=3
	s_or_b64 exec, exec, s[28:29]
	v_lshrrev_b64 v[0:1], 21, v[0:1]
	v_cmp_gt_i32_e32 vcc, 32, v2
	v_cndmask_b32_e32 v1, 0, v1, vcc
	v_cndmask_b32_e32 v0, 3, v0, vcc
	v_cmp_ne_u64_e32 vcc, 0, v[0:1]
	v_cmp_ne_u32_e64 s[28:29], 0, v2
	s_or_b64 s[28:29], s[28:29], vcc
                                        ; implicit-def: $vgpr21
	s_and_saveexec_b64 vcc, s[28:29]
	s_xor_b64 s[28:29], exec, vcc
; %bb.11813:                            ;   in Loop: Header=BB4_10749 Depth=3
	v_min_i32_e32 v1, 31, v2
	v_lshl_or_b32 v1, v1, 2, v25
	v_and_or_b32 v21, v0, 3, v1
                                        ; implicit-def: $vgpr25
; %bb.11814:                            ;   in Loop: Header=BB4_10749 Depth=3
	s_andn2_saveexec_b64 s[28:29], s[28:29]
; %bb.11815:                            ;   in Loop: Header=BB4_10749 Depth=3
	v_mov_b32_e32 v21, v25
; %bb.11816:                            ;   in Loop: Header=BB4_10749 Depth=3
	s_or_b64 exec, exec, s[28:29]
.LBB4_11817:                            ;   in Loop: Header=BB4_10749 Depth=3
	s_or_b64 exec, exec, s[38:39]
                                        ; implicit-def: $vgpr25
.LBB4_11818:                            ;   in Loop: Header=BB4_10749 Depth=3
	s_andn2_saveexec_b64 s[28:29], s[36:37]
; %bb.11819:                            ;   in Loop: Header=BB4_10749 Depth=3
	v_or_b32_e32 v21, 0x7b, v25
; %bb.11820:                            ;   in Loop: Header=BB4_10749 Depth=3
	s_or_b64 exec, exec, s[28:29]
                                        ; implicit-def: $vgpr2
                                        ; implicit-def: $vgpr0_vgpr1
.LBB4_11821:                            ;   in Loop: Header=BB4_10749 Depth=3
	s_andn2_saveexec_b64 s[28:29], s[34:35]
	s_cbranch_execz .LBB4_11827
; %bb.11822:                            ;   in Loop: Header=BB4_10749 Depth=3
	v_cmp_ne_u64_e32 vcc, 0, v[0:1]
                                        ; implicit-def: $vgpr21
	s_and_saveexec_b64 s[34:35], vcc
	s_xor_b64 vcc, exec, s[34:35]
; %bb.11823:                            ;   in Loop: Header=BB4_10749 Depth=3
	v_or_b32_sdwa v21, v2, s47 dst_sel:DWORD dst_unused:UNUSED_PAD src0_sel:BYTE_3 src1_sel:DWORD
                                        ; implicit-def: $vgpr2
; %bb.11824:                            ;   in Loop: Header=BB4_10749 Depth=3
	s_andn2_saveexec_b64 s[34:35], vcc
; %bb.11825:                            ;   in Loop: Header=BB4_10749 Depth=3
	v_cmp_lt_i32_e32 vcc, -1, v2
	v_cndmask_b32_e32 v21, -4, v52, vcc
; %bb.11826:                            ;   in Loop: Header=BB4_10749 Depth=3
	s_or_b64 exec, exec, s[34:35]
.LBB4_11827:                            ;   in Loop: Header=BB4_10749 Depth=3
	s_or_b64 exec, exec, s[28:29]
	v_and_b32_e32 v25, 0xff, v27
	v_cmp_ne_u16_e32 vcc, 0, v25
	v_mov_b32_e32 v0, 0
	v_mov_b32_e32 v1, 0
	s_and_saveexec_b64 s[28:29], vcc
	s_cbranch_execz .LBB4_11835
; %bb.11828:                            ;   in Loop: Header=BB4_10749 Depth=3
	v_cmp_ne_u16_e32 vcc, s96, v25
	v_bfrev_b32_e32 v1, 1
	s_and_saveexec_b64 s[34:35], vcc
	s_cbranch_execz .LBB4_11834
; %bb.11829:                            ;   in Loop: Header=BB4_10749 Depth=3
	v_and_b32_e32 v1, 0x7c, v27
	v_and_b32_e32 v2, 3, v27
	v_cmp_ne_u32_e32 vcc, s85, v1
                                        ; implicit-def: $vgpr1
	s_and_saveexec_b64 s[36:37], vcc
	s_xor_b64 s[36:37], exec, s[36:37]
	s_cbranch_execz .LBB4_11831
; %bb.11830:                            ;   in Loop: Header=BB4_10749 Depth=3
	v_mov_b32_e32 v28, v17
	v_bfe_u32 v1, v25, 2, 5
	v_ffbh_u32_e32 v25, v2
	v_mov_b32_e32 v31, v28
	v_mov_b32_e32 v30, v27
	v_min_u32_e32 v27, 32, v25
	v_subrev_u32_e32 v25, 29, v27
	v_lshlrev_b64 v[25:26], v25, v[30:31]
	v_cmp_eq_u32_e32 vcc, 0, v1
	v_and_b32_e32 v25, 3, v25
	v_sub_u32_e32 v26, 30, v27
	v_cndmask_b32_e32 v2, v2, v25, vcc
	v_lshlrev_b32_e32 v25, 24, v30
	v_cndmask_b32_e32 v1, v1, v26, vcc
	v_and_b32_e32 v25, 0x80000000, v25
	v_lshl_add_u32 v1, v1, 23, v25
	v_lshl_or_b32 v1, v2, 21, v1
	v_add_u32_e32 v1, 0x38000000, v1
                                        ; implicit-def: $vgpr2
                                        ; implicit-def: $vgpr27
.LBB4_11831:                            ;   in Loop: Header=BB4_10749 Depth=3
	s_andn2_saveexec_b64 s[36:37], s[36:37]
; %bb.11832:                            ;   in Loop: Header=BB4_10749 Depth=3
	v_mov_b32_e32 v1, -1
	v_cmp_gt_i16_sdwa vcc, sext(v27), v1 src0_sel:BYTE_0 src1_sel:DWORD
	v_mov_b32_e32 v1, 0xff800000
	v_mov_b32_e32 v25, 0x7f800000
	v_cndmask_b32_e32 v1, v1, v25, vcc
	v_cmp_eq_u32_e32 vcc, 0, v2
	v_mov_b32_e32 v2, 0x7f800001
	v_cndmask_b32_e32 v1, v2, v1, vcc
; %bb.11833:                            ;   in Loop: Header=BB4_10749 Depth=3
	s_or_b64 exec, exec, s[36:37]
.LBB4_11834:                            ;   in Loop: Header=BB4_10749 Depth=3
	s_or_b64 exec, exec, s[34:35]
.LBB4_11835:                            ;   in Loop: Header=BB4_10749 Depth=3
	s_or_b64 exec, exec, s[28:29]
	v_cmp_ne_u16_e32 vcc, 0, v60
	s_and_saveexec_b64 s[28:29], vcc
	s_cbranch_execz .LBB4_11843
; %bb.11836:                            ;   in Loop: Header=BB4_10749 Depth=3
	v_cmp_ne_u16_e32 vcc, s97, v60
	v_bfrev_b32_e32 v0, 1
	s_and_saveexec_b64 s[34:35], vcc
	s_cbranch_execz .LBB4_11842
; %bb.11837:                            ;   in Loop: Header=BB4_10749 Depth=3
	v_and_b32_e32 v0, 0x7c, v60
	v_and_b32_e32 v2, 3, v60
	v_cmp_ne_u32_e32 vcc, s85, v0
                                        ; implicit-def: $vgpr0
	s_and_saveexec_b64 s[36:37], vcc
	s_xor_b64 s[36:37], exec, s[36:37]
	s_cbranch_execz .LBB4_11839
; %bb.11838:                            ;   in Loop: Header=BB4_10749 Depth=3
	v_ffbh_u32_e32 v25, v2
	v_min_u32_e32 v27, 32, v25
	v_mov_b32_e32 v61, v17
	v_subrev_u32_e32 v25, 29, v27
	v_and_b32_e32 v0, 0xff, v60
	v_lshlrev_b64 v[25:26], v25, v[60:61]
	v_bfe_u32 v0, v0, 2, 5
	v_sub_u32_e32 v26, 30, v27
	v_and_b32_e32 v25, 3, v25
	v_cmp_eq_u32_e32 vcc, 0, v0
	v_cndmask_b32_e32 v0, v0, v26, vcc
	v_cndmask_b32_e32 v2, v2, v25, vcc
	v_and_b32_sdwa v25, sext(v60), s86 dst_sel:DWORD dst_unused:UNUSED_PAD src0_sel:WORD_0 src1_sel:DWORD
	v_lshl_add_u32 v0, v0, 23, v25
	v_lshl_or_b32 v0, v2, 21, v0
	v_add_u32_e32 v0, 0x38000000, v0
                                        ; implicit-def: $vgpr2
                                        ; implicit-def: $vgpr60
.LBB4_11839:                            ;   in Loop: Header=BB4_10749 Depth=3
	s_andn2_saveexec_b64 s[36:37], s[36:37]
; %bb.11840:                            ;   in Loop: Header=BB4_10749 Depth=3
	v_cmp_lt_i16_e32 vcc, -1, v60
	v_mov_b32_e32 v0, 0xff800000
	v_mov_b32_e32 v25, 0x7f800000
	v_cndmask_b32_e32 v0, v0, v25, vcc
	v_cmp_eq_u32_e32 vcc, 0, v2
	v_mov_b32_e32 v2, 0x7f800001
	v_cndmask_b32_e32 v0, v2, v0, vcc
; %bb.11841:                            ;   in Loop: Header=BB4_10749 Depth=3
	s_or_b64 exec, exec, s[36:37]
.LBB4_11842:                            ;   in Loop: Header=BB4_10749 Depth=3
	s_or_b64 exec, exec, s[34:35]
.LBB4_11843:                            ;   in Loop: Header=BB4_10749 Depth=3
	s_or_b64 exec, exec, s[28:29]
	v_add_f32_e32 v2, v1, v0
	v_and_b32_e32 v25, 0x7f800000, v2
	v_mov_b32_e32 v26, v17
	v_cmp_ne_u64_e32 vcc, s[76:77], v[25:26]
	v_and_b32_e32 v0, 0x7fffff, v2
	v_mov_b32_e32 v1, v17
                                        ; implicit-def: $vgpr25
	s_and_saveexec_b64 s[28:29], vcc
	s_xor_b64 s[34:35], exec, s[28:29]
	s_cbranch_execz .LBB4_11861
; %bb.11844:                            ;   in Loop: Header=BB4_10749 Depth=3
	v_and_b32_e32 v25, 0x7fffffff, v2
	v_mov_b32_e32 v26, v17
	v_cmp_gt_u64_e32 vcc, s[78:79], v[25:26]
	v_and_b32_sdwa v26, v2, s96 dst_sel:DWORD dst_unused:UNUSED_PAD src0_sel:BYTE_3 src1_sel:DWORD
                                        ; implicit-def: $vgpr25
	s_and_saveexec_b64 s[28:29], vcc
	s_xor_b64 s[36:37], exec, s[28:29]
	s_cbranch_execz .LBB4_11858
; %bb.11845:                            ;   in Loop: Header=BB4_10749 Depth=3
	v_cmp_ne_u32_e32 vcc, 0, v2
	v_mov_b32_e32 v25, 0
	s_and_saveexec_b64 s[38:39], vcc
	s_cbranch_execz .LBB4_11857
; %bb.11846:                            ;   in Loop: Header=BB4_10749 Depth=3
	v_bfe_u32 v25, v2, 23, 8
	v_cmp_gt_u32_e64 s[28:29], s46, v25
	v_sub_u32_e32 v2, 0x71, v25
	v_cmp_eq_u32_e32 vcc, 0, v25
	v_cndmask_b32_e64 v2, 0, v2, s[28:29]
	v_mov_b32_e32 v27, 0x70
	v_cndmask_b32_e32 v27, v2, v27, vcc
	v_add_u32_e32 v2, 21, v27
	v_or_b32_e32 v28, 0x800000, v0
	v_lshlrev_b64 v[30:31], v2, -1
	v_cndmask_b32_e32 v0, v28, v0, vcc
	v_add_u32_e32 v2, 20, v27
	v_bfi_b32 v30, v30, 0, v0
	v_lshlrev_b64 v[34:35], v2, 1
	v_lshrrev_b64 v[0:1], v27, v[0:1]
	v_bfi_b32 v31, v31, 0, 0
	v_cmp_eq_u64_e64 s[28:29], v[30:31], v[34:35]
	v_mov_b32_e32 v2, v1
	v_mov_b32_e32 v1, v0
	s_and_saveexec_b64 s[48:49], s[28:29]
; %bb.11847:                            ;   in Loop: Header=BB4_10749 Depth=3
	v_bfe_u32 v1, v0, 21, 1
	v_add_co_u32_e64 v1, s[28:29], v0, v1
	v_add_co_u32_e64 v1, s[28:29], -1, v1
; %bb.11848:                            ;   in Loop: Header=BB4_10749 Depth=3
	s_or_b64 exec, exec, s[48:49]
	v_add_u32_e32 v2, 0xffffff81, v25
	v_mov_b32_e32 v25, 0xffffff82
	v_cndmask_b32_e32 v2, v2, v25, vcc
	v_lshrrev_b32_e32 v25, 23, v0
	v_add3_u32 v27, v27, v2, v25
	v_add_u32_e32 v25, 14, v27
	v_and_b32_e32 v1, 0x1fffff, v1
	v_add_u32_e32 v0, v1, v0
	v_mov_b32_e32 v1, v17
	v_cmp_ne_u32_e32 vcc, 0, v25
                                        ; implicit-def: $vgpr2
	s_and_saveexec_b64 s[28:29], vcc
	s_xor_b64 s[28:29], exec, s[28:29]
; %bb.11849:                            ;   in Loop: Header=BB4_10749 Depth=3
	v_cmp_lt_u64_e32 vcc, s[88:89], v[0:1]
	v_add_u32_e32 v2, 15, v27
	v_cndmask_b32_e32 v2, v25, v2, vcc
	v_cndmask_b32_e64 v25, 0, 1, vcc
	v_lshrrev_b64 v[0:1], v25, v[0:1]
; %bb.11850:                            ;   in Loop: Header=BB4_10749 Depth=3
	s_andn2_saveexec_b64 s[28:29], s[28:29]
; %bb.11851:                            ;   in Loop: Header=BB4_10749 Depth=3
	v_bfe_u32 v2, v0, 23, 1
; %bb.11852:                            ;   in Loop: Header=BB4_10749 Depth=3
	s_or_b64 exec, exec, s[28:29]
	v_lshrrev_b64 v[0:1], 21, v[0:1]
	v_cmp_gt_i32_e32 vcc, 32, v2
	v_cndmask_b32_e32 v1, 0, v1, vcc
	v_cndmask_b32_e32 v0, 3, v0, vcc
	v_cmp_ne_u64_e32 vcc, 0, v[0:1]
	v_cmp_ne_u32_e64 s[28:29], 0, v2
	s_or_b64 s[28:29], s[28:29], vcc
                                        ; implicit-def: $vgpr25
	s_and_saveexec_b64 vcc, s[28:29]
	s_xor_b64 s[28:29], exec, vcc
; %bb.11853:                            ;   in Loop: Header=BB4_10749 Depth=3
	v_min_i32_e32 v1, 31, v2
	v_lshl_or_b32 v1, v1, 2, v26
	v_and_or_b32 v25, v0, 3, v1
                                        ; implicit-def: $vgpr26
; %bb.11854:                            ;   in Loop: Header=BB4_10749 Depth=3
	s_andn2_saveexec_b64 s[28:29], s[28:29]
; %bb.11855:                            ;   in Loop: Header=BB4_10749 Depth=3
	v_mov_b32_e32 v25, v26
; %bb.11856:                            ;   in Loop: Header=BB4_10749 Depth=3
	s_or_b64 exec, exec, s[28:29]
.LBB4_11857:                            ;   in Loop: Header=BB4_10749 Depth=3
	s_or_b64 exec, exec, s[38:39]
                                        ; implicit-def: $vgpr26
.LBB4_11858:                            ;   in Loop: Header=BB4_10749 Depth=3
	s_andn2_saveexec_b64 s[28:29], s[36:37]
; %bb.11859:                            ;   in Loop: Header=BB4_10749 Depth=3
	v_or_b32_e32 v25, 0x7b, v26
; %bb.11860:                            ;   in Loop: Header=BB4_10749 Depth=3
	s_or_b64 exec, exec, s[28:29]
                                        ; implicit-def: $vgpr2
                                        ; implicit-def: $vgpr0_vgpr1
.LBB4_11861:                            ;   in Loop: Header=BB4_10749 Depth=3
	s_andn2_saveexec_b64 s[28:29], s[34:35]
	s_cbranch_execz .LBB4_11867
; %bb.11862:                            ;   in Loop: Header=BB4_10749 Depth=3
	v_cmp_ne_u64_e32 vcc, 0, v[0:1]
                                        ; implicit-def: $vgpr25
	s_and_saveexec_b64 s[34:35], vcc
	s_xor_b64 vcc, exec, s[34:35]
; %bb.11863:                            ;   in Loop: Header=BB4_10749 Depth=3
	v_or_b32_sdwa v25, v2, s47 dst_sel:DWORD dst_unused:UNUSED_PAD src0_sel:BYTE_3 src1_sel:DWORD
                                        ; implicit-def: $vgpr2
; %bb.11864:                            ;   in Loop: Header=BB4_10749 Depth=3
	s_andn2_saveexec_b64 s[34:35], vcc
; %bb.11865:                            ;   in Loop: Header=BB4_10749 Depth=3
	v_cmp_lt_i32_e32 vcc, -1, v2
	v_cndmask_b32_e32 v25, -4, v52, vcc
; %bb.11866:                            ;   in Loop: Header=BB4_10749 Depth=3
	s_or_b64 exec, exec, s[34:35]
.LBB4_11867:                            ;   in Loop: Header=BB4_10749 Depth=3
	s_or_b64 exec, exec, s[28:29]
	v_and_b32_e32 v26, 0xff, v29
	v_cmp_ne_u16_e32 vcc, 0, v26
	v_mov_b32_e32 v0, 0
	v_mov_b32_e32 v1, 0
	s_and_saveexec_b64 s[28:29], vcc
	s_cbranch_execz .LBB4_11875
; %bb.11868:                            ;   in Loop: Header=BB4_10749 Depth=3
	v_cmp_ne_u16_e32 vcc, s96, v26
	v_bfrev_b32_e32 v1, 1
	s_and_saveexec_b64 s[34:35], vcc
	s_cbranch_execz .LBB4_11874
; %bb.11869:                            ;   in Loop: Header=BB4_10749 Depth=3
	v_and_b32_e32 v1, 0x7c, v29
	v_and_b32_e32 v2, 3, v29
	v_cmp_ne_u32_e32 vcc, s85, v1
                                        ; implicit-def: $vgpr1
	s_and_saveexec_b64 s[36:37], vcc
	s_xor_b64 s[36:37], exec, s[36:37]
	s_cbranch_execz .LBB4_11871
; %bb.11870:                            ;   in Loop: Header=BB4_10749 Depth=3
	v_bfe_u32 v1, v26, 2, 5
	v_ffbh_u32_e32 v26, v2
	v_min_u32_e32 v28, 32, v26
	v_mov_b32_e32 v30, v17
	v_subrev_u32_e32 v26, 29, v28
	v_lshlrev_b64 v[26:27], v26, v[29:30]
	v_cmp_eq_u32_e32 vcc, 0, v1
	v_and_b32_e32 v26, 3, v26
	v_sub_u32_e32 v27, 30, v28
	v_cndmask_b32_e32 v2, v2, v26, vcc
	v_lshlrev_b32_e32 v26, 24, v29
	v_cndmask_b32_e32 v1, v1, v27, vcc
	v_and_b32_e32 v26, 0x80000000, v26
	v_lshl_add_u32 v1, v1, 23, v26
	v_lshl_or_b32 v1, v2, 21, v1
	v_add_u32_e32 v1, 0x38000000, v1
                                        ; implicit-def: $vgpr2
                                        ; implicit-def: $vgpr29
.LBB4_11871:                            ;   in Loop: Header=BB4_10749 Depth=3
	s_andn2_saveexec_b64 s[36:37], s[36:37]
; %bb.11872:                            ;   in Loop: Header=BB4_10749 Depth=3
	v_mov_b32_e32 v1, -1
	v_cmp_gt_i16_sdwa vcc, sext(v29), v1 src0_sel:BYTE_0 src1_sel:DWORD
	v_mov_b32_e32 v1, 0xff800000
	v_mov_b32_e32 v26, 0x7f800000
	v_cndmask_b32_e32 v1, v1, v26, vcc
	v_cmp_eq_u32_e32 vcc, 0, v2
	v_mov_b32_e32 v2, 0x7f800001
	v_cndmask_b32_e32 v1, v2, v1, vcc
; %bb.11873:                            ;   in Loop: Header=BB4_10749 Depth=3
	s_or_b64 exec, exec, s[36:37]
.LBB4_11874:                            ;   in Loop: Header=BB4_10749 Depth=3
	s_or_b64 exec, exec, s[34:35]
.LBB4_11875:                            ;   in Loop: Header=BB4_10749 Depth=3
	s_or_b64 exec, exec, s[28:29]
	v_cmp_ne_u16_e32 vcc, 0, v44
	s_and_saveexec_b64 s[28:29], vcc
	s_cbranch_execz .LBB4_11883
; %bb.11876:                            ;   in Loop: Header=BB4_10749 Depth=3
	v_cmp_ne_u16_e32 vcc, s97, v44
	v_bfrev_b32_e32 v0, 1
	s_and_saveexec_b64 s[34:35], vcc
	s_cbranch_execz .LBB4_11882
; %bb.11877:                            ;   in Loop: Header=BB4_10749 Depth=3
	v_and_b32_e32 v0, 0x7c, v44
	v_and_b32_e32 v2, 3, v44
	v_cmp_ne_u32_e32 vcc, s85, v0
                                        ; implicit-def: $vgpr0
	s_and_saveexec_b64 s[36:37], vcc
	s_xor_b64 s[36:37], exec, s[36:37]
	s_cbranch_execz .LBB4_11879
; %bb.11878:                            ;   in Loop: Header=BB4_10749 Depth=3
	v_ffbh_u32_e32 v26, v2
	v_min_u32_e32 v28, 32, v26
	v_mov_b32_e32 v45, v17
	v_subrev_u32_e32 v26, 29, v28
	v_and_b32_e32 v0, 0xff, v44
	v_lshlrev_b64 v[26:27], v26, v[44:45]
	v_bfe_u32 v0, v0, 2, 5
	v_sub_u32_e32 v27, 30, v28
	v_and_b32_e32 v26, 3, v26
	v_cmp_eq_u32_e32 vcc, 0, v0
	v_cndmask_b32_e32 v0, v0, v27, vcc
	v_cndmask_b32_e32 v2, v2, v26, vcc
	v_and_b32_sdwa v26, sext(v44), s86 dst_sel:DWORD dst_unused:UNUSED_PAD src0_sel:WORD_0 src1_sel:DWORD
	v_lshl_add_u32 v0, v0, 23, v26
	v_lshl_or_b32 v0, v2, 21, v0
	v_add_u32_e32 v0, 0x38000000, v0
                                        ; implicit-def: $vgpr2
                                        ; implicit-def: $vgpr44
.LBB4_11879:                            ;   in Loop: Header=BB4_10749 Depth=3
	s_andn2_saveexec_b64 s[36:37], s[36:37]
; %bb.11880:                            ;   in Loop: Header=BB4_10749 Depth=3
	v_cmp_lt_i16_e32 vcc, -1, v44
	v_mov_b32_e32 v0, 0xff800000
	v_mov_b32_e32 v26, 0x7f800000
	v_cndmask_b32_e32 v0, v0, v26, vcc
	v_cmp_eq_u32_e32 vcc, 0, v2
	v_mov_b32_e32 v2, 0x7f800001
	v_cndmask_b32_e32 v0, v2, v0, vcc
; %bb.11881:                            ;   in Loop: Header=BB4_10749 Depth=3
	s_or_b64 exec, exec, s[36:37]
.LBB4_11882:                            ;   in Loop: Header=BB4_10749 Depth=3
	s_or_b64 exec, exec, s[34:35]
.LBB4_11883:                            ;   in Loop: Header=BB4_10749 Depth=3
	s_or_b64 exec, exec, s[28:29]
	v_add_f32_e32 v27, v1, v0
	v_and_b32_e32 v1, 0x7f800000, v27
	v_mov_b32_e32 v2, v17
	v_cmp_ne_u64_e32 vcc, s[76:77], v[1:2]
	v_and_b32_e32 v0, 0x7fffff, v27
	v_mov_b32_e32 v1, v17
                                        ; implicit-def: $vgpr2
	s_and_saveexec_b64 s[28:29], vcc
	s_xor_b64 s[34:35], exec, s[28:29]
	s_cbranch_execz .LBB4_11901
; %bb.11884:                            ;   in Loop: Header=BB4_10749 Depth=3
	v_and_b32_e32 v30, 0x7fffffff, v27
	v_mov_b32_e32 v31, v17
	v_cmp_gt_u64_e32 vcc, s[78:79], v[30:31]
	v_and_b32_sdwa v26, v27, s96 dst_sel:DWORD dst_unused:UNUSED_PAD src0_sel:BYTE_3 src1_sel:DWORD
                                        ; implicit-def: $vgpr2
	s_and_saveexec_b64 s[28:29], vcc
	s_xor_b64 s[36:37], exec, s[28:29]
	s_cbranch_execz .LBB4_11898
; %bb.11885:                            ;   in Loop: Header=BB4_10749 Depth=3
	v_cmp_ne_u32_e32 vcc, 0, v27
	v_mov_b32_e32 v2, 0
	s_and_saveexec_b64 s[38:39], vcc
	s_cbranch_execz .LBB4_11897
; %bb.11886:                            ;   in Loop: Header=BB4_10749 Depth=3
	v_bfe_u32 v27, v27, 23, 8
	v_cmp_gt_u32_e64 s[28:29], s46, v27
	v_sub_u32_e32 v2, 0x71, v27
	v_cmp_eq_u32_e32 vcc, 0, v27
	v_cndmask_b32_e64 v2, 0, v2, s[28:29]
	v_mov_b32_e32 v29, 0x70
	v_cndmask_b32_e32 v30, v2, v29, vcc
	v_add_u32_e32 v2, 21, v30
	v_or_b32_e32 v28, 0x800000, v0
	v_lshlrev_b64 v[34:35], v2, -1
	v_cndmask_b32_e32 v0, v28, v0, vcc
	v_add_u32_e32 v2, 20, v30
	v_bfi_b32 v34, v34, 0, v0
	v_lshlrev_b64 v[38:39], v2, 1
	v_lshrrev_b64 v[0:1], v30, v[0:1]
	v_bfi_b32 v35, v35, 0, 0
	v_cmp_eq_u64_e64 s[28:29], v[34:35], v[38:39]
	v_mov_b32_e32 v2, v1
	v_mov_b32_e32 v1, v0
	s_and_saveexec_b64 s[48:49], s[28:29]
; %bb.11887:                            ;   in Loop: Header=BB4_10749 Depth=3
	v_bfe_u32 v1, v0, 21, 1
	v_add_co_u32_e64 v1, s[28:29], v0, v1
	v_add_co_u32_e64 v1, s[28:29], -1, v1
; %bb.11888:                            ;   in Loop: Header=BB4_10749 Depth=3
	s_or_b64 exec, exec, s[48:49]
	v_add_u32_e32 v2, 0xffffff81, v27
	v_mov_b32_e32 v27, 0xffffff82
	v_cndmask_b32_e32 v2, v2, v27, vcc
	v_lshrrev_b32_e32 v27, 23, v0
	v_add3_u32 v30, v30, v2, v27
	v_add_u32_e32 v2, 14, v30
	v_and_b32_e32 v1, 0x1fffff, v1
	v_add_u32_e32 v0, v1, v0
	v_mov_b32_e32 v1, v17
	v_cmp_ne_u32_e32 vcc, 0, v2
                                        ; implicit-def: $vgpr27
	s_and_saveexec_b64 s[28:29], vcc
	s_xor_b64 s[28:29], exec, s[28:29]
; %bb.11889:                            ;   in Loop: Header=BB4_10749 Depth=3
	v_cmp_lt_u64_e32 vcc, s[88:89], v[0:1]
	v_add_u32_e32 v27, 15, v30
	v_cndmask_b32_e32 v27, v2, v27, vcc
	v_cndmask_b32_e64 v2, 0, 1, vcc
	v_lshrrev_b64 v[0:1], v2, v[0:1]
; %bb.11890:                            ;   in Loop: Header=BB4_10749 Depth=3
	s_andn2_saveexec_b64 s[28:29], s[28:29]
; %bb.11891:                            ;   in Loop: Header=BB4_10749 Depth=3
	v_bfe_u32 v27, v0, 23, 1
; %bb.11892:                            ;   in Loop: Header=BB4_10749 Depth=3
	s_or_b64 exec, exec, s[28:29]
	v_lshrrev_b64 v[0:1], 21, v[0:1]
	v_cmp_gt_i32_e32 vcc, 32, v27
	v_cndmask_b32_e32 v1, 0, v1, vcc
	v_cndmask_b32_e32 v0, 3, v0, vcc
	v_cmp_ne_u64_e32 vcc, 0, v[0:1]
	v_cmp_ne_u32_e64 s[28:29], 0, v27
	s_or_b64 s[28:29], s[28:29], vcc
                                        ; implicit-def: $vgpr2
	s_and_saveexec_b64 vcc, s[28:29]
	s_xor_b64 s[28:29], exec, vcc
; %bb.11893:                            ;   in Loop: Header=BB4_10749 Depth=3
	v_min_i32_e32 v1, 31, v27
	v_lshl_or_b32 v1, v1, 2, v26
	v_and_or_b32 v2, v0, 3, v1
                                        ; implicit-def: $vgpr26
; %bb.11894:                            ;   in Loop: Header=BB4_10749 Depth=3
	s_andn2_saveexec_b64 s[28:29], s[28:29]
; %bb.11895:                            ;   in Loop: Header=BB4_10749 Depth=3
	v_mov_b32_e32 v2, v26
; %bb.11896:                            ;   in Loop: Header=BB4_10749 Depth=3
	s_or_b64 exec, exec, s[28:29]
.LBB4_11897:                            ;   in Loop: Header=BB4_10749 Depth=3
	s_or_b64 exec, exec, s[38:39]
                                        ; implicit-def: $vgpr26
.LBB4_11898:                            ;   in Loop: Header=BB4_10749 Depth=3
	s_andn2_saveexec_b64 s[28:29], s[36:37]
; %bb.11899:                            ;   in Loop: Header=BB4_10749 Depth=3
	v_or_b32_e32 v2, 0x7b, v26
; %bb.11900:                            ;   in Loop: Header=BB4_10749 Depth=3
	s_or_b64 exec, exec, s[28:29]
                                        ; implicit-def: $vgpr27
                                        ; implicit-def: $vgpr0_vgpr1
.LBB4_11901:                            ;   in Loop: Header=BB4_10749 Depth=3
	s_andn2_saveexec_b64 s[28:29], s[34:35]
	s_cbranch_execz .LBB4_10748
; %bb.11902:                            ;   in Loop: Header=BB4_10749 Depth=3
	v_cmp_ne_u64_e32 vcc, 0, v[0:1]
                                        ; implicit-def: $vgpr2
	s_and_saveexec_b64 s[34:35], vcc
	s_xor_b64 vcc, exec, s[34:35]
; %bb.11903:                            ;   in Loop: Header=BB4_10749 Depth=3
	v_or_b32_sdwa v2, v27, s47 dst_sel:DWORD dst_unused:UNUSED_PAD src0_sel:BYTE_3 src1_sel:DWORD
                                        ; implicit-def: $vgpr27
; %bb.11904:                            ;   in Loop: Header=BB4_10749 Depth=3
	s_andn2_saveexec_b64 s[34:35], vcc
	s_cbranch_execz .LBB4_10747
; %bb.11905:                            ;   in Loop: Header=BB4_10749 Depth=3
	v_cmp_lt_i32_e32 vcc, -1, v27
	v_cndmask_b32_e32 v2, -4, v52, vcc
	s_branch .LBB4_10747
.LBB4_11906:                            ;   in Loop: Header=BB4_7595 Depth=2
	s_or_b64 exec, exec, s[30:31]
	buffer_load_dword v7, off, s[0:3], s33 offset:260 ; 4-byte Folded Reload
	buffer_load_dword v2, off, s[0:3], s33 offset:264 ; 4-byte Folded Reload
	;; [unrolled: 1-line block ×4, first 2 shown]
.LBB4_11907:                            ;   in Loop: Header=BB4_7595 Depth=2
	s_or_b64 exec, exec, s[40:41]
	s_waitcnt vmcnt(0)
	v_lshlrev_b32_e32 v0, 10, v1
	v_cmp_ne_u32_e32 vcc, v23, v0
	s_and_b64 exec, exec, vcc
	s_cbranch_execz .LBB4_11991
; %bb.11908:                            ;   in Loop: Header=BB4_7595 Depth=2
	v_lshlrev_b32_e32 v1, 6, v2
	v_sub_u32_e32 v1, v3, v1
	v_lshlrev_b32_e32 v2, 6, v16
	v_sub_u32_e32 v1, v1, v2
	v_add_u32_e32 v0, v0, v1
	v_sub_u32_e32 v12, v23, v0
	v_cmp_lt_i32_e32 vcc, 0, v12
	s_and_b64 exec, exec, vcc
	s_cbranch_execz .LBB4_11991
; %bb.11909:                            ;   in Loop: Header=BB4_7595 Depth=2
	s_trap 2
	ds_read_b128 v[1:4], v0
	v_add_u32_e32 v5, v0, v7
	v_ashrrev_i32_e32 v6, 31, v5
	s_mov_b64 s[30:31], 0
	s_waitcnt lgkmcnt(0)
	v_add_co_u32_e32 v0, vcc, v1, v5
	v_addc_co_u32_e32 v1, vcc, v2, v6, vcc
	v_add_co_u32_e32 v2, vcc, v3, v5
	v_addc_co_u32_e32 v3, vcc, v4, v6, vcc
	v_mov_b32_e32 v5, v1
	v_mov_b32_e32 v7, v3
	;; [unrolled: 1-line block ×4, first 2 shown]
.LBB4_11910:                            ;   Parent Loop BB4_47 Depth=1
                                        ;     Parent Loop BB4_7595 Depth=2
                                        ; =>    This Loop Header: Depth=3
                                        ;         Child Loop BB4_11989 Depth 4
	s_trap 2
	ds_read_b64 v[8:9], v0
	v_mov_b32_e32 v10, 0
	s_waitcnt lgkmcnt(0)
	v_cmp_eq_u32_sdwa s[40:41], v8, v17 src0_sel:BYTE_0 src1_sel:DWORD
	v_readfirstlane_b32 s28, v8
	v_readfirstlane_b32 s29, v9
	v_mov_b32_e32 v9, 0
	s_and_b64 vcc, exec, s[40:41]
	s_cbranch_vccnz .LBB4_11916
; %bb.11911:                            ;   in Loop: Header=BB4_11910 Depth=3
	s_bfe_i32 vcc_lo, s28, 0x80000
	s_and_b32 s40, 0xffff, vcc_lo
	s_cmpk_eq_u32 s40, 0xff80
	v_bfrev_b32_e32 v10, 1
	s_cbranch_scc1 .LBB4_11916
; %bb.11912:                            ;   in Loop: Header=BB4_11910 Depth=3
	s_and_b32 s34, s28, 3
	s_and_b32 vcc_hi, s28, 0x7c
	s_mov_b64 s[40:41], -1
	s_cmpk_lg_i32 vcc_hi, 0x7c
	s_sext_i32_i16 s35, vcc_lo
                                        ; implicit-def: $sgpr36
	s_cbranch_scc0 .LBB4_11914
; %bb.11913:                            ;   in Loop: Header=BB4_11910 Depth=3
	s_flbit_i32_b32 s41, s34
	s_min_u32 s41, s41, 32
	s_sub_i32 vcc_lo, s41, 29
	s_bfe_u32 s40, s28, 0x50002
	s_lshl_b64 s[28:29], s[28:29], vcc_lo
	s_sub_i32 s29, 30, s41
	s_and_b32 s28, s28, 3
	s_cmp_eq_u32 s40, 0
	s_cselect_b32 s29, s29, s40
	s_cselect_b32 s28, s28, s34
	s_and_b32 s40, s35, 0x80000000
	s_lshl_b32 s29, s29, 23
	s_add_i32 s29, s29, s40
	s_lshl_b32 s28, s28, 21
	s_or_b32 s28, s29, s28
	s_add_i32 s36, s28, 0x38000000
	s_mov_b64 s[40:41], 0
.LBB4_11914:                            ;   in Loop: Header=BB4_11910 Depth=3
	s_andn2_b64 vcc, exec, s[40:41]
	v_mov_b32_e32 v10, s36
	s_cbranch_vccnz .LBB4_11916
; %bb.11915:                            ;   in Loop: Header=BB4_11910 Depth=3
	s_cmp_eq_u32 s34, 0
	s_cselect_b64 vcc, -1, 0
	s_cmp_gt_i32 s35, -1
	s_cselect_b64 s[28:29], -1, 0
	v_mov_b32_e32 v8, 0xff800000
	v_mov_b32_e32 v10, 0x7f800000
	v_cndmask_b32_e64 v8, v8, v10, s[28:29]
	v_mov_b32_e32 v10, 0x7f800001
	v_cndmask_b32_e32 v10, v10, v8, vcc
.LBB4_11916:                            ;   in Loop: Header=BB4_11910 Depth=3
	flat_load_sbyte v8, v[4:5] glc slc
	s_waitcnt vmcnt(0) lgkmcnt(0)
	v_cmp_ne_u16_e32 vcc, 0, v8
	s_and_saveexec_b64 s[28:29], vcc
	s_cbranch_execz .LBB4_11924
; %bb.11917:                            ;   in Loop: Header=BB4_11910 Depth=3
	v_cmp_ne_u16_e32 vcc, s97, v8
	v_bfrev_b32_e32 v9, 1
	s_and_saveexec_b64 s[40:41], vcc
	s_cbranch_execz .LBB4_11923
; %bb.11918:                            ;   in Loop: Header=BB4_11910 Depth=3
	v_and_b32_e32 v9, 0x7c, v8
	v_and_b32_e32 v11, 3, v8
	v_cmp_ne_u32_e32 vcc, s85, v9
                                        ; implicit-def: $vgpr9
	s_and_saveexec_b64 s[34:35], vcc
	s_xor_b64 s[34:35], exec, s[34:35]
	s_cbranch_execz .LBB4_11920
; %bb.11919:                            ;   in Loop: Header=BB4_11910 Depth=3
	v_and_b32_e32 v13, 0xff, v8
	v_bfe_u32 v15, v13, 2, 5
	v_ffbh_u32_e32 v13, v11
	v_min_u32_e32 v16, 32, v13
	v_mov_b32_e32 v9, v17
	v_subrev_u32_e32 v13, 29, v16
	v_lshlrev_b64 v[13:14], v13, v[8:9]
	v_sub_u32_e32 v9, 30, v16
	v_cmp_eq_u32_e32 vcc, 0, v15
	v_and_b32_e32 v13, 3, v13
	v_cndmask_b32_e32 v9, v15, v9, vcc
	v_and_b32_sdwa v8, sext(v8), s86 dst_sel:DWORD dst_unused:UNUSED_PAD src0_sel:WORD_0 src1_sel:DWORD
	v_cndmask_b32_e32 v11, v11, v13, vcc
	v_lshl_add_u32 v8, v9, 23, v8
	v_lshl_or_b32 v8, v11, 21, v8
	v_add_u32_e32 v9, 0x38000000, v8
                                        ; implicit-def: $vgpr11
                                        ; implicit-def: $vgpr8
.LBB4_11920:                            ;   in Loop: Header=BB4_11910 Depth=3
	s_andn2_saveexec_b64 s[34:35], s[34:35]
; %bb.11921:                            ;   in Loop: Header=BB4_11910 Depth=3
	v_cmp_lt_i16_e32 vcc, -1, v8
	v_mov_b32_e32 v8, 0xff800000
	v_mov_b32_e32 v9, 0x7f800000
	v_cndmask_b32_e32 v8, v8, v9, vcc
	v_cmp_eq_u32_e32 vcc, 0, v11
	v_mov_b32_e32 v9, 0x7f800001
	v_cndmask_b32_e32 v9, v9, v8, vcc
; %bb.11922:                            ;   in Loop: Header=BB4_11910 Depth=3
	s_or_b64 exec, exec, s[34:35]
.LBB4_11923:                            ;   in Loop: Header=BB4_11910 Depth=3
	s_or_b64 exec, exec, s[40:41]
.LBB4_11924:                            ;   in Loop: Header=BB4_11910 Depth=3
	s_or_b64 exec, exec, s[28:29]
	v_mul_f32_e32 v13, v10, v9
	v_and_b32_e32 v10, 0x7f800000, v13
	v_mov_b32_e32 v11, v17
	v_cmp_ne_u64_e32 vcc, s[76:77], v[10:11]
	v_and_b32_e32 v9, 0x7fffff, v13
	v_mov_b32_e32 v10, v17
                                        ; implicit-def: $vgpr8
	s_and_saveexec_b64 s[28:29], vcc
	s_xor_b64 s[40:41], exec, s[28:29]
	s_cbranch_execz .LBB4_11942
; %bb.11925:                            ;   in Loop: Header=BB4_11910 Depth=3
	v_and_b32_e32 v14, 0x7fffffff, v13
	v_mov_b32_e32 v15, v17
	v_cmp_gt_u64_e32 vcc, s[78:79], v[14:15]
	v_and_b32_sdwa v11, v13, s96 dst_sel:DWORD dst_unused:UNUSED_PAD src0_sel:BYTE_3 src1_sel:DWORD
                                        ; implicit-def: $vgpr8
	s_and_saveexec_b64 s[28:29], vcc
	s_xor_b64 s[34:35], exec, s[28:29]
	s_cbranch_execz .LBB4_11939
; %bb.11926:                            ;   in Loop: Header=BB4_11910 Depth=3
	v_cmp_ne_u32_e32 vcc, 0, v13
	v_mov_b32_e32 v8, 0
	s_and_saveexec_b64 s[36:37], vcc
	s_cbranch_execz .LBB4_11938
; %bb.11927:                            ;   in Loop: Header=BB4_11910 Depth=3
	v_bfe_u32 v13, v13, 23, 8
	v_cmp_gt_u32_e64 s[28:29], s46, v13
	v_sub_u32_e32 v8, 0x71, v13
	v_cmp_eq_u32_e32 vcc, 0, v13
	v_cndmask_b32_e64 v8, 0, v8, s[28:29]
	v_mov_b32_e32 v14, 0x70
	v_cndmask_b32_e32 v14, v8, v14, vcc
	v_or_b32_e32 v15, 0x800000, v9
	v_add_u32_e32 v8, 21, v14
	v_cndmask_b32_e32 v9, v15, v9, vcc
	v_lshlrev_b64 v[15:16], v8, -1
	v_add_u32_e32 v8, 20, v14
	v_bfi_b32 v15, v15, 0, v9
	v_lshlrev_b64 v[18:19], v8, 1
	v_lshrrev_b64 v[8:9], v14, v[9:10]
	v_bfi_b32 v16, v16, 0, 0
	v_cmp_eq_u64_e64 s[28:29], v[15:16], v[18:19]
	v_mov_b32_e32 v10, v9
	v_mov_b32_e32 v9, v8
	s_and_saveexec_b64 s[38:39], s[28:29]
; %bb.11928:                            ;   in Loop: Header=BB4_11910 Depth=3
	v_bfe_u32 v9, v8, 21, 1
	v_add_co_u32_e64 v9, s[28:29], v8, v9
	v_add_co_u32_e64 v9, s[28:29], -1, v9
; %bb.11929:                            ;   in Loop: Header=BB4_11910 Depth=3
	s_or_b64 exec, exec, s[38:39]
	v_add_u32_e32 v10, 0xffffff81, v13
	v_mov_b32_e32 v13, 0xffffff82
	v_cndmask_b32_e32 v10, v10, v13, vcc
	v_lshrrev_b32_e32 v13, 23, v8
	v_add3_u32 v14, v14, v10, v13
	v_add_u32_e32 v10, 14, v14
	v_and_b32_e32 v9, 0x1fffff, v9
	v_add_u32_e32 v8, v9, v8
	v_mov_b32_e32 v9, v17
	v_cmp_ne_u32_e32 vcc, 0, v10
                                        ; implicit-def: $vgpr13
	s_and_saveexec_b64 s[28:29], vcc
	s_xor_b64 s[28:29], exec, s[28:29]
; %bb.11930:                            ;   in Loop: Header=BB4_11910 Depth=3
	v_cmp_lt_u64_e32 vcc, s[88:89], v[8:9]
	v_add_u32_e32 v13, 15, v14
	v_cndmask_b32_e32 v13, v10, v13, vcc
	v_cndmask_b32_e64 v10, 0, 1, vcc
	v_lshrrev_b64 v[8:9], v10, v[8:9]
; %bb.11931:                            ;   in Loop: Header=BB4_11910 Depth=3
	s_andn2_saveexec_b64 s[28:29], s[28:29]
; %bb.11932:                            ;   in Loop: Header=BB4_11910 Depth=3
	v_bfe_u32 v13, v8, 23, 1
; %bb.11933:                            ;   in Loop: Header=BB4_11910 Depth=3
	s_or_b64 exec, exec, s[28:29]
	v_lshrrev_b64 v[8:9], 21, v[8:9]
	v_cmp_gt_i32_e32 vcc, 32, v13
	v_cndmask_b32_e32 v10, 0, v9, vcc
	v_cndmask_b32_e32 v9, 3, v8, vcc
	v_cmp_ne_u64_e32 vcc, 0, v[9:10]
	v_cmp_ne_u32_e64 s[28:29], 0, v13
	s_or_b64 s[28:29], s[28:29], vcc
                                        ; implicit-def: $vgpr8
	s_and_saveexec_b64 vcc, s[28:29]
	s_xor_b64 s[28:29], exec, vcc
; %bb.11934:                            ;   in Loop: Header=BB4_11910 Depth=3
	v_min_i32_e32 v8, 31, v13
	v_lshl_or_b32 v8, v8, 2, v11
	v_and_or_b32 v8, v9, 3, v8
                                        ; implicit-def: $vgpr11
; %bb.11935:                            ;   in Loop: Header=BB4_11910 Depth=3
	s_andn2_saveexec_b64 s[28:29], s[28:29]
; %bb.11936:                            ;   in Loop: Header=BB4_11910 Depth=3
	v_mov_b32_e32 v8, v11
; %bb.11937:                            ;   in Loop: Header=BB4_11910 Depth=3
	s_or_b64 exec, exec, s[28:29]
.LBB4_11938:                            ;   in Loop: Header=BB4_11910 Depth=3
	s_or_b64 exec, exec, s[36:37]
                                        ; implicit-def: $vgpr11
.LBB4_11939:                            ;   in Loop: Header=BB4_11910 Depth=3
	s_andn2_saveexec_b64 s[28:29], s[34:35]
; %bb.11940:                            ;   in Loop: Header=BB4_11910 Depth=3
	v_or_b32_e32 v8, 0x7b, v11
; %bb.11941:                            ;   in Loop: Header=BB4_11910 Depth=3
	s_or_b64 exec, exec, s[28:29]
                                        ; implicit-def: $vgpr13
                                        ; implicit-def: $vgpr9_vgpr10
.LBB4_11942:                            ;   in Loop: Header=BB4_11910 Depth=3
	s_andn2_saveexec_b64 s[28:29], s[40:41]
	s_cbranch_execz .LBB4_11948
; %bb.11943:                            ;   in Loop: Header=BB4_11910 Depth=3
	v_cmp_ne_u64_e32 vcc, 0, v[9:10]
                                        ; implicit-def: $vgpr8
	s_and_saveexec_b64 s[40:41], vcc
	s_xor_b64 s[40:41], exec, s[40:41]
; %bb.11944:                            ;   in Loop: Header=BB4_11910 Depth=3
	v_or_b32_sdwa v8, v13, s47 dst_sel:DWORD dst_unused:UNUSED_PAD src0_sel:BYTE_3 src1_sel:DWORD
                                        ; implicit-def: $vgpr13
; %bb.11945:                            ;   in Loop: Header=BB4_11910 Depth=3
	s_andn2_saveexec_b64 s[40:41], s[40:41]
; %bb.11946:                            ;   in Loop: Header=BB4_11910 Depth=3
	v_cmp_lt_i32_e32 vcc, -1, v13
	v_cndmask_b32_e32 v8, -4, v52, vcc
; %bb.11947:                            ;   in Loop: Header=BB4_11910 Depth=3
	s_or_b64 exec, exec, s[40:41]
.LBB4_11948:                            ;   in Loop: Header=BB4_11910 Depth=3
	s_or_b64 exec, exec, s[28:29]
	flat_load_sbyte v10, v[6:7] glc slc
	v_and_b32_e32 v14, 0xff, v8
	v_cmp_ne_u16_e32 vcc, 0, v14
	v_mov_b32_e32 v11, 0
	v_mov_b32_e32 v9, 0
	s_and_saveexec_b64 s[28:29], vcc
	s_cbranch_execz .LBB4_11956
; %bb.11949:                            ;   in Loop: Header=BB4_11910 Depth=3
	v_cmp_ne_u16_e32 vcc, s96, v14
	v_bfrev_b32_e32 v9, 1
	s_and_saveexec_b64 s[40:41], vcc
	s_cbranch_execz .LBB4_11955
; %bb.11950:                            ;   in Loop: Header=BB4_11910 Depth=3
	v_and_b32_e32 v9, 0x7c, v8
	v_and_b32_e32 v13, 3, v8
	v_cmp_ne_u32_e32 vcc, s85, v9
                                        ; implicit-def: $vgpr9
	s_and_saveexec_b64 s[34:35], vcc
	s_xor_b64 s[34:35], exec, s[34:35]
	s_cbranch_execz .LBB4_11952
; %bb.11951:                            ;   in Loop: Header=BB4_11910 Depth=3
	v_bfe_u32 v16, v14, 2, 5
	v_ffbh_u32_e32 v14, v13
	v_min_u32_e32 v18, 32, v14
	v_mov_b32_e32 v9, v17
	v_subrev_u32_e32 v14, 29, v18
	v_lshlrev_b64 v[14:15], v14, v[8:9]
	v_sub_u32_e32 v9, 30, v18
	v_cmp_eq_u32_e32 vcc, 0, v16
	v_lshlrev_b32_e32 v8, 24, v8
	v_and_b32_e32 v14, 3, v14
	v_cndmask_b32_e32 v9, v16, v9, vcc
	v_and_b32_e32 v8, 0x80000000, v8
	v_cndmask_b32_e32 v13, v13, v14, vcc
	v_lshl_add_u32 v8, v9, 23, v8
	v_lshl_or_b32 v8, v13, 21, v8
	v_add_u32_e32 v9, 0x38000000, v8
                                        ; implicit-def: $vgpr13
                                        ; implicit-def: $vgpr8
.LBB4_11952:                            ;   in Loop: Header=BB4_11910 Depth=3
	s_andn2_saveexec_b64 s[34:35], s[34:35]
; %bb.11953:                            ;   in Loop: Header=BB4_11910 Depth=3
	v_mov_b32_e32 v9, -1
	v_cmp_gt_i16_sdwa vcc, sext(v8), v9 src0_sel:BYTE_0 src1_sel:DWORD
	v_mov_b32_e32 v8, 0xff800000
	v_mov_b32_e32 v9, 0x7f800000
	v_cndmask_b32_e32 v8, v8, v9, vcc
	v_cmp_eq_u32_e32 vcc, 0, v13
	v_mov_b32_e32 v9, 0x7f800001
	v_cndmask_b32_e32 v9, v9, v8, vcc
; %bb.11954:                            ;   in Loop: Header=BB4_11910 Depth=3
	s_or_b64 exec, exec, s[34:35]
.LBB4_11955:                            ;   in Loop: Header=BB4_11910 Depth=3
	s_or_b64 exec, exec, s[40:41]
.LBB4_11956:                            ;   in Loop: Header=BB4_11910 Depth=3
	s_or_b64 exec, exec, s[28:29]
	s_waitcnt vmcnt(0) lgkmcnt(0)
	v_cmp_ne_u16_e32 vcc, 0, v10
	s_and_saveexec_b64 s[28:29], vcc
	s_cbranch_execz .LBB4_11964
; %bb.11957:                            ;   in Loop: Header=BB4_11910 Depth=3
	v_cmp_ne_u16_e32 vcc, s97, v10
	v_bfrev_b32_e32 v11, 1
	s_and_saveexec_b64 s[40:41], vcc
	s_cbranch_execz .LBB4_11963
; %bb.11958:                            ;   in Loop: Header=BB4_11910 Depth=3
	v_and_b32_e32 v11, 0x7c, v10
	v_and_b32_e32 v8, 3, v10
	v_cmp_ne_u32_e32 vcc, s85, v11
                                        ; implicit-def: $vgpr11
	s_and_saveexec_b64 s[34:35], vcc
	s_xor_b64 s[34:35], exec, s[34:35]
	s_cbranch_execz .LBB4_11960
; %bb.11959:                            ;   in Loop: Header=BB4_11910 Depth=3
	v_ffbh_u32_e32 v15, v8
	v_and_b32_e32 v11, 0xff, v10
	v_min_u32_e32 v15, 32, v15
	v_bfe_u32 v13, v11, 2, 5
	v_mov_b32_e32 v11, v17
	v_subrev_u32_e32 v16, 29, v15
	v_and_b32_sdwa v14, sext(v10), s86 dst_sel:DWORD dst_unused:UNUSED_PAD src0_sel:WORD_0 src1_sel:DWORD
	v_lshlrev_b64 v[10:11], v16, v[10:11]
	v_sub_u32_e32 v11, 30, v15
	v_cmp_eq_u32_e32 vcc, 0, v13
	v_and_b32_e32 v10, 3, v10
	v_cndmask_b32_e32 v11, v13, v11, vcc
	v_cndmask_b32_e32 v8, v8, v10, vcc
	v_lshl_add_u32 v10, v11, 23, v14
	v_lshl_or_b32 v8, v8, 21, v10
	v_add_u32_e32 v11, 0x38000000, v8
                                        ; implicit-def: $vgpr10
                                        ; implicit-def: $vgpr8
.LBB4_11960:                            ;   in Loop: Header=BB4_11910 Depth=3
	s_andn2_saveexec_b64 s[34:35], s[34:35]
; %bb.11961:                            ;   in Loop: Header=BB4_11910 Depth=3
	v_cmp_lt_i16_e32 vcc, -1, v10
	v_mov_b32_e32 v10, 0xff800000
	v_mov_b32_e32 v11, 0x7f800000
	v_cndmask_b32_e32 v10, v10, v11, vcc
	v_cmp_eq_u32_e32 vcc, 0, v8
	v_mov_b32_e32 v8, 0x7f800001
	v_cndmask_b32_e32 v11, v8, v10, vcc
; %bb.11962:                            ;   in Loop: Header=BB4_11910 Depth=3
	s_or_b64 exec, exec, s[34:35]
.LBB4_11963:                            ;   in Loop: Header=BB4_11910 Depth=3
	s_or_b64 exec, exec, s[40:41]
.LBB4_11964:                            ;   in Loop: Header=BB4_11910 Depth=3
	s_or_b64 exec, exec, s[28:29]
	v_add_f32_e32 v13, v9, v11
	v_and_b32_e32 v9, 0x7f800000, v13
	v_mov_b32_e32 v10, v17
	v_cmp_ne_u64_e32 vcc, s[76:77], v[9:10]
	v_and_b32_e32 v8, 0x7fffff, v13
	v_mov_b32_e32 v9, v17
                                        ; implicit-def: $vgpr10
	s_and_saveexec_b64 s[28:29], vcc
	s_xor_b64 s[40:41], exec, s[28:29]
	s_cbranch_execz .LBB4_11982
; %bb.11965:                            ;   in Loop: Header=BB4_11910 Depth=3
	v_and_b32_e32 v10, 0x7fffffff, v13
	v_mov_b32_e32 v11, v17
	v_cmp_gt_u64_e32 vcc, s[78:79], v[10:11]
	v_and_b32_sdwa v11, v13, s96 dst_sel:DWORD dst_unused:UNUSED_PAD src0_sel:BYTE_3 src1_sel:DWORD
                                        ; implicit-def: $vgpr10
	s_and_saveexec_b64 s[28:29], vcc
	s_xor_b64 s[34:35], exec, s[28:29]
	s_cbranch_execz .LBB4_11979
; %bb.11966:                            ;   in Loop: Header=BB4_11910 Depth=3
	v_cmp_ne_u32_e32 vcc, 0, v13
	v_mov_b32_e32 v10, 0
	s_and_saveexec_b64 s[36:37], vcc
	s_cbranch_execz .LBB4_11978
; %bb.11967:                            ;   in Loop: Header=BB4_11910 Depth=3
	v_bfe_u32 v13, v13, 23, 8
	v_cmp_gt_u32_e64 s[28:29], s46, v13
	v_sub_u32_e32 v10, 0x71, v13
	v_cmp_eq_u32_e32 vcc, 0, v13
	v_cndmask_b32_e64 v10, 0, v10, s[28:29]
	v_mov_b32_e32 v14, 0x70
	v_cndmask_b32_e32 v14, v10, v14, vcc
	v_or_b32_e32 v15, 0x800000, v8
	v_add_u32_e32 v10, 21, v14
	v_cndmask_b32_e32 v8, v15, v8, vcc
	v_lshlrev_b64 v[15:16], v10, -1
	v_add_u32_e32 v10, 20, v14
	v_bfi_b32 v15, v15, 0, v8
	v_lshlrev_b64 v[18:19], v10, 1
	v_lshrrev_b64 v[8:9], v14, v[8:9]
	v_bfi_b32 v16, v16, 0, 0
	v_cmp_eq_u64_e64 s[28:29], v[15:16], v[18:19]
	v_mov_b32_e32 v10, v9
	v_mov_b32_e32 v9, v8
	s_and_saveexec_b64 s[38:39], s[28:29]
; %bb.11968:                            ;   in Loop: Header=BB4_11910 Depth=3
	v_bfe_u32 v9, v8, 21, 1
	v_add_co_u32_e64 v9, s[28:29], v8, v9
	v_add_co_u32_e64 v9, s[28:29], -1, v9
; %bb.11969:                            ;   in Loop: Header=BB4_11910 Depth=3
	s_or_b64 exec, exec, s[38:39]
	v_add_u32_e32 v10, 0xffffff81, v13
	v_mov_b32_e32 v13, 0xffffff82
	v_cndmask_b32_e32 v10, v10, v13, vcc
	v_lshrrev_b32_e32 v13, 23, v8
	v_add3_u32 v14, v14, v10, v13
	v_add_u32_e32 v10, 14, v14
	v_and_b32_e32 v9, 0x1fffff, v9
	v_add_u32_e32 v8, v9, v8
	v_mov_b32_e32 v9, v17
	v_cmp_ne_u32_e32 vcc, 0, v10
                                        ; implicit-def: $vgpr13
	s_and_saveexec_b64 s[28:29], vcc
	s_xor_b64 s[28:29], exec, s[28:29]
; %bb.11970:                            ;   in Loop: Header=BB4_11910 Depth=3
	v_cmp_lt_u64_e32 vcc, s[88:89], v[8:9]
	v_add_u32_e32 v13, 15, v14
	v_cndmask_b32_e32 v13, v10, v13, vcc
	v_cndmask_b32_e64 v10, 0, 1, vcc
	v_lshrrev_b64 v[8:9], v10, v[8:9]
; %bb.11971:                            ;   in Loop: Header=BB4_11910 Depth=3
	s_andn2_saveexec_b64 s[28:29], s[28:29]
; %bb.11972:                            ;   in Loop: Header=BB4_11910 Depth=3
	v_bfe_u32 v13, v8, 23, 1
; %bb.11973:                            ;   in Loop: Header=BB4_11910 Depth=3
	s_or_b64 exec, exec, s[28:29]
	v_lshrrev_b64 v[8:9], 21, v[8:9]
	v_cmp_gt_i32_e32 vcc, 32, v13
	v_cndmask_b32_e32 v9, 0, v9, vcc
	v_cndmask_b32_e32 v8, 3, v8, vcc
	v_cmp_ne_u64_e32 vcc, 0, v[8:9]
	v_cmp_ne_u32_e64 s[28:29], 0, v13
	s_or_b64 s[28:29], s[28:29], vcc
                                        ; implicit-def: $vgpr10
	s_and_saveexec_b64 vcc, s[28:29]
	s_xor_b64 s[28:29], exec, vcc
; %bb.11974:                            ;   in Loop: Header=BB4_11910 Depth=3
	v_min_i32_e32 v9, 31, v13
	v_lshl_or_b32 v9, v9, 2, v11
	v_and_or_b32 v10, v8, 3, v9
                                        ; implicit-def: $vgpr11
; %bb.11975:                            ;   in Loop: Header=BB4_11910 Depth=3
	s_andn2_saveexec_b64 s[28:29], s[28:29]
; %bb.11976:                            ;   in Loop: Header=BB4_11910 Depth=3
	v_mov_b32_e32 v10, v11
; %bb.11977:                            ;   in Loop: Header=BB4_11910 Depth=3
	s_or_b64 exec, exec, s[28:29]
.LBB4_11978:                            ;   in Loop: Header=BB4_11910 Depth=3
	s_or_b64 exec, exec, s[36:37]
                                        ; implicit-def: $vgpr11
.LBB4_11979:                            ;   in Loop: Header=BB4_11910 Depth=3
	s_andn2_saveexec_b64 s[28:29], s[34:35]
; %bb.11980:                            ;   in Loop: Header=BB4_11910 Depth=3
	v_or_b32_e32 v10, 0x7b, v11
; %bb.11981:                            ;   in Loop: Header=BB4_11910 Depth=3
	s_or_b64 exec, exec, s[28:29]
                                        ; implicit-def: $vgpr13
                                        ; implicit-def: $vgpr8_vgpr9
.LBB4_11982:                            ;   in Loop: Header=BB4_11910 Depth=3
	s_andn2_saveexec_b64 s[28:29], s[40:41]
	s_cbranch_execz .LBB4_11988
; %bb.11983:                            ;   in Loop: Header=BB4_11910 Depth=3
	v_cmp_ne_u64_e32 vcc, 0, v[8:9]
                                        ; implicit-def: $vgpr10
	s_and_saveexec_b64 s[40:41], vcc
	s_xor_b64 s[40:41], exec, s[40:41]
; %bb.11984:                            ;   in Loop: Header=BB4_11910 Depth=3
	v_or_b32_sdwa v10, v13, s47 dst_sel:DWORD dst_unused:UNUSED_PAD src0_sel:BYTE_3 src1_sel:DWORD
                                        ; implicit-def: $vgpr13
; %bb.11985:                            ;   in Loop: Header=BB4_11910 Depth=3
	s_andn2_saveexec_b64 s[40:41], s[40:41]
; %bb.11986:                            ;   in Loop: Header=BB4_11910 Depth=3
	v_cmp_lt_i32_e32 vcc, -1, v13
	v_cndmask_b32_e32 v10, -4, v52, vcc
; %bb.11987:                            ;   in Loop: Header=BB4_11910 Depth=3
	s_or_b64 exec, exec, s[40:41]
.LBB4_11988:                            ;   in Loop: Header=BB4_11910 Depth=3
	s_or_b64 exec, exec, s[28:29]
	s_mov_b64 s[36:37], 0
	s_mov_b64 s[34:35], -1
.LBB4_11989:                            ;   Parent Loop BB4_47 Depth=1
                                        ;     Parent Loop BB4_7595 Depth=2
                                        ;       Parent Loop BB4_11910 Depth=3
                                        ; =>      This Inner Loop Header: Depth=4
	s_cmp_eq_u32 s36, 1
	s_cselect_b64 vcc, -1, 0
	v_cndmask_b32_e32 v9, v1, v3, vcc
	v_cndmask_b32_e32 v8, v0, v2, vcc
	flat_store_byte v[8:9], v10 glc slc
	v_add_co_u32_e64 v8, s[28:29], 64, v8
	s_cmp_eq_u32 s36, 0
	v_addc_co_u32_e64 v9, s[28:29], 0, v9, s[28:29]
	s_cselect_b64 s[28:29], -1, 0
	s_and_b64 s[40:41], exec, s[34:35]
	s_mov_b64 s[36:37], 1
	s_mov_b64 s[34:35], 0
	v_cndmask_b32_e32 v3, v3, v9, vcc
	v_cndmask_b32_e32 v2, v2, v8, vcc
	v_cndmask_b32_e64 v1, v1, v9, s[28:29]
	v_cndmask_b32_e64 v0, v0, v8, s[28:29]
	s_mov_b64 vcc, s[40:41]
	s_cbranch_vccnz .LBB4_11989
; %bb.11990:                            ;   in Loop: Header=BB4_11910 Depth=3
	buffer_load_dword v8, off, s[0:3], s33 offset:164 ; 4-byte Folded Reload
	buffer_load_dword v9, off, s[0:3], s33 offset:168 ; 4-byte Folded Reload
	;; [unrolled: 1-line block ×3, first 2 shown]
	s_waitcnt vmcnt(0)
	v_add_co_u32_e32 v4, vcc, v4, v8
	v_addc_co_u32_e32 v5, vcc, v5, v9, vcc
	v_add_co_u32_e32 v6, vcc, v6, v8
	v_addc_co_u32_e32 v7, vcc, v7, v9, vcc
	buffer_load_dword v9, off, s[0:3], s33 offset:156 ; 4-byte Folded Reload
	buffer_load_dword v8, off, s[0:3], s33 offset:108 ; 4-byte Folded Reload
	s_waitcnt vmcnt(0)
	v_add_co_u32_e32 v0, vcc, v0, v9
	v_addc_co_u32_e32 v1, vcc, v1, v10, vcc
	v_sub_u32_e32 v12, v12, v8
	v_cmp_gt_i32_e32 vcc, 1, v12
	s_or_b64 s[30:31], vcc, s[30:31]
	v_add_co_u32_e32 v2, vcc, v2, v9
	v_addc_co_u32_e32 v3, vcc, v3, v10, vcc
	s_andn2_b64 exec, exec, s[30:31]
	s_cbranch_execnz .LBB4_11910
.LBB4_11991:                            ;   in Loop: Header=BB4_7595 Depth=2
	s_or_b64 exec, exec, s[42:43]
	s_branch .LBB4_16310
.LBB4_11992:                            ;   in Loop: Header=BB4_7595 Depth=2
	s_mov_b64 s[40:41], -1
	s_and_saveexec_b64 s[28:29], s[24:25]
	s_cbranch_execz .LBB4_11994
; %bb.11993:                            ;   in Loop: Header=BB4_7595 Depth=2
	ds_read_b32 v0, v0 offset:720
	s_waitcnt lgkmcnt(0)
	v_and_b32_e32 v0, 15, v0
	v_cmp_eq_u32_e32 vcc, 0, v0
	s_orn2_b64 s[40:41], vcc, exec
.LBB4_11994:                            ;   in Loop: Header=BB4_7595 Depth=2
	s_or_b64 exec, exec, s[28:29]
	s_and_saveexec_b64 s[28:29], s[14:15]
	s_cbranch_execz .LBB4_11996
; %bb.11995:                            ;   in Loop: Header=BB4_7595 Depth=2
	ds_read_b32 v0, v0 offset:784
	s_waitcnt lgkmcnt(0)
	v_and_b32_e32 v0, 15, v0
	v_cmp_eq_u32_e32 vcc, 0, v0
	s_and_b64 s[42:43], s[40:41], vcc
	s_andn2_b64 s[40:41], s[40:41], exec
	s_and_b64 s[42:43], s[42:43], exec
	s_or_b64 s[40:41], s[40:41], s[42:43]
.LBB4_11996:                            ;   in Loop: Header=BB4_7595 Depth=2
	s_or_b64 exec, exec, s[28:29]
	buffer_load_dword v23, off, s[0:3], s33 offset:204 ; 4-byte Folded Reload
	buffer_load_dword v2, off, s[0:3], s33 offset:176 ; 4-byte Folded Reload
	s_xor_b64 s[40:41], s[40:41], -1
	v_cndmask_b32_e64 v0, 0, 1, s[40:41]
	s_mov_b64 s[28:29], -1
	v_mov_b32_e32 v29, 0
	v_cmp_ne_u32_e32 vcc, 0, v0
	s_cbranch_vccz .LBB4_11998
; %bb.11997:                            ;   in Loop: Header=BB4_7595 Depth=2
	s_and_saveexec_b64 s[40:41], s[28:29]
	s_cbranch_execnz .LBB4_15065
	s_branch .LBB4_16309
.LBB4_11998:                            ;   in Loop: Header=BB4_7595 Depth=2
	buffer_load_dword v1, off, s[0:3], s33 offset:204 ; 4-byte Folded Reload
	s_waitcnt vmcnt(0)
	v_ashrrev_i32_e32 v0, 31, v1
	v_lshrrev_b32_e32 v0, 21, v0
	v_add_u32_e32 v0, v1, v0
	v_ashrrev_i32_e32 v48, 11, v0
	buffer_load_dword v0, off, s[0:3], s33 offset:220 ; 4-byte Folded Reload
	s_waitcnt vmcnt(0)
	v_sub_u32_e32 v4, v48, v0
	v_cmp_lt_i32_e32 vcc, 0, v4
	s_and_saveexec_b64 s[42:43], vcc
	s_cbranch_execz .LBB4_14058
; %bb.11999:                            ;   in Loop: Header=BB4_7595 Depth=2
	s_trap 2
	ds_read_b64 v[0:1], v0
	buffer_load_dword v2, off, s[0:3], s33 offset:360 ; 4-byte Folded Reload
	buffer_load_dword v5, off, s[0:3], s33 offset:212 ; 4-byte Folded Reload
	;; [unrolled: 1-line block ×3, first 2 shown]
	s_waitcnt lgkmcnt(0)
	v_readfirstlane_b32 s40, v0
	s_bfe_i32 s30, s40, 0x80000
	s_and_b32 s41, s40, 3
	s_bfe_u32 s28, s40, 0x50002
	s_and_b32 s29, s40, 0x7c
	s_cmpk_eq_i32 s29, 0x7c
	s_flbit_i32_b32 s29, s41
	s_waitcnt vmcnt(1)
	v_add_co_u32_e32 v42, vcc, v5, v2
	s_waitcnt vmcnt(0)
	v_addc_co_u32_e32 v43, vcc, 0, v6, vcc
	buffer_load_dword v5, off, s[0:3], s33 offset:228 ; 4-byte Folded Reload
	buffer_load_dword v6, off, s[0:3], s33 offset:232 ; 4-byte Folded Reload
	v_add_co_u32_e32 v44, vcc, v0, v2
	v_addc_co_u32_e32 v45, vcc, 0, v1, vcc
	s_waitcnt vmcnt(1)
	v_add_co_u32_e32 v46, vcc, v5, v2
	s_waitcnt vmcnt(0)
	v_addc_co_u32_e32 v47, vcc, 0, v6, vcc
	s_cselect_b64 vcc, -1, 0
	s_min_u32 s29, s29, 32
	s_sub_i32 s31, s29, 29
	v_lshlrev_b64 v[0:1], s31, v[0:1]
	s_sub_i32 s29, 30, s29
	s_cmp_eq_u32 s28, 0
	v_and_b32_e32 v0, 3, v0
	s_cselect_b32 s31, s29, s28
	v_mov_b32_e32 v1, s41
	s_cselect_b64 s[28:29], -1, 0
	v_cndmask_b32_e64 v0, v1, v0, s[28:29]
	s_lshl_b32 s28, s40, 24
	s_and_b32 s28, s28, 0x80000000
	s_lshl_b32 s29, s31, 23
	s_add_i32 s29, s29, s28
	v_lshlrev_b32_e32 v0, 21, v0
	s_cmp_eq_u32 s41, 0
	s_sext_i32_i8 s40, s40
	v_or_b32_e32 v0, s29, v0
	s_cselect_b64 s[28:29], -1, 0
	s_cmp_gt_i32 s40, -1
	s_cselect_b64 s[40:41], -1, 0
	v_mov_b32_e32 v1, 0xff800000
	v_mov_b32_e32 v2, 0x7f800000
	v_cndmask_b32_e64 v1, v1, v2, s[40:41]
	v_mov_b32_e32 v2, 0x7f800001
	v_add_u32_e32 v0, 0x38000000, v0
	v_cndmask_b32_e64 v1, v2, v1, s[28:29]
	v_cndmask_b32_e32 v49, v0, v1, vcc
	s_mov_b64 s[40:41], 0
	s_and_b32 s48, s30, 0xff
	s_branch .LBB4_12002
.LBB4_12000:                            ;   in Loop: Header=BB4_12002 Depth=3
	s_or_b64 exec, exec, s[30:31]
.LBB4_12001:                            ;   in Loop: Header=BB4_12002 Depth=3
	s_or_b64 exec, exec, s[28:29]
	v_lshl_or_b32 v0, v51, 8, v36
	v_lshlrev_b32_e32 v1, 16, v40
	v_lshlrev_b32_e32 v5, 24, v12
	v_or3_b32 v11, v0, v1, v5
	v_lshl_or_b32 v0, v18, 8, v7
	v_lshlrev_b32_e32 v1, 16, v22
	v_lshlrev_b32_e32 v5, 24, v31
	v_or3_b32 v10, v0, v1, v5
	;; [unrolled: 4-line block ×3, first 2 shown]
	v_lshlrev_b32_e32 v0, 24, v14
	v_lshlrev_b32_e32 v1, 16, v54
	v_lshl_or_b32 v5, v50, 8, v32
	v_or3_b32 v13, v5, v1, v0
	v_lshl_or_b32 v0, v30, 8, v21
	v_lshlrev_b32_e32 v1, 16, v34
	v_lshlrev_b32_e32 v5, 24, v8
	v_or3_b32 v22, v0, v1, v5
	v_lshl_or_b32 v0, v25, 8, v15
	v_lshlrev_b32_e32 v1, 16, v35
	v_lshlrev_b32_e32 v5, 24, v39
	;; [unrolled: 4-line block ×3, first 2 shown]
	v_or3_b32 v23, v0, v1, v5
	v_lshlrev_b32_e32 v0, 24, v2
	v_lshlrev_b32_e32 v1, 16, v3
	v_lshl_or_b32 v2, v20, 8, v16
	v_or3_b32 v24, v2, v1, v0
	global_store_dwordx4 v[46:47], v[10:13], off glc slc
	global_store_dwordx4 v[46:47], v[21:24], off offset:1024 glc slc
	buffer_load_dword v1, off, s[0:3], s33 offset:112 ; 4-byte Folded Reload
	buffer_load_dword v0, off, s[0:3], s33 offset:92 ; 4-byte Folded Reload
	s_waitcnt vmcnt(1)
	v_add_co_u32_e32 v42, vcc, v42, v1
	v_addc_co_u32_e32 v43, vcc, 0, v43, vcc
	v_add_co_u32_e32 v44, vcc, v44, v1
	v_addc_co_u32_e32 v45, vcc, 0, v45, vcc
	s_waitcnt vmcnt(0)
	v_sub_u32_e32 v4, v4, v0
	v_cmp_gt_i32_e32 vcc, 1, v4
	s_or_b64 s[40:41], vcc, s[40:41]
	v_add_co_u32_e32 v46, vcc, v46, v1
	v_addc_co_u32_e32 v47, vcc, 0, v47, vcc
	s_andn2_b64 exec, exec, s[40:41]
	s_cbranch_execz .LBB4_14057
.LBB4_12002:                            ;   Parent Loop BB4_47 Depth=1
                                        ;     Parent Loop BB4_7595 Depth=2
                                        ; =>    This Inner Loop Header: Depth=3
	s_cmpk_lt_i32 s48, 0x80
	s_cbranch_scc1 .LBB4_12006
; %bb.12003:                            ;   in Loop: Header=BB4_12002 Depth=3
	s_and_b32 vcc_lo, 0xffff, s48
	s_mov_b64 s[28:29], -1
	s_cmpk_eq_i32 vcc_lo, 0x80
	s_cbranch_scc0 .LBB4_12005
; %bb.12004:                            ;   in Loop: Header=BB4_12002 Depth=3
	s_mov_b64 s[28:29], 0
.LBB4_12005:                            ;   in Loop: Header=BB4_12002 Depth=3
	s_brev_b32 s30, 1
	s_branch .LBB4_12008
.LBB4_12006:                            ;   in Loop: Header=BB4_12002 Depth=3
	s_mov_b64 s[28:29], 0
	s_brev_b32 s30, 1
	s_cbranch_execz .LBB4_12008
; %bb.12007:                            ;   in Loop: Header=BB4_12002 Depth=3
	s_and_b32 s28, 0xffff, s48
	s_cmp_lg_u32 s28, 0
	s_mov_b32 s30, 0
	s_cselect_b64 s[28:29], -1, 0
.LBB4_12008:                            ;   in Loop: Header=BB4_12002 Depth=3
	s_andn2_b64 vcc, exec, s[28:29]
	v_mov_b32_e32 v12, s30
	s_cbranch_vccnz .LBB4_12010
; %bb.12009:                            ;   in Loop: Header=BB4_12002 Depth=3
	v_mov_b32_e32 v12, v49
.LBB4_12010:                            ;   in Loop: Header=BB4_12002 Depth=3
	global_load_dwordx4 v[8:11], v[42:43], off glc slc
	v_mov_b32_e32 v0, 0
	s_waitcnt vmcnt(0)
	v_cmp_ne_u16_sdwa vcc, v8, v17 src0_sel:BYTE_0 src1_sel:DWORD
	s_and_saveexec_b64 s[28:29], vcc
	s_cbranch_execz .LBB4_12018
; %bb.12011:                            ;   in Loop: Header=BB4_12002 Depth=3
	v_cmp_ne_u16_sdwa vcc, sext(v8), s97 src0_sel:BYTE_0 src1_sel:DWORD
	v_bfrev_b32_e32 v0, 1
	s_and_saveexec_b64 s[30:31], vcc
	s_cbranch_execz .LBB4_12017
; %bb.12012:                            ;   in Loop: Header=BB4_12002 Depth=3
	v_and_b32_e32 v0, 0x7c, v8
	v_and_b32_e32 v1, 3, v8
	v_cmp_ne_u32_e32 vcc, s85, v0
                                        ; implicit-def: $vgpr0
	s_and_saveexec_b64 s[34:35], vcc
	s_xor_b64 s[34:35], exec, s[34:35]
	s_cbranch_execz .LBB4_12014
; %bb.12013:                            ;   in Loop: Header=BB4_12002 Depth=3
	v_ffbh_u32_e32 v2, v1
	v_min_u32_e32 v5, 32, v2
	v_subrev_u32_e32 v2, 29, v5
	v_lshlrev_b64 v[2:3], v2, v[8:9]
	v_bfe_u32 v0, v8, 2, 5
	v_and_b32_e32 v2, 3, v2
	v_cmp_eq_u32_e32 vcc, 0, v0
	v_sub_u32_e32 v3, 30, v5
	v_cndmask_b32_e32 v1, v1, v2, vcc
	v_lshlrev_b32_e32 v2, 24, v8
	v_cndmask_b32_e32 v0, v0, v3, vcc
	v_and_b32_e32 v2, 0x80000000, v2
	v_lshl_add_u32 v0, v0, 23, v2
	v_lshl_or_b32 v0, v1, 21, v0
	v_add_u32_e32 v0, 0x38000000, v0
                                        ; implicit-def: $vgpr1
.LBB4_12014:                            ;   in Loop: Header=BB4_12002 Depth=3
	s_andn2_saveexec_b64 s[34:35], s[34:35]
; %bb.12015:                            ;   in Loop: Header=BB4_12002 Depth=3
	v_mov_b32_e32 v0, -1
	v_cmp_gt_i16_sdwa vcc, sext(v8), v0 src0_sel:BYTE_0 src1_sel:DWORD
	v_mov_b32_e32 v0, 0xff800000
	v_mov_b32_e32 v2, 0x7f800000
	v_cndmask_b32_e32 v0, v0, v2, vcc
	v_cmp_eq_u32_e32 vcc, 0, v1
	v_mov_b32_e32 v1, 0x7f800001
	v_cndmask_b32_e32 v0, v1, v0, vcc
; %bb.12016:                            ;   in Loop: Header=BB4_12002 Depth=3
	s_or_b64 exec, exec, s[34:35]
.LBB4_12017:                            ;   in Loop: Header=BB4_12002 Depth=3
	s_or_b64 exec, exec, s[30:31]
.LBB4_12018:                            ;   in Loop: Header=BB4_12002 Depth=3
	s_or_b64 exec, exec, s[28:29]
	v_mul_f32_e32 v2, v12, v0
	v_and_b32_e32 v13, 0x7f800000, v2
	v_mov_b32_e32 v14, v17
	v_cmp_ne_u64_e32 vcc, s[76:77], v[13:14]
	v_and_b32_e32 v0, 0x7fffff, v2
	v_mov_b32_e32 v1, v17
                                        ; implicit-def: $vgpr7
	s_and_saveexec_b64 s[28:29], vcc
	s_xor_b64 s[30:31], exec, s[28:29]
	s_cbranch_execz .LBB4_12032
; %bb.12019:                            ;   in Loop: Header=BB4_12002 Depth=3
	v_and_b32_e32 v13, 0x7fffffff, v2
	v_mov_b32_e32 v14, v17
	v_cmp_gt_u64_e32 vcc, s[78:79], v[13:14]
	v_and_b32_sdwa v3, v2, s96 dst_sel:DWORD dst_unused:UNUSED_PAD src0_sel:BYTE_3 src1_sel:DWORD
                                        ; implicit-def: $vgpr7
	s_and_saveexec_b64 s[28:29], vcc
	s_xor_b64 s[34:35], exec, s[28:29]
	s_cbranch_execz .LBB4_12029
; %bb.12020:                            ;   in Loop: Header=BB4_12002 Depth=3
	v_mov_b32_e32 v7, 0
	v_cmp_ne_u32_e32 vcc, 0, v2
	s_and_saveexec_b64 s[36:37], vcc
	s_cbranch_execz .LBB4_12028
; %bb.12021:                            ;   in Loop: Header=BB4_12002 Depth=3
	v_bfe_u32 v7, v2, 23, 8
	v_cmp_gt_u32_e64 s[28:29], s46, v7
	v_sub_u32_e32 v2, 0x71, v7
	v_cmp_eq_u32_e32 vcc, 0, v7
	v_cndmask_b32_e64 v2, 0, v2, s[28:29]
	v_mov_b32_e32 v6, 0x70
	v_cndmask_b32_e32 v13, v2, v6, vcc
	v_add_u32_e32 v2, 21, v13
	v_or_b32_e32 v5, 0x800000, v0
	v_lshlrev_b64 v[14:15], v2, -1
	v_cndmask_b32_e32 v0, v5, v0, vcc
	v_add_u32_e32 v2, 20, v13
	v_bfi_b32 v14, v14, 0, v0
	v_lshlrev_b64 v[18:19], v2, 1
	v_lshrrev_b64 v[0:1], v13, v[0:1]
	v_bfi_b32 v15, v15, 0, 0
	v_cmp_eq_u64_e64 s[28:29], v[14:15], v[18:19]
	v_mov_b32_e32 v2, v1
	v_mov_b32_e32 v1, v0
	s_and_saveexec_b64 s[38:39], s[28:29]
; %bb.12022:                            ;   in Loop: Header=BB4_12002 Depth=3
	v_bfe_u32 v1, v0, 21, 1
	v_add_co_u32_e64 v1, s[28:29], v0, v1
	v_add_co_u32_e64 v1, s[28:29], -1, v1
; %bb.12023:                            ;   in Loop: Header=BB4_12002 Depth=3
	s_or_b64 exec, exec, s[38:39]
	v_add_u32_e32 v2, 0xffffff81, v7
	v_mov_b32_e32 v5, 0xffffff82
	v_cndmask_b32_e32 v2, v2, v5, vcc
	v_lshrrev_b32_e32 v5, 23, v0
	v_add3_u32 v13, v13, v2, v5
	v_add_u32_e32 v7, 14, v13
	v_and_b32_e32 v1, 0x1fffff, v1
	v_add_u32_e32 v0, v1, v0
	v_mov_b32_e32 v1, v17
	v_cmp_ne_u32_e32 vcc, 0, v7
                                        ; implicit-def: $vgpr2
	s_and_saveexec_b64 s[28:29], vcc
	s_xor_b64 s[28:29], exec, s[28:29]
; %bb.12024:                            ;   in Loop: Header=BB4_12002 Depth=3
	v_cmp_lt_u64_e32 vcc, s[88:89], v[0:1]
	v_add_u32_e32 v2, 15, v13
	v_cndmask_b32_e64 v5, 0, 1, vcc
	v_cndmask_b32_e32 v2, v7, v2, vcc
	v_lshrrev_b64 v[0:1], v5, v[0:1]
; %bb.12025:                            ;   in Loop: Header=BB4_12002 Depth=3
	s_andn2_saveexec_b64 s[28:29], s[28:29]
; %bb.12026:                            ;   in Loop: Header=BB4_12002 Depth=3
	v_bfe_u32 v2, v0, 23, 1
; %bb.12027:                            ;   in Loop: Header=BB4_12002 Depth=3
	s_or_b64 exec, exec, s[28:29]
	v_lshrrev_b64 v[0:1], 21, v[0:1]
	v_cmp_gt_i32_e32 vcc, 32, v2
	v_cndmask_b32_e32 v1, 0, v1, vcc
	v_cndmask_b32_e32 v0, 3, v0, vcc
	v_cmp_eq_u64_e64 s[28:29], 0, v[0:1]
	v_min_i32_e32 v1, 31, v2
	v_lshlrev_b32_e32 v1, 2, v1
	v_cmp_eq_u32_e32 vcc, 0, v2
	v_and_b32_e32 v1, 0xfc, v1
	v_and_or_b32 v0, v0, 3, v1
	s_and_b64 s[28:29], vcc, s[28:29]
	v_cndmask_b32_e64 v0, v0, 0, s[28:29]
	v_or_b32_e32 v7, v0, v3
.LBB4_12028:                            ;   in Loop: Header=BB4_12002 Depth=3
	s_or_b64 exec, exec, s[36:37]
                                        ; implicit-def: $vgpr3
.LBB4_12029:                            ;   in Loop: Header=BB4_12002 Depth=3
	s_andn2_saveexec_b64 s[28:29], s[34:35]
; %bb.12030:                            ;   in Loop: Header=BB4_12002 Depth=3
	v_or_b32_e32 v7, 0x7b, v3
; %bb.12031:                            ;   in Loop: Header=BB4_12002 Depth=3
	s_or_b64 exec, exec, s[28:29]
                                        ; implicit-def: $vgpr2
                                        ; implicit-def: $vgpr0_vgpr1
.LBB4_12032:                            ;   in Loop: Header=BB4_12002 Depth=3
	s_andn2_saveexec_b64 s[28:29], s[30:31]
	s_cbranch_execz .LBB4_12038
; %bb.12033:                            ;   in Loop: Header=BB4_12002 Depth=3
	v_cmp_ne_u64_e32 vcc, 0, v[0:1]
                                        ; implicit-def: $vgpr7
	s_and_saveexec_b64 s[30:31], vcc
	s_xor_b64 vcc, exec, s[30:31]
; %bb.12034:                            ;   in Loop: Header=BB4_12002 Depth=3
	v_or_b32_sdwa v7, v2, s47 dst_sel:DWORD dst_unused:UNUSED_PAD src0_sel:BYTE_3 src1_sel:DWORD
                                        ; implicit-def: $vgpr2
; %bb.12035:                            ;   in Loop: Header=BB4_12002 Depth=3
	s_andn2_saveexec_b64 s[30:31], vcc
; %bb.12036:                            ;   in Loop: Header=BB4_12002 Depth=3
	v_cmp_lt_i32_e32 vcc, -1, v2
	v_bfrev_b32_e32 v0, 0.5
	v_cndmask_b32_e32 v7, v0, v52, vcc
; %bb.12037:                            ;   in Loop: Header=BB4_12002 Depth=3
	s_or_b64 exec, exec, s[30:31]
.LBB4_12038:                            ;   in Loop: Header=BB4_12002 Depth=3
	s_or_b64 exec, exec, s[28:29]
	v_lshrrev_b16_e32 v0, 8, v8
	v_cmp_ne_u16_e32 vcc, 0, v0
	v_mov_b32_e32 v1, 0
	s_and_saveexec_b64 s[28:29], vcc
	s_cbranch_execz .LBB4_12046
; %bb.12039:                            ;   in Loop: Header=BB4_12002 Depth=3
	v_cmp_ne_u16_e32 vcc, s96, v0
	v_bfrev_b32_e32 v1, 1
	s_and_saveexec_b64 s[30:31], vcc
	s_cbranch_execz .LBB4_12045
; %bb.12040:                            ;   in Loop: Header=BB4_12002 Depth=3
	v_and_b32_e32 v1, 0x7c, v0
	v_and_b32_e32 v2, 3, v0
	v_cmp_ne_u32_e32 vcc, s85, v1
                                        ; implicit-def: $vgpr1
	s_and_saveexec_b64 s[34:35], vcc
	s_xor_b64 s[34:35], exec, s[34:35]
	s_cbranch_execz .LBB4_12042
; %bb.12041:                            ;   in Loop: Header=BB4_12002 Depth=3
	v_ffbh_u32_e32 v5, v2
	v_min_u32_e32 v5, 32, v5
	v_mov_b32_e32 v1, v17
	v_subrev_u32_e32 v6, 29, v5
	v_bfe_u32 v3, v0, 2, 5
	v_lshlrev_b64 v[0:1], v6, v[0:1]
	v_cmp_eq_u32_e32 vcc, 0, v3
	v_and_b32_e32 v0, 3, v0
	v_sub_u32_e32 v1, 30, v5
	v_cndmask_b32_e32 v0, v2, v0, vcc
	v_lshlrev_b32_e32 v2, 16, v8
	v_cndmask_b32_e32 v1, v3, v1, vcc
	v_and_b32_e32 v2, 0x80000000, v2
	v_lshl_add_u32 v1, v1, 23, v2
	v_lshl_or_b32 v0, v0, 21, v1
	v_add_u32_e32 v1, 0x38000000, v0
                                        ; implicit-def: $vgpr2
.LBB4_12042:                            ;   in Loop: Header=BB4_12002 Depth=3
	s_andn2_saveexec_b64 s[34:35], s[34:35]
; %bb.12043:                            ;   in Loop: Header=BB4_12002 Depth=3
	v_cmp_lt_i16_e32 vcc, -1, v8
	v_mov_b32_e32 v0, 0xff800000
	v_mov_b32_e32 v1, 0x7f800000
	v_cndmask_b32_e32 v0, v0, v1, vcc
	v_cmp_eq_u32_e32 vcc, 0, v2
	v_mov_b32_e32 v1, 0x7f800001
	v_cndmask_b32_e32 v1, v1, v0, vcc
; %bb.12044:                            ;   in Loop: Header=BB4_12002 Depth=3
	s_or_b64 exec, exec, s[34:35]
.LBB4_12045:                            ;   in Loop: Header=BB4_12002 Depth=3
	s_or_b64 exec, exec, s[30:31]
.LBB4_12046:                            ;   in Loop: Header=BB4_12002 Depth=3
	s_or_b64 exec, exec, s[28:29]
	v_mul_f32_e32 v2, v12, v1
	v_and_b32_e32 v13, 0x7f800000, v2
	v_mov_b32_e32 v14, v17
	v_cmp_ne_u64_e32 vcc, s[76:77], v[13:14]
	v_and_b32_e32 v0, 0x7fffff, v2
	v_mov_b32_e32 v1, v17
                                        ; implicit-def: $vgpr18
	s_and_saveexec_b64 s[28:29], vcc
	s_xor_b64 s[30:31], exec, s[28:29]
	s_cbranch_execz .LBB4_12060
; %bb.12047:                            ;   in Loop: Header=BB4_12002 Depth=3
	v_and_b32_e32 v13, 0x7fffffff, v2
	v_mov_b32_e32 v14, v17
	v_cmp_gt_u64_e32 vcc, s[78:79], v[13:14]
	v_and_b32_sdwa v3, v2, s96 dst_sel:DWORD dst_unused:UNUSED_PAD src0_sel:BYTE_3 src1_sel:DWORD
                                        ; implicit-def: $vgpr18
	s_and_saveexec_b64 s[28:29], vcc
	s_xor_b64 s[34:35], exec, s[28:29]
	s_cbranch_execz .LBB4_12057
; %bb.12048:                            ;   in Loop: Header=BB4_12002 Depth=3
	v_mov_b32_e32 v18, 0
	v_cmp_ne_u32_e32 vcc, 0, v2
	s_and_saveexec_b64 s[36:37], vcc
	s_cbranch_execz .LBB4_12056
; %bb.12049:                            ;   in Loop: Header=BB4_12002 Depth=3
	v_bfe_u32 v13, v2, 23, 8
	v_cmp_gt_u32_e64 s[28:29], s46, v13
	v_sub_u32_e32 v2, 0x71, v13
	v_cmp_eq_u32_e32 vcc, 0, v13
	v_cndmask_b32_e64 v2, 0, v2, s[28:29]
	v_mov_b32_e32 v6, 0x70
	v_cndmask_b32_e32 v14, v2, v6, vcc
	v_add_u32_e32 v2, 21, v14
	v_or_b32_e32 v5, 0x800000, v0
	v_lshlrev_b64 v[15:16], v2, -1
	v_cndmask_b32_e32 v0, v5, v0, vcc
	v_add_u32_e32 v2, 20, v14
	v_bfi_b32 v15, v15, 0, v0
	v_lshlrev_b64 v[18:19], v2, 1
	v_lshrrev_b64 v[0:1], v14, v[0:1]
	v_bfi_b32 v16, v16, 0, 0
	v_cmp_eq_u64_e64 s[28:29], v[15:16], v[18:19]
	v_mov_b32_e32 v2, v1
	v_mov_b32_e32 v1, v0
	s_and_saveexec_b64 s[38:39], s[28:29]
; %bb.12050:                            ;   in Loop: Header=BB4_12002 Depth=3
	v_bfe_u32 v1, v0, 21, 1
	v_add_co_u32_e64 v1, s[28:29], v0, v1
	v_add_co_u32_e64 v1, s[28:29], -1, v1
; %bb.12051:                            ;   in Loop: Header=BB4_12002 Depth=3
	s_or_b64 exec, exec, s[38:39]
	v_add_u32_e32 v2, 0xffffff81, v13
	v_mov_b32_e32 v5, 0xffffff82
	v_cndmask_b32_e32 v2, v2, v5, vcc
	v_lshrrev_b32_e32 v5, 23, v0
	v_add3_u32 v14, v14, v2, v5
	v_add_u32_e32 v13, 14, v14
	v_and_b32_e32 v1, 0x1fffff, v1
	v_add_u32_e32 v0, v1, v0
	v_mov_b32_e32 v1, v17
	v_cmp_ne_u32_e32 vcc, 0, v13
                                        ; implicit-def: $vgpr2
	s_and_saveexec_b64 s[28:29], vcc
	s_xor_b64 s[28:29], exec, s[28:29]
; %bb.12052:                            ;   in Loop: Header=BB4_12002 Depth=3
	v_cmp_lt_u64_e32 vcc, s[88:89], v[0:1]
	v_add_u32_e32 v2, 15, v14
	v_cndmask_b32_e64 v5, 0, 1, vcc
	v_cndmask_b32_e32 v2, v13, v2, vcc
	v_lshrrev_b64 v[0:1], v5, v[0:1]
; %bb.12053:                            ;   in Loop: Header=BB4_12002 Depth=3
	s_andn2_saveexec_b64 s[28:29], s[28:29]
; %bb.12054:                            ;   in Loop: Header=BB4_12002 Depth=3
	v_bfe_u32 v2, v0, 23, 1
; %bb.12055:                            ;   in Loop: Header=BB4_12002 Depth=3
	s_or_b64 exec, exec, s[28:29]
	v_lshrrev_b64 v[0:1], 21, v[0:1]
	v_cmp_gt_i32_e32 vcc, 32, v2
	v_cndmask_b32_e32 v1, 0, v1, vcc
	v_cndmask_b32_e32 v0, 3, v0, vcc
	v_cmp_eq_u64_e64 s[28:29], 0, v[0:1]
	v_min_i32_e32 v1, 31, v2
	v_lshlrev_b32_e32 v1, 2, v1
	v_cmp_eq_u32_e32 vcc, 0, v2
	v_and_b32_e32 v1, 0xfc, v1
	v_and_or_b32 v0, v0, 3, v1
	s_and_b64 s[28:29], vcc, s[28:29]
	v_cndmask_b32_e64 v0, v0, 0, s[28:29]
	v_or_b32_e32 v18, v0, v3
.LBB4_12056:                            ;   in Loop: Header=BB4_12002 Depth=3
	s_or_b64 exec, exec, s[36:37]
                                        ; implicit-def: $vgpr3
.LBB4_12057:                            ;   in Loop: Header=BB4_12002 Depth=3
	s_andn2_saveexec_b64 s[28:29], s[34:35]
; %bb.12058:                            ;   in Loop: Header=BB4_12002 Depth=3
	v_or_b32_e32 v18, 0x7b, v3
; %bb.12059:                            ;   in Loop: Header=BB4_12002 Depth=3
	s_or_b64 exec, exec, s[28:29]
                                        ; implicit-def: $vgpr2
                                        ; implicit-def: $vgpr0_vgpr1
.LBB4_12060:                            ;   in Loop: Header=BB4_12002 Depth=3
	s_andn2_saveexec_b64 s[28:29], s[30:31]
	s_cbranch_execz .LBB4_12066
; %bb.12061:                            ;   in Loop: Header=BB4_12002 Depth=3
	v_cmp_ne_u64_e32 vcc, 0, v[0:1]
                                        ; implicit-def: $vgpr18
	s_and_saveexec_b64 s[30:31], vcc
	s_xor_b64 vcc, exec, s[30:31]
; %bb.12062:                            ;   in Loop: Header=BB4_12002 Depth=3
	v_or_b32_sdwa v18, v2, s47 dst_sel:DWORD dst_unused:UNUSED_PAD src0_sel:BYTE_3 src1_sel:DWORD
                                        ; implicit-def: $vgpr2
; %bb.12063:                            ;   in Loop: Header=BB4_12002 Depth=3
	s_andn2_saveexec_b64 s[30:31], vcc
; %bb.12064:                            ;   in Loop: Header=BB4_12002 Depth=3
	v_cmp_lt_i32_e32 vcc, -1, v2
	v_bfrev_b32_e32 v0, 0.5
	v_cndmask_b32_e32 v18, v0, v52, vcc
; %bb.12065:                            ;   in Loop: Header=BB4_12002 Depth=3
	s_or_b64 exec, exec, s[30:31]
.LBB4_12066:                            ;   in Loop: Header=BB4_12002 Depth=3
	s_or_b64 exec, exec, s[28:29]
	v_lshrrev_b32_e32 v0, 16, v8
	v_cmp_ne_u16_sdwa vcc, v0, v17 src0_sel:BYTE_0 src1_sel:DWORD
	v_mov_b32_e32 v1, 0
	s_and_saveexec_b64 s[28:29], vcc
	s_cbranch_execz .LBB4_12074
; %bb.12067:                            ;   in Loop: Header=BB4_12002 Depth=3
	v_cmp_ne_u16_sdwa vcc, v0, s96 src0_sel:BYTE_0 src1_sel:DWORD
	v_bfrev_b32_e32 v1, 1
	s_and_saveexec_b64 s[30:31], vcc
	s_cbranch_execz .LBB4_12073
; %bb.12068:                            ;   in Loop: Header=BB4_12002 Depth=3
	v_and_b32_e32 v1, 0x7c0000, v8
	v_bfe_u32 v2, v8, 16, 2
	v_cmp_ne_u32_e32 vcc, s44, v1
                                        ; implicit-def: $vgpr1
	s_and_saveexec_b64 s[34:35], vcc
	s_xor_b64 s[34:35], exec, s[34:35]
	s_cbranch_execz .LBB4_12070
; %bb.12069:                            ;   in Loop: Header=BB4_12002 Depth=3
	v_ffbh_u32_e32 v1, v2
	v_min_u32_e32 v5, 32, v1
	v_subrev_u32_e32 v1, 29, v5
	v_lshlrev_b64 v[0:1], v1, v[0:1]
	v_bfe_u32 v3, v8, 18, 5
	v_and_b32_e32 v0, 3, v0
	v_cmp_eq_u32_e32 vcc, 0, v3
	v_sub_u32_e32 v1, 30, v5
	v_cndmask_b32_e32 v0, v2, v0, vcc
	v_lshlrev_b32_e32 v2, 8, v8
	v_cndmask_b32_e32 v1, v3, v1, vcc
	v_and_b32_e32 v2, 0x80000000, v2
	v_lshl_add_u32 v1, v1, 23, v2
	v_lshl_or_b32 v0, v0, 21, v1
	v_add_u32_e32 v1, 0x38000000, v0
                                        ; implicit-def: $vgpr2
                                        ; implicit-def: $vgpr0
.LBB4_12070:                            ;   in Loop: Header=BB4_12002 Depth=3
	s_andn2_saveexec_b64 s[34:35], s[34:35]
; %bb.12071:                            ;   in Loop: Header=BB4_12002 Depth=3
	v_mov_b32_e32 v1, -1
	v_cmp_gt_i16_sdwa vcc, sext(v0), v1 src0_sel:BYTE_0 src1_sel:DWORD
	v_mov_b32_e32 v0, 0xff800000
	v_mov_b32_e32 v1, 0x7f800000
	v_cndmask_b32_e32 v0, v0, v1, vcc
	v_cmp_eq_u32_e32 vcc, 0, v2
	v_mov_b32_e32 v1, 0x7f800001
	v_cndmask_b32_e32 v1, v1, v0, vcc
; %bb.12072:                            ;   in Loop: Header=BB4_12002 Depth=3
	s_or_b64 exec, exec, s[34:35]
.LBB4_12073:                            ;   in Loop: Header=BB4_12002 Depth=3
	s_or_b64 exec, exec, s[30:31]
.LBB4_12074:                            ;   in Loop: Header=BB4_12002 Depth=3
	s_or_b64 exec, exec, s[28:29]
	v_mul_f32_e32 v2, v12, v1
	v_and_b32_e32 v13, 0x7f800000, v2
	v_mov_b32_e32 v14, v17
	v_cmp_ne_u64_e32 vcc, s[76:77], v[13:14]
	v_and_b32_e32 v0, 0x7fffff, v2
	v_mov_b32_e32 v1, v17
                                        ; implicit-def: $vgpr22
	s_and_saveexec_b64 s[28:29], vcc
	s_xor_b64 s[30:31], exec, s[28:29]
	s_cbranch_execz .LBB4_12088
; %bb.12075:                            ;   in Loop: Header=BB4_12002 Depth=3
	v_and_b32_e32 v13, 0x7fffffff, v2
	v_mov_b32_e32 v14, v17
	v_cmp_gt_u64_e32 vcc, s[78:79], v[13:14]
	v_and_b32_sdwa v3, v2, s96 dst_sel:DWORD dst_unused:UNUSED_PAD src0_sel:BYTE_3 src1_sel:DWORD
                                        ; implicit-def: $vgpr22
	s_and_saveexec_b64 s[28:29], vcc
	s_xor_b64 s[34:35], exec, s[28:29]
	s_cbranch_execz .LBB4_12085
; %bb.12076:                            ;   in Loop: Header=BB4_12002 Depth=3
	v_mov_b32_e32 v22, 0
	v_cmp_ne_u32_e32 vcc, 0, v2
	s_and_saveexec_b64 s[36:37], vcc
	s_cbranch_execz .LBB4_12084
; %bb.12077:                            ;   in Loop: Header=BB4_12002 Depth=3
	v_bfe_u32 v13, v2, 23, 8
	v_cmp_gt_u32_e64 s[28:29], s46, v13
	v_sub_u32_e32 v2, 0x71, v13
	v_cmp_eq_u32_e32 vcc, 0, v13
	v_cndmask_b32_e64 v2, 0, v2, s[28:29]
	v_mov_b32_e32 v6, 0x70
	v_cndmask_b32_e32 v14, v2, v6, vcc
	v_add_u32_e32 v2, 21, v14
	v_or_b32_e32 v5, 0x800000, v0
	v_lshlrev_b64 v[15:16], v2, -1
	v_cndmask_b32_e32 v0, v5, v0, vcc
	v_add_u32_e32 v2, 20, v14
	v_bfi_b32 v15, v15, 0, v0
	v_lshlrev_b64 v[19:20], v2, 1
	v_lshrrev_b64 v[0:1], v14, v[0:1]
	v_bfi_b32 v16, v16, 0, 0
	v_cmp_eq_u64_e64 s[28:29], v[15:16], v[19:20]
	v_mov_b32_e32 v2, v1
	v_mov_b32_e32 v1, v0
	s_and_saveexec_b64 s[38:39], s[28:29]
; %bb.12078:                            ;   in Loop: Header=BB4_12002 Depth=3
	v_bfe_u32 v1, v0, 21, 1
	v_add_co_u32_e64 v1, s[28:29], v0, v1
	v_add_co_u32_e64 v1, s[28:29], -1, v1
; %bb.12079:                            ;   in Loop: Header=BB4_12002 Depth=3
	s_or_b64 exec, exec, s[38:39]
	v_add_u32_e32 v2, 0xffffff81, v13
	v_mov_b32_e32 v5, 0xffffff82
	v_cndmask_b32_e32 v2, v2, v5, vcc
	v_lshrrev_b32_e32 v5, 23, v0
	v_add3_u32 v14, v14, v2, v5
	v_add_u32_e32 v13, 14, v14
	v_and_b32_e32 v1, 0x1fffff, v1
	v_add_u32_e32 v0, v1, v0
	v_mov_b32_e32 v1, v17
	v_cmp_ne_u32_e32 vcc, 0, v13
                                        ; implicit-def: $vgpr2
	s_and_saveexec_b64 s[28:29], vcc
	s_xor_b64 s[28:29], exec, s[28:29]
; %bb.12080:                            ;   in Loop: Header=BB4_12002 Depth=3
	v_cmp_lt_u64_e32 vcc, s[88:89], v[0:1]
	v_add_u32_e32 v2, 15, v14
	v_cndmask_b32_e64 v5, 0, 1, vcc
	v_cndmask_b32_e32 v2, v13, v2, vcc
	v_lshrrev_b64 v[0:1], v5, v[0:1]
; %bb.12081:                            ;   in Loop: Header=BB4_12002 Depth=3
	s_andn2_saveexec_b64 s[28:29], s[28:29]
; %bb.12082:                            ;   in Loop: Header=BB4_12002 Depth=3
	v_bfe_u32 v2, v0, 23, 1
; %bb.12083:                            ;   in Loop: Header=BB4_12002 Depth=3
	s_or_b64 exec, exec, s[28:29]
	v_lshrrev_b64 v[0:1], 21, v[0:1]
	v_cmp_gt_i32_e32 vcc, 32, v2
	v_cndmask_b32_e32 v1, 0, v1, vcc
	v_cndmask_b32_e32 v0, 3, v0, vcc
	v_cmp_eq_u64_e64 s[28:29], 0, v[0:1]
	v_min_i32_e32 v1, 31, v2
	v_lshlrev_b32_e32 v1, 2, v1
	v_cmp_eq_u32_e32 vcc, 0, v2
	v_and_b32_e32 v1, 0xfc, v1
	v_and_or_b32 v0, v0, 3, v1
	s_and_b64 s[28:29], vcc, s[28:29]
	v_cndmask_b32_e64 v0, v0, 0, s[28:29]
	v_or_b32_e32 v22, v0, v3
.LBB4_12084:                            ;   in Loop: Header=BB4_12002 Depth=3
	s_or_b64 exec, exec, s[36:37]
                                        ; implicit-def: $vgpr3
.LBB4_12085:                            ;   in Loop: Header=BB4_12002 Depth=3
	s_andn2_saveexec_b64 s[28:29], s[34:35]
; %bb.12086:                            ;   in Loop: Header=BB4_12002 Depth=3
	v_or_b32_e32 v22, 0x7b, v3
; %bb.12087:                            ;   in Loop: Header=BB4_12002 Depth=3
	s_or_b64 exec, exec, s[28:29]
                                        ; implicit-def: $vgpr2
                                        ; implicit-def: $vgpr0_vgpr1
.LBB4_12088:                            ;   in Loop: Header=BB4_12002 Depth=3
	s_andn2_saveexec_b64 s[28:29], s[30:31]
	s_cbranch_execz .LBB4_12094
; %bb.12089:                            ;   in Loop: Header=BB4_12002 Depth=3
	v_cmp_ne_u64_e32 vcc, 0, v[0:1]
                                        ; implicit-def: $vgpr22
	s_and_saveexec_b64 s[30:31], vcc
	s_xor_b64 vcc, exec, s[30:31]
; %bb.12090:                            ;   in Loop: Header=BB4_12002 Depth=3
	v_or_b32_sdwa v22, v2, s47 dst_sel:DWORD dst_unused:UNUSED_PAD src0_sel:BYTE_3 src1_sel:DWORD
                                        ; implicit-def: $vgpr2
; %bb.12091:                            ;   in Loop: Header=BB4_12002 Depth=3
	s_andn2_saveexec_b64 s[30:31], vcc
; %bb.12092:                            ;   in Loop: Header=BB4_12002 Depth=3
	v_cmp_lt_i32_e32 vcc, -1, v2
	v_bfrev_b32_e32 v0, 0.5
	v_cndmask_b32_e32 v22, v0, v52, vcc
; %bb.12093:                            ;   in Loop: Header=BB4_12002 Depth=3
	s_or_b64 exec, exec, s[30:31]
.LBB4_12094:                            ;   in Loop: Header=BB4_12002 Depth=3
	s_or_b64 exec, exec, s[28:29]
	v_cmp_lt_u32_e32 vcc, s57, v8
	v_mov_b32_e32 v1, 0
	s_and_saveexec_b64 s[28:29], vcc
	s_cbranch_execz .LBB4_12102
; %bb.12095:                            ;   in Loop: Header=BB4_12002 Depth=3
	v_lshrrev_b32_e32 v0, 24, v8
	v_cmp_ne_u32_e32 vcc, s96, v0
	v_bfrev_b32_e32 v1, 1
	s_and_saveexec_b64 s[30:31], vcc
	s_cbranch_execz .LBB4_12101
; %bb.12096:                            ;   in Loop: Header=BB4_12002 Depth=3
	v_and_b32_e32 v1, 0x7c000000, v8
	v_bfe_u32 v2, v8, 24, 2
	v_cmp_ne_u32_e32 vcc, s45, v1
                                        ; implicit-def: $vgpr1
	s_and_saveexec_b64 s[34:35], vcc
	s_xor_b64 s[34:35], exec, s[34:35]
	s_cbranch_execz .LBB4_12098
; %bb.12097:                            ;   in Loop: Header=BB4_12002 Depth=3
	v_ffbh_u32_e32 v1, v2
	v_min_u32_e32 v5, 32, v1
	v_subrev_u32_e32 v1, 29, v5
	v_lshlrev_b64 v[0:1], v1, v[0:1]
	v_bfe_u32 v3, v8, 26, 5
	v_sub_u32_e32 v1, 30, v5
	v_and_b32_e32 v0, 3, v0
	v_cmp_eq_u32_e32 vcc, 0, v3
	v_cndmask_b32_e32 v1, v3, v1, vcc
	v_cndmask_b32_e32 v0, v2, v0, vcc
	v_and_b32_e32 v2, 0x80000000, v8
	v_lshl_add_u32 v1, v1, 23, v2
	v_lshl_or_b32 v0, v0, 21, v1
	v_add_u32_e32 v1, 0x38000000, v0
                                        ; implicit-def: $vgpr2
.LBB4_12098:                            ;   in Loop: Header=BB4_12002 Depth=3
	s_andn2_saveexec_b64 s[34:35], s[34:35]
; %bb.12099:                            ;   in Loop: Header=BB4_12002 Depth=3
	v_cmp_lt_i32_e32 vcc, -1, v8
	v_mov_b32_e32 v0, 0xff800000
	v_mov_b32_e32 v1, 0x7f800000
	v_cndmask_b32_e32 v0, v0, v1, vcc
	v_cmp_eq_u32_e32 vcc, 0, v2
	v_mov_b32_e32 v1, 0x7f800001
	v_cndmask_b32_e32 v1, v1, v0, vcc
; %bb.12100:                            ;   in Loop: Header=BB4_12002 Depth=3
	s_or_b64 exec, exec, s[34:35]
.LBB4_12101:                            ;   in Loop: Header=BB4_12002 Depth=3
	s_or_b64 exec, exec, s[30:31]
.LBB4_12102:                            ;   in Loop: Header=BB4_12002 Depth=3
	s_or_b64 exec, exec, s[28:29]
	v_mul_f32_e32 v2, v12, v1
	v_and_b32_e32 v13, 0x7f800000, v2
	v_mov_b32_e32 v14, v17
	v_cmp_ne_u64_e32 vcc, s[76:77], v[13:14]
	v_and_b32_e32 v0, 0x7fffff, v2
	v_mov_b32_e32 v1, v17
                                        ; implicit-def: $vgpr31
	s_and_saveexec_b64 s[28:29], vcc
	s_xor_b64 s[30:31], exec, s[28:29]
	s_cbranch_execz .LBB4_12116
; %bb.12103:                            ;   in Loop: Header=BB4_12002 Depth=3
	v_and_b32_e32 v13, 0x7fffffff, v2
	v_mov_b32_e32 v14, v17
	v_cmp_gt_u64_e32 vcc, s[78:79], v[13:14]
	v_and_b32_sdwa v3, v2, s96 dst_sel:DWORD dst_unused:UNUSED_PAD src0_sel:BYTE_3 src1_sel:DWORD
                                        ; implicit-def: $vgpr31
	s_and_saveexec_b64 s[28:29], vcc
	s_xor_b64 s[34:35], exec, s[28:29]
	s_cbranch_execz .LBB4_12113
; %bb.12104:                            ;   in Loop: Header=BB4_12002 Depth=3
	v_mov_b32_e32 v31, 0
	v_cmp_ne_u32_e32 vcc, 0, v2
	s_and_saveexec_b64 s[36:37], vcc
	s_cbranch_execz .LBB4_12112
; %bb.12105:                            ;   in Loop: Header=BB4_12002 Depth=3
	v_bfe_u32 v13, v2, 23, 8
	v_cmp_gt_u32_e64 s[28:29], s46, v13
	v_sub_u32_e32 v2, 0x71, v13
	v_cmp_eq_u32_e32 vcc, 0, v13
	v_cndmask_b32_e64 v2, 0, v2, s[28:29]
	v_mov_b32_e32 v6, 0x70
	v_cndmask_b32_e32 v14, v2, v6, vcc
	v_add_u32_e32 v2, 21, v14
	v_or_b32_e32 v5, 0x800000, v0
	v_lshlrev_b64 v[15:16], v2, -1
	v_cndmask_b32_e32 v0, v5, v0, vcc
	v_add_u32_e32 v2, 20, v14
	v_bfi_b32 v15, v15, 0, v0
	v_lshlrev_b64 v[19:20], v2, 1
	v_lshrrev_b64 v[0:1], v14, v[0:1]
	v_bfi_b32 v16, v16, 0, 0
	v_cmp_eq_u64_e64 s[28:29], v[15:16], v[19:20]
	v_mov_b32_e32 v2, v1
	v_mov_b32_e32 v1, v0
	s_and_saveexec_b64 s[38:39], s[28:29]
; %bb.12106:                            ;   in Loop: Header=BB4_12002 Depth=3
	v_bfe_u32 v1, v0, 21, 1
	v_add_co_u32_e64 v1, s[28:29], v0, v1
	v_add_co_u32_e64 v1, s[28:29], -1, v1
; %bb.12107:                            ;   in Loop: Header=BB4_12002 Depth=3
	s_or_b64 exec, exec, s[38:39]
	v_add_u32_e32 v2, 0xffffff81, v13
	v_mov_b32_e32 v5, 0xffffff82
	v_cndmask_b32_e32 v2, v2, v5, vcc
	v_lshrrev_b32_e32 v5, 23, v0
	v_add3_u32 v14, v14, v2, v5
	v_add_u32_e32 v13, 14, v14
	v_and_b32_e32 v1, 0x1fffff, v1
	v_add_u32_e32 v0, v1, v0
	v_mov_b32_e32 v1, v17
	v_cmp_ne_u32_e32 vcc, 0, v13
                                        ; implicit-def: $vgpr2
	s_and_saveexec_b64 s[28:29], vcc
	s_xor_b64 s[28:29], exec, s[28:29]
; %bb.12108:                            ;   in Loop: Header=BB4_12002 Depth=3
	v_cmp_lt_u64_e32 vcc, s[88:89], v[0:1]
	v_add_u32_e32 v2, 15, v14
	v_cndmask_b32_e64 v5, 0, 1, vcc
	v_cndmask_b32_e32 v2, v13, v2, vcc
	v_lshrrev_b64 v[0:1], v5, v[0:1]
; %bb.12109:                            ;   in Loop: Header=BB4_12002 Depth=3
	s_andn2_saveexec_b64 s[28:29], s[28:29]
; %bb.12110:                            ;   in Loop: Header=BB4_12002 Depth=3
	v_bfe_u32 v2, v0, 23, 1
; %bb.12111:                            ;   in Loop: Header=BB4_12002 Depth=3
	s_or_b64 exec, exec, s[28:29]
	v_lshrrev_b64 v[0:1], 21, v[0:1]
	v_cmp_gt_i32_e32 vcc, 32, v2
	v_cndmask_b32_e32 v1, 0, v1, vcc
	v_cndmask_b32_e32 v0, 3, v0, vcc
	v_cmp_eq_u64_e64 s[28:29], 0, v[0:1]
	v_min_i32_e32 v1, 31, v2
	v_lshlrev_b32_e32 v1, 2, v1
	v_cmp_eq_u32_e32 vcc, 0, v2
	v_and_b32_e32 v1, 0xfc, v1
	v_and_or_b32 v0, v0, 3, v1
	s_and_b64 s[28:29], vcc, s[28:29]
	v_cndmask_b32_e64 v0, v0, 0, s[28:29]
	v_or_b32_e32 v31, v0, v3
.LBB4_12112:                            ;   in Loop: Header=BB4_12002 Depth=3
	s_or_b64 exec, exec, s[36:37]
                                        ; implicit-def: $vgpr3
.LBB4_12113:                            ;   in Loop: Header=BB4_12002 Depth=3
	s_andn2_saveexec_b64 s[28:29], s[34:35]
; %bb.12114:                            ;   in Loop: Header=BB4_12002 Depth=3
	v_or_b32_e32 v31, 0x7b, v3
; %bb.12115:                            ;   in Loop: Header=BB4_12002 Depth=3
	s_or_b64 exec, exec, s[28:29]
                                        ; implicit-def: $vgpr2
                                        ; implicit-def: $vgpr0_vgpr1
.LBB4_12116:                            ;   in Loop: Header=BB4_12002 Depth=3
	s_andn2_saveexec_b64 s[28:29], s[30:31]
	s_cbranch_execz .LBB4_12122
; %bb.12117:                            ;   in Loop: Header=BB4_12002 Depth=3
	v_cmp_ne_u64_e32 vcc, 0, v[0:1]
                                        ; implicit-def: $vgpr31
	s_and_saveexec_b64 s[30:31], vcc
	s_xor_b64 vcc, exec, s[30:31]
; %bb.12118:                            ;   in Loop: Header=BB4_12002 Depth=3
	v_or_b32_sdwa v31, v2, s47 dst_sel:DWORD dst_unused:UNUSED_PAD src0_sel:BYTE_3 src1_sel:DWORD
                                        ; implicit-def: $vgpr2
; %bb.12119:                            ;   in Loop: Header=BB4_12002 Depth=3
	s_andn2_saveexec_b64 s[30:31], vcc
; %bb.12120:                            ;   in Loop: Header=BB4_12002 Depth=3
	v_cmp_lt_i32_e32 vcc, -1, v2
	v_bfrev_b32_e32 v0, 0.5
	v_cndmask_b32_e32 v31, v0, v52, vcc
; %bb.12121:                            ;   in Loop: Header=BB4_12002 Depth=3
	s_or_b64 exec, exec, s[30:31]
.LBB4_12122:                            ;   in Loop: Header=BB4_12002 Depth=3
	s_or_b64 exec, exec, s[28:29]
	v_mov_b32_e32 v0, v9
	v_mov_b32_e32 v1, v17
	v_cmp_ne_u16_sdwa vcc, v9, v17 src0_sel:BYTE_0 src1_sel:DWORD
	v_mov_b32_e32 v2, 0
	s_and_saveexec_b64 s[28:29], vcc
	s_cbranch_execz .LBB4_12130
; %bb.12123:                            ;   in Loop: Header=BB4_12002 Depth=3
	v_cmp_ne_u16_sdwa vcc, v9, s96 src0_sel:BYTE_0 src1_sel:DWORD
	v_bfrev_b32_e32 v2, 1
	s_and_saveexec_b64 s[30:31], vcc
	s_cbranch_execz .LBB4_12129
; %bb.12124:                            ;   in Loop: Header=BB4_12002 Depth=3
	v_and_b32_e32 v2, 0x7c, v9
	v_and_b32_e32 v3, 3, v9
	v_cmp_ne_u32_e32 vcc, s85, v2
                                        ; implicit-def: $vgpr2
	s_and_saveexec_b64 s[34:35], vcc
	s_xor_b64 s[34:35], exec, s[34:35]
	s_cbranch_execz .LBB4_12126
; %bb.12125:                            ;   in Loop: Header=BB4_12002 Depth=3
	v_ffbh_u32_e32 v2, v3
	v_min_u32_e32 v6, 32, v2
	v_subrev_u32_e32 v2, 29, v6
	v_lshlrev_b64 v[1:2], v2, v[0:1]
	v_bfe_u32 v5, v9, 2, 5
	v_and_b32_e32 v1, 3, v1
	v_cmp_eq_u32_e32 vcc, 0, v5
	v_sub_u32_e32 v2, 30, v6
	v_cndmask_b32_e32 v1, v3, v1, vcc
	v_lshlrev_b32_e32 v3, 24, v9
	v_cndmask_b32_e32 v2, v5, v2, vcc
	v_and_b32_e32 v3, 0x80000000, v3
	v_lshl_add_u32 v2, v2, 23, v3
	v_lshl_or_b32 v1, v1, 21, v2
	v_add_u32_e32 v2, 0x38000000, v1
                                        ; implicit-def: $vgpr3
.LBB4_12126:                            ;   in Loop: Header=BB4_12002 Depth=3
	s_andn2_saveexec_b64 s[34:35], s[34:35]
; %bb.12127:                            ;   in Loop: Header=BB4_12002 Depth=3
	v_mov_b32_e32 v1, -1
	v_cmp_gt_i16_sdwa vcc, sext(v9), v1 src0_sel:BYTE_0 src1_sel:DWORD
	v_mov_b32_e32 v1, 0xff800000
	v_mov_b32_e32 v2, 0x7f800000
	v_cndmask_b32_e32 v1, v1, v2, vcc
	v_cmp_eq_u32_e32 vcc, 0, v3
	v_mov_b32_e32 v2, 0x7f800001
	v_cndmask_b32_e32 v2, v2, v1, vcc
; %bb.12128:                            ;   in Loop: Header=BB4_12002 Depth=3
	s_or_b64 exec, exec, s[34:35]
.LBB4_12129:                            ;   in Loop: Header=BB4_12002 Depth=3
	s_or_b64 exec, exec, s[30:31]
.LBB4_12130:                            ;   in Loop: Header=BB4_12002 Depth=3
	s_or_b64 exec, exec, s[28:29]
	v_mul_f32_e32 v3, v12, v2
	v_and_b32_e32 v13, 0x7f800000, v3
	v_mov_b32_e32 v14, v17
	v_cmp_ne_u64_e32 vcc, s[76:77], v[13:14]
	v_and_b32_e32 v1, 0x7fffff, v3
	v_mov_b32_e32 v2, v17
                                        ; implicit-def: $vgpr36
	s_and_saveexec_b64 s[28:29], vcc
	s_xor_b64 s[30:31], exec, s[28:29]
	s_cbranch_execz .LBB4_12144
; %bb.12131:                            ;   in Loop: Header=BB4_12002 Depth=3
	v_and_b32_e32 v13, 0x7fffffff, v3
	v_mov_b32_e32 v14, v17
	v_cmp_gt_u64_e32 vcc, s[78:79], v[13:14]
	v_and_b32_sdwa v13, v3, s96 dst_sel:DWORD dst_unused:UNUSED_PAD src0_sel:BYTE_3 src1_sel:DWORD
                                        ; implicit-def: $vgpr36
	s_and_saveexec_b64 s[28:29], vcc
	s_xor_b64 s[34:35], exec, s[28:29]
	s_cbranch_execz .LBB4_12141
; %bb.12132:                            ;   in Loop: Header=BB4_12002 Depth=3
	v_mov_b32_e32 v36, 0
	v_cmp_ne_u32_e32 vcc, 0, v3
	s_and_saveexec_b64 s[36:37], vcc
	s_cbranch_execz .LBB4_12140
; %bb.12133:                            ;   in Loop: Header=BB4_12002 Depth=3
	v_bfe_u32 v14, v3, 23, 8
	v_cmp_gt_u32_e64 s[28:29], s46, v14
	v_sub_u32_e32 v3, 0x71, v14
	v_cmp_eq_u32_e32 vcc, 0, v14
	v_cndmask_b32_e64 v3, 0, v3, s[28:29]
	v_mov_b32_e32 v6, 0x70
	v_cndmask_b32_e32 v15, v3, v6, vcc
	v_add_u32_e32 v3, 21, v15
	v_or_b32_e32 v5, 0x800000, v1
	v_lshlrev_b64 v[19:20], v3, -1
	v_cndmask_b32_e32 v1, v5, v1, vcc
	v_add_u32_e32 v3, 20, v15
	v_bfi_b32 v19, v19, 0, v1
	v_lshlrev_b64 v[23:24], v3, 1
	v_lshrrev_b64 v[1:2], v15, v[1:2]
	v_bfi_b32 v20, v20, 0, 0
	v_cmp_eq_u64_e64 s[28:29], v[19:20], v[23:24]
	v_mov_b32_e32 v3, v2
	v_mov_b32_e32 v2, v1
	s_and_saveexec_b64 s[38:39], s[28:29]
; %bb.12134:                            ;   in Loop: Header=BB4_12002 Depth=3
	v_bfe_u32 v2, v1, 21, 1
	v_add_co_u32_e64 v2, s[28:29], v1, v2
	v_add_co_u32_e64 v2, s[28:29], -1, v2
; %bb.12135:                            ;   in Loop: Header=BB4_12002 Depth=3
	s_or_b64 exec, exec, s[38:39]
	v_add_u32_e32 v3, 0xffffff81, v14
	v_mov_b32_e32 v5, 0xffffff82
	v_cndmask_b32_e32 v3, v3, v5, vcc
	v_lshrrev_b32_e32 v5, 23, v1
	v_add3_u32 v15, v15, v3, v5
	v_add_u32_e32 v14, 14, v15
	v_and_b32_e32 v2, 0x1fffff, v2
	v_add_u32_e32 v1, v2, v1
	v_mov_b32_e32 v2, v17
	v_cmp_ne_u32_e32 vcc, 0, v14
                                        ; implicit-def: $vgpr3
	s_and_saveexec_b64 s[28:29], vcc
	s_xor_b64 s[28:29], exec, s[28:29]
; %bb.12136:                            ;   in Loop: Header=BB4_12002 Depth=3
	v_cmp_lt_u64_e32 vcc, s[88:89], v[1:2]
	v_add_u32_e32 v3, 15, v15
	v_cndmask_b32_e64 v5, 0, 1, vcc
	v_cndmask_b32_e32 v3, v14, v3, vcc
	v_lshrrev_b64 v[1:2], v5, v[1:2]
; %bb.12137:                            ;   in Loop: Header=BB4_12002 Depth=3
	s_andn2_saveexec_b64 s[28:29], s[28:29]
; %bb.12138:                            ;   in Loop: Header=BB4_12002 Depth=3
	v_bfe_u32 v3, v1, 23, 1
; %bb.12139:                            ;   in Loop: Header=BB4_12002 Depth=3
	s_or_b64 exec, exec, s[28:29]
	v_lshrrev_b64 v[1:2], 21, v[1:2]
	v_cmp_gt_i32_e32 vcc, 32, v3
	v_cndmask_b32_e32 v2, 0, v2, vcc
	v_cndmask_b32_e32 v1, 3, v1, vcc
	v_cmp_eq_u64_e64 s[28:29], 0, v[1:2]
	v_min_i32_e32 v2, 31, v3
	v_lshlrev_b32_e32 v2, 2, v2
	v_cmp_eq_u32_e32 vcc, 0, v3
	v_and_b32_e32 v2, 0xfc, v2
	v_and_or_b32 v1, v1, 3, v2
	s_and_b64 s[28:29], vcc, s[28:29]
	v_cndmask_b32_e64 v1, v1, 0, s[28:29]
	v_or_b32_e32 v36, v1, v13
.LBB4_12140:                            ;   in Loop: Header=BB4_12002 Depth=3
	s_or_b64 exec, exec, s[36:37]
                                        ; implicit-def: $vgpr13
.LBB4_12141:                            ;   in Loop: Header=BB4_12002 Depth=3
	s_andn2_saveexec_b64 s[28:29], s[34:35]
; %bb.12142:                            ;   in Loop: Header=BB4_12002 Depth=3
	v_or_b32_e32 v36, 0x7b, v13
; %bb.12143:                            ;   in Loop: Header=BB4_12002 Depth=3
	s_or_b64 exec, exec, s[28:29]
                                        ; implicit-def: $vgpr3
                                        ; implicit-def: $vgpr1_vgpr2
.LBB4_12144:                            ;   in Loop: Header=BB4_12002 Depth=3
	s_andn2_saveexec_b64 s[28:29], s[30:31]
	s_cbranch_execz .LBB4_12150
; %bb.12145:                            ;   in Loop: Header=BB4_12002 Depth=3
	v_cmp_ne_u64_e32 vcc, 0, v[1:2]
                                        ; implicit-def: $vgpr36
	s_and_saveexec_b64 s[30:31], vcc
	s_xor_b64 vcc, exec, s[30:31]
; %bb.12146:                            ;   in Loop: Header=BB4_12002 Depth=3
	v_or_b32_sdwa v36, v3, s47 dst_sel:DWORD dst_unused:UNUSED_PAD src0_sel:BYTE_3 src1_sel:DWORD
                                        ; implicit-def: $vgpr3
; %bb.12147:                            ;   in Loop: Header=BB4_12002 Depth=3
	s_andn2_saveexec_b64 s[30:31], vcc
; %bb.12148:                            ;   in Loop: Header=BB4_12002 Depth=3
	v_cmp_lt_i32_e32 vcc, -1, v3
	v_bfrev_b32_e32 v1, 0.5
	v_cndmask_b32_e32 v36, v1, v52, vcc
; %bb.12149:                            ;   in Loop: Header=BB4_12002 Depth=3
	s_or_b64 exec, exec, s[30:31]
.LBB4_12150:                            ;   in Loop: Header=BB4_12002 Depth=3
	s_or_b64 exec, exec, s[28:29]
	v_lshrrev_b16_e32 v1, 8, v0
	v_cmp_ne_u16_e32 vcc, 0, v1
	v_mov_b32_e32 v2, 0
	s_and_saveexec_b64 s[28:29], vcc
	s_cbranch_execz .LBB4_12158
; %bb.12151:                            ;   in Loop: Header=BB4_12002 Depth=3
	v_cmp_ne_u16_e32 vcc, s96, v1
	v_bfrev_b32_e32 v2, 1
	s_and_saveexec_b64 s[30:31], vcc
	s_cbranch_execz .LBB4_12157
; %bb.12152:                            ;   in Loop: Header=BB4_12002 Depth=3
	v_and_b32_e32 v2, 0x7c, v1
	v_and_b32_e32 v3, 3, v1
	v_cmp_ne_u32_e32 vcc, s85, v2
                                        ; implicit-def: $vgpr2
	s_and_saveexec_b64 s[34:35], vcc
	s_xor_b64 s[34:35], exec, s[34:35]
	s_cbranch_execz .LBB4_12154
; %bb.12153:                            ;   in Loop: Header=BB4_12002 Depth=3
	v_ffbh_u32_e32 v6, v3
	v_min_u32_e32 v6, 32, v6
	v_mov_b32_e32 v2, v17
	v_subrev_u32_e32 v13, 29, v6
	v_bfe_u32 v5, v1, 2, 5
	v_lshlrev_b64 v[1:2], v13, v[1:2]
	v_sub_u32_e32 v2, 30, v6
	v_cmp_eq_u32_e32 vcc, 0, v5
	v_lshlrev_b32_e32 v0, 16, v0
	v_and_b32_e32 v1, 3, v1
	v_cndmask_b32_e32 v2, v5, v2, vcc
	v_and_b32_e32 v0, 0x80000000, v0
	v_cndmask_b32_e32 v1, v3, v1, vcc
	v_lshl_add_u32 v0, v2, 23, v0
	v_lshl_or_b32 v0, v1, 21, v0
	v_add_u32_e32 v2, 0x38000000, v0
                                        ; implicit-def: $vgpr3
                                        ; implicit-def: $vgpr0_vgpr1
.LBB4_12154:                            ;   in Loop: Header=BB4_12002 Depth=3
	s_andn2_saveexec_b64 s[34:35], s[34:35]
; %bb.12155:                            ;   in Loop: Header=BB4_12002 Depth=3
	v_cmp_lt_i16_e32 vcc, -1, v0
	v_mov_b32_e32 v0, 0xff800000
	v_mov_b32_e32 v1, 0x7f800000
	v_cndmask_b32_e32 v0, v0, v1, vcc
	v_cmp_eq_u32_e32 vcc, 0, v3
	v_mov_b32_e32 v1, 0x7f800001
	v_cndmask_b32_e32 v2, v1, v0, vcc
; %bb.12156:                            ;   in Loop: Header=BB4_12002 Depth=3
	s_or_b64 exec, exec, s[34:35]
.LBB4_12157:                            ;   in Loop: Header=BB4_12002 Depth=3
	s_or_b64 exec, exec, s[30:31]
.LBB4_12158:                            ;   in Loop: Header=BB4_12002 Depth=3
	s_or_b64 exec, exec, s[28:29]
	v_mul_f32_e32 v2, v12, v2
	v_and_b32_e32 v13, 0x7f800000, v2
	v_mov_b32_e32 v14, v17
	v_cmp_ne_u64_e32 vcc, s[76:77], v[13:14]
	v_and_b32_e32 v0, 0x7fffff, v2
	v_mov_b32_e32 v1, v17
                                        ; implicit-def: $vgpr51
	s_and_saveexec_b64 s[28:29], vcc
	s_xor_b64 s[30:31], exec, s[28:29]
	s_cbranch_execz .LBB4_12172
; %bb.12159:                            ;   in Loop: Header=BB4_12002 Depth=3
	v_and_b32_e32 v13, 0x7fffffff, v2
	v_mov_b32_e32 v14, v17
	v_cmp_gt_u64_e32 vcc, s[78:79], v[13:14]
	v_and_b32_sdwa v3, v2, s96 dst_sel:DWORD dst_unused:UNUSED_PAD src0_sel:BYTE_3 src1_sel:DWORD
                                        ; implicit-def: $vgpr51
	s_and_saveexec_b64 s[28:29], vcc
	s_xor_b64 s[34:35], exec, s[28:29]
	s_cbranch_execz .LBB4_12169
; %bb.12160:                            ;   in Loop: Header=BB4_12002 Depth=3
	v_mov_b32_e32 v51, 0
	v_cmp_ne_u32_e32 vcc, 0, v2
	s_and_saveexec_b64 s[36:37], vcc
	s_cbranch_execz .LBB4_12168
; %bb.12161:                            ;   in Loop: Header=BB4_12002 Depth=3
	v_bfe_u32 v13, v2, 23, 8
	v_cmp_gt_u32_e64 s[28:29], s46, v13
	v_sub_u32_e32 v2, 0x71, v13
	v_cmp_eq_u32_e32 vcc, 0, v13
	v_cndmask_b32_e64 v2, 0, v2, s[28:29]
	v_mov_b32_e32 v6, 0x70
	v_cndmask_b32_e32 v14, v2, v6, vcc
	v_add_u32_e32 v2, 21, v14
	v_or_b32_e32 v5, 0x800000, v0
	v_lshlrev_b64 v[15:16], v2, -1
	v_cndmask_b32_e32 v0, v5, v0, vcc
	v_add_u32_e32 v2, 20, v14
	v_bfi_b32 v15, v15, 0, v0
	v_lshlrev_b64 v[19:20], v2, 1
	v_lshrrev_b64 v[0:1], v14, v[0:1]
	v_bfi_b32 v16, v16, 0, 0
	v_cmp_eq_u64_e64 s[28:29], v[15:16], v[19:20]
	v_mov_b32_e32 v2, v1
	v_mov_b32_e32 v1, v0
	s_and_saveexec_b64 s[38:39], s[28:29]
; %bb.12162:                            ;   in Loop: Header=BB4_12002 Depth=3
	v_bfe_u32 v1, v0, 21, 1
	v_add_co_u32_e64 v1, s[28:29], v0, v1
	v_add_co_u32_e64 v1, s[28:29], -1, v1
; %bb.12163:                            ;   in Loop: Header=BB4_12002 Depth=3
	s_or_b64 exec, exec, s[38:39]
	v_add_u32_e32 v2, 0xffffff81, v13
	v_mov_b32_e32 v5, 0xffffff82
	v_cndmask_b32_e32 v2, v2, v5, vcc
	v_lshrrev_b32_e32 v5, 23, v0
	v_add3_u32 v14, v14, v2, v5
	v_add_u32_e32 v13, 14, v14
	v_and_b32_e32 v1, 0x1fffff, v1
	v_add_u32_e32 v0, v1, v0
	v_mov_b32_e32 v1, v17
	v_cmp_ne_u32_e32 vcc, 0, v13
                                        ; implicit-def: $vgpr2
	s_and_saveexec_b64 s[28:29], vcc
	s_xor_b64 s[28:29], exec, s[28:29]
; %bb.12164:                            ;   in Loop: Header=BB4_12002 Depth=3
	v_cmp_lt_u64_e32 vcc, s[88:89], v[0:1]
	v_add_u32_e32 v2, 15, v14
	v_cndmask_b32_e64 v5, 0, 1, vcc
	v_cndmask_b32_e32 v2, v13, v2, vcc
	v_lshrrev_b64 v[0:1], v5, v[0:1]
; %bb.12165:                            ;   in Loop: Header=BB4_12002 Depth=3
	s_andn2_saveexec_b64 s[28:29], s[28:29]
; %bb.12166:                            ;   in Loop: Header=BB4_12002 Depth=3
	v_bfe_u32 v2, v0, 23, 1
; %bb.12167:                            ;   in Loop: Header=BB4_12002 Depth=3
	s_or_b64 exec, exec, s[28:29]
	v_lshrrev_b64 v[0:1], 21, v[0:1]
	v_cmp_gt_i32_e32 vcc, 32, v2
	v_cndmask_b32_e32 v1, 0, v1, vcc
	v_cndmask_b32_e32 v0, 3, v0, vcc
	v_cmp_eq_u64_e64 s[28:29], 0, v[0:1]
	v_min_i32_e32 v1, 31, v2
	v_lshlrev_b32_e32 v1, 2, v1
	v_cmp_eq_u32_e32 vcc, 0, v2
	v_and_b32_e32 v1, 0xfc, v1
	v_and_or_b32 v0, v0, 3, v1
	s_and_b64 s[28:29], vcc, s[28:29]
	v_cndmask_b32_e64 v0, v0, 0, s[28:29]
	v_or_b32_e32 v51, v0, v3
.LBB4_12168:                            ;   in Loop: Header=BB4_12002 Depth=3
	s_or_b64 exec, exec, s[36:37]
                                        ; implicit-def: $vgpr3
.LBB4_12169:                            ;   in Loop: Header=BB4_12002 Depth=3
	s_andn2_saveexec_b64 s[28:29], s[34:35]
; %bb.12170:                            ;   in Loop: Header=BB4_12002 Depth=3
	v_or_b32_e32 v51, 0x7b, v3
; %bb.12171:                            ;   in Loop: Header=BB4_12002 Depth=3
	s_or_b64 exec, exec, s[28:29]
                                        ; implicit-def: $vgpr2
                                        ; implicit-def: $vgpr0_vgpr1
.LBB4_12172:                            ;   in Loop: Header=BB4_12002 Depth=3
	s_andn2_saveexec_b64 s[28:29], s[30:31]
	s_cbranch_execz .LBB4_12178
; %bb.12173:                            ;   in Loop: Header=BB4_12002 Depth=3
	v_cmp_ne_u64_e32 vcc, 0, v[0:1]
                                        ; implicit-def: $vgpr51
	s_and_saveexec_b64 s[30:31], vcc
	s_xor_b64 vcc, exec, s[30:31]
; %bb.12174:                            ;   in Loop: Header=BB4_12002 Depth=3
	v_or_b32_sdwa v51, v2, s47 dst_sel:DWORD dst_unused:UNUSED_PAD src0_sel:BYTE_3 src1_sel:DWORD
                                        ; implicit-def: $vgpr2
; %bb.12175:                            ;   in Loop: Header=BB4_12002 Depth=3
	s_andn2_saveexec_b64 s[30:31], vcc
; %bb.12176:                            ;   in Loop: Header=BB4_12002 Depth=3
	v_cmp_lt_i32_e32 vcc, -1, v2
	v_bfrev_b32_e32 v0, 0.5
	v_cndmask_b32_e32 v51, v0, v52, vcc
; %bb.12177:                            ;   in Loop: Header=BB4_12002 Depth=3
	s_or_b64 exec, exec, s[30:31]
.LBB4_12178:                            ;   in Loop: Header=BB4_12002 Depth=3
	s_or_b64 exec, exec, s[28:29]
	v_lshrrev_b32_e32 v0, 16, v9
	v_cmp_ne_u16_sdwa vcc, v0, v17 src0_sel:BYTE_0 src1_sel:DWORD
	v_mov_b32_e32 v1, 0
	s_and_saveexec_b64 s[28:29], vcc
	s_cbranch_execz .LBB4_12186
; %bb.12179:                            ;   in Loop: Header=BB4_12002 Depth=3
	v_cmp_ne_u16_sdwa vcc, v0, s96 src0_sel:BYTE_0 src1_sel:DWORD
	v_bfrev_b32_e32 v1, 1
	s_and_saveexec_b64 s[30:31], vcc
	s_cbranch_execz .LBB4_12185
; %bb.12180:                            ;   in Loop: Header=BB4_12002 Depth=3
	v_and_b32_e32 v1, 0x7c0000, v9
	v_bfe_u32 v2, v9, 16, 2
	v_cmp_ne_u32_e32 vcc, s44, v1
                                        ; implicit-def: $vgpr1
	s_and_saveexec_b64 s[34:35], vcc
	s_xor_b64 s[34:35], exec, s[34:35]
	s_cbranch_execz .LBB4_12182
; %bb.12181:                            ;   in Loop: Header=BB4_12002 Depth=3
	v_ffbh_u32_e32 v1, v2
	v_min_u32_e32 v5, 32, v1
	v_subrev_u32_e32 v1, 29, v5
	v_lshlrev_b64 v[0:1], v1, v[0:1]
	v_bfe_u32 v3, v9, 18, 5
	v_and_b32_e32 v0, 3, v0
	v_cmp_eq_u32_e32 vcc, 0, v3
	v_sub_u32_e32 v1, 30, v5
	v_cndmask_b32_e32 v0, v2, v0, vcc
	v_lshlrev_b32_e32 v2, 8, v9
	v_cndmask_b32_e32 v1, v3, v1, vcc
	v_and_b32_e32 v2, 0x80000000, v2
	v_lshl_add_u32 v1, v1, 23, v2
	v_lshl_or_b32 v0, v0, 21, v1
	v_add_u32_e32 v1, 0x38000000, v0
                                        ; implicit-def: $vgpr2
                                        ; implicit-def: $vgpr0
.LBB4_12182:                            ;   in Loop: Header=BB4_12002 Depth=3
	s_andn2_saveexec_b64 s[34:35], s[34:35]
; %bb.12183:                            ;   in Loop: Header=BB4_12002 Depth=3
	v_mov_b32_e32 v1, -1
	v_cmp_gt_i16_sdwa vcc, sext(v0), v1 src0_sel:BYTE_0 src1_sel:DWORD
	v_mov_b32_e32 v0, 0xff800000
	v_mov_b32_e32 v1, 0x7f800000
	v_cndmask_b32_e32 v0, v0, v1, vcc
	v_cmp_eq_u32_e32 vcc, 0, v2
	v_mov_b32_e32 v1, 0x7f800001
	v_cndmask_b32_e32 v1, v1, v0, vcc
; %bb.12184:                            ;   in Loop: Header=BB4_12002 Depth=3
	s_or_b64 exec, exec, s[34:35]
.LBB4_12185:                            ;   in Loop: Header=BB4_12002 Depth=3
	s_or_b64 exec, exec, s[30:31]
.LBB4_12186:                            ;   in Loop: Header=BB4_12002 Depth=3
	s_or_b64 exec, exec, s[28:29]
	v_mul_f32_e32 v2, v12, v1
	v_and_b32_e32 v13, 0x7f800000, v2
	v_mov_b32_e32 v14, v17
	v_cmp_ne_u64_e32 vcc, s[76:77], v[13:14]
	v_and_b32_e32 v0, 0x7fffff, v2
	v_mov_b32_e32 v1, v17
                                        ; implicit-def: $vgpr40
	s_and_saveexec_b64 s[28:29], vcc
	s_xor_b64 s[30:31], exec, s[28:29]
	s_cbranch_execz .LBB4_12200
; %bb.12187:                            ;   in Loop: Header=BB4_12002 Depth=3
	v_and_b32_e32 v13, 0x7fffffff, v2
	v_mov_b32_e32 v14, v17
	v_cmp_gt_u64_e32 vcc, s[78:79], v[13:14]
	v_and_b32_sdwa v3, v2, s96 dst_sel:DWORD dst_unused:UNUSED_PAD src0_sel:BYTE_3 src1_sel:DWORD
                                        ; implicit-def: $vgpr40
	s_and_saveexec_b64 s[28:29], vcc
	s_xor_b64 s[34:35], exec, s[28:29]
	s_cbranch_execz .LBB4_12197
; %bb.12188:                            ;   in Loop: Header=BB4_12002 Depth=3
	v_mov_b32_e32 v40, 0
	v_cmp_ne_u32_e32 vcc, 0, v2
	s_and_saveexec_b64 s[36:37], vcc
	s_cbranch_execz .LBB4_12196
; %bb.12189:                            ;   in Loop: Header=BB4_12002 Depth=3
	v_bfe_u32 v13, v2, 23, 8
	v_cmp_gt_u32_e64 s[28:29], s46, v13
	v_sub_u32_e32 v2, 0x71, v13
	v_cmp_eq_u32_e32 vcc, 0, v13
	v_cndmask_b32_e64 v2, 0, v2, s[28:29]
	v_mov_b32_e32 v6, 0x70
	v_cndmask_b32_e32 v14, v2, v6, vcc
	v_add_u32_e32 v2, 21, v14
	v_or_b32_e32 v5, 0x800000, v0
	v_lshlrev_b64 v[15:16], v2, -1
	v_cndmask_b32_e32 v0, v5, v0, vcc
	v_add_u32_e32 v2, 20, v14
	v_bfi_b32 v15, v15, 0, v0
	v_lshlrev_b64 v[19:20], v2, 1
	v_lshrrev_b64 v[0:1], v14, v[0:1]
	v_bfi_b32 v16, v16, 0, 0
	v_cmp_eq_u64_e64 s[28:29], v[15:16], v[19:20]
	v_mov_b32_e32 v2, v1
	v_mov_b32_e32 v1, v0
	s_and_saveexec_b64 s[38:39], s[28:29]
; %bb.12190:                            ;   in Loop: Header=BB4_12002 Depth=3
	v_bfe_u32 v1, v0, 21, 1
	v_add_co_u32_e64 v1, s[28:29], v0, v1
	v_add_co_u32_e64 v1, s[28:29], -1, v1
; %bb.12191:                            ;   in Loop: Header=BB4_12002 Depth=3
	s_or_b64 exec, exec, s[38:39]
	v_add_u32_e32 v2, 0xffffff81, v13
	v_mov_b32_e32 v5, 0xffffff82
	v_cndmask_b32_e32 v2, v2, v5, vcc
	v_lshrrev_b32_e32 v5, 23, v0
	v_add3_u32 v14, v14, v2, v5
	v_add_u32_e32 v13, 14, v14
	v_and_b32_e32 v1, 0x1fffff, v1
	v_add_u32_e32 v0, v1, v0
	v_mov_b32_e32 v1, v17
	v_cmp_ne_u32_e32 vcc, 0, v13
                                        ; implicit-def: $vgpr2
	s_and_saveexec_b64 s[28:29], vcc
	s_xor_b64 s[28:29], exec, s[28:29]
; %bb.12192:                            ;   in Loop: Header=BB4_12002 Depth=3
	v_cmp_lt_u64_e32 vcc, s[88:89], v[0:1]
	v_add_u32_e32 v2, 15, v14
	v_cndmask_b32_e64 v5, 0, 1, vcc
	v_cndmask_b32_e32 v2, v13, v2, vcc
	v_lshrrev_b64 v[0:1], v5, v[0:1]
; %bb.12193:                            ;   in Loop: Header=BB4_12002 Depth=3
	s_andn2_saveexec_b64 s[28:29], s[28:29]
; %bb.12194:                            ;   in Loop: Header=BB4_12002 Depth=3
	v_bfe_u32 v2, v0, 23, 1
; %bb.12195:                            ;   in Loop: Header=BB4_12002 Depth=3
	s_or_b64 exec, exec, s[28:29]
	v_lshrrev_b64 v[0:1], 21, v[0:1]
	v_cmp_gt_i32_e32 vcc, 32, v2
	v_cndmask_b32_e32 v1, 0, v1, vcc
	v_cndmask_b32_e32 v0, 3, v0, vcc
	v_cmp_eq_u64_e64 s[28:29], 0, v[0:1]
	v_min_i32_e32 v1, 31, v2
	v_lshlrev_b32_e32 v1, 2, v1
	v_cmp_eq_u32_e32 vcc, 0, v2
	v_and_b32_e32 v1, 0xfc, v1
	v_and_or_b32 v0, v0, 3, v1
	s_and_b64 s[28:29], vcc, s[28:29]
	v_cndmask_b32_e64 v0, v0, 0, s[28:29]
	v_or_b32_e32 v40, v0, v3
.LBB4_12196:                            ;   in Loop: Header=BB4_12002 Depth=3
	s_or_b64 exec, exec, s[36:37]
                                        ; implicit-def: $vgpr3
.LBB4_12197:                            ;   in Loop: Header=BB4_12002 Depth=3
	s_andn2_saveexec_b64 s[28:29], s[34:35]
; %bb.12198:                            ;   in Loop: Header=BB4_12002 Depth=3
	v_or_b32_e32 v40, 0x7b, v3
; %bb.12199:                            ;   in Loop: Header=BB4_12002 Depth=3
	s_or_b64 exec, exec, s[28:29]
                                        ; implicit-def: $vgpr2
                                        ; implicit-def: $vgpr0_vgpr1
.LBB4_12200:                            ;   in Loop: Header=BB4_12002 Depth=3
	s_andn2_saveexec_b64 s[28:29], s[30:31]
	s_cbranch_execz .LBB4_12206
; %bb.12201:                            ;   in Loop: Header=BB4_12002 Depth=3
	v_cmp_ne_u64_e32 vcc, 0, v[0:1]
                                        ; implicit-def: $vgpr40
	s_and_saveexec_b64 s[30:31], vcc
	s_xor_b64 vcc, exec, s[30:31]
; %bb.12202:                            ;   in Loop: Header=BB4_12002 Depth=3
	v_or_b32_sdwa v40, v2, s47 dst_sel:DWORD dst_unused:UNUSED_PAD src0_sel:BYTE_3 src1_sel:DWORD
                                        ; implicit-def: $vgpr2
; %bb.12203:                            ;   in Loop: Header=BB4_12002 Depth=3
	s_andn2_saveexec_b64 s[30:31], vcc
; %bb.12204:                            ;   in Loop: Header=BB4_12002 Depth=3
	v_cmp_lt_i32_e32 vcc, -1, v2
	v_bfrev_b32_e32 v0, 0.5
	v_cndmask_b32_e32 v40, v0, v52, vcc
; %bb.12205:                            ;   in Loop: Header=BB4_12002 Depth=3
	s_or_b64 exec, exec, s[30:31]
.LBB4_12206:                            ;   in Loop: Header=BB4_12002 Depth=3
	s_or_b64 exec, exec, s[28:29]
	v_cmp_lt_u64_e32 vcc, s[56:57], v[8:9]
	v_mov_b32_e32 v1, 0
	s_and_saveexec_b64 s[28:29], vcc
	s_cbranch_execz .LBB4_12214
; %bb.12207:                            ;   in Loop: Header=BB4_12002 Depth=3
	v_lshrrev_b32_e32 v0, 24, v9
	v_cmp_ne_u32_e32 vcc, s96, v0
	v_bfrev_b32_e32 v1, 1
	s_and_saveexec_b64 s[30:31], vcc
	s_cbranch_execz .LBB4_12213
; %bb.12208:                            ;   in Loop: Header=BB4_12002 Depth=3
	v_and_b32_e32 v1, 0x7c000000, v9
	v_bfe_u32 v2, v9, 24, 2
	v_cmp_ne_u32_e32 vcc, s45, v1
                                        ; implicit-def: $vgpr1
	s_and_saveexec_b64 s[34:35], vcc
	s_xor_b64 s[34:35], exec, s[34:35]
	s_cbranch_execz .LBB4_12210
; %bb.12209:                            ;   in Loop: Header=BB4_12002 Depth=3
	v_ffbh_u32_e32 v1, v2
	v_min_u32_e32 v5, 32, v1
	v_subrev_u32_e32 v1, 29, v5
	v_lshlrev_b64 v[0:1], v1, v[0:1]
	v_bfe_u32 v3, v9, 26, 5
	v_sub_u32_e32 v1, 30, v5
	v_and_b32_e32 v0, 3, v0
	v_cmp_eq_u32_e32 vcc, 0, v3
	v_cndmask_b32_e32 v1, v3, v1, vcc
	v_cndmask_b32_e32 v0, v2, v0, vcc
	v_and_b32_e32 v2, 0x80000000, v9
	v_lshl_add_u32 v1, v1, 23, v2
	v_lshl_or_b32 v0, v0, 21, v1
	v_add_u32_e32 v1, 0x38000000, v0
                                        ; implicit-def: $vgpr2
.LBB4_12210:                            ;   in Loop: Header=BB4_12002 Depth=3
	s_andn2_saveexec_b64 s[34:35], s[34:35]
; %bb.12211:                            ;   in Loop: Header=BB4_12002 Depth=3
	v_cmp_lt_i64_e32 vcc, -1, v[8:9]
	v_mov_b32_e32 v0, 0xff800000
	v_mov_b32_e32 v1, 0x7f800000
	v_cndmask_b32_e32 v0, v0, v1, vcc
	v_cmp_eq_u32_e32 vcc, 0, v2
	v_mov_b32_e32 v1, 0x7f800001
	v_cndmask_b32_e32 v1, v1, v0, vcc
; %bb.12212:                            ;   in Loop: Header=BB4_12002 Depth=3
	s_or_b64 exec, exec, s[34:35]
.LBB4_12213:                            ;   in Loop: Header=BB4_12002 Depth=3
	s_or_b64 exec, exec, s[30:31]
.LBB4_12214:                            ;   in Loop: Header=BB4_12002 Depth=3
	s_or_b64 exec, exec, s[28:29]
	v_mul_f32_e32 v2, v12, v1
	v_and_b32_e32 v8, 0x7f800000, v2
	v_mov_b32_e32 v9, v17
	v_cmp_ne_u64_e32 vcc, s[76:77], v[8:9]
	v_and_b32_e32 v0, 0x7fffff, v2
	v_mov_b32_e32 v1, v17
                                        ; implicit-def: $vgpr58
	s_and_saveexec_b64 s[28:29], vcc
	s_xor_b64 s[30:31], exec, s[28:29]
	s_cbranch_execz .LBB4_12228
; %bb.12215:                            ;   in Loop: Header=BB4_12002 Depth=3
	v_and_b32_e32 v8, 0x7fffffff, v2
	v_mov_b32_e32 v9, v17
	v_cmp_gt_u64_e32 vcc, s[78:79], v[8:9]
	v_and_b32_sdwa v3, v2, s96 dst_sel:DWORD dst_unused:UNUSED_PAD src0_sel:BYTE_3 src1_sel:DWORD
                                        ; implicit-def: $vgpr58
	s_and_saveexec_b64 s[28:29], vcc
	s_xor_b64 s[34:35], exec, s[28:29]
	s_cbranch_execz .LBB4_12225
; %bb.12216:                            ;   in Loop: Header=BB4_12002 Depth=3
	v_mov_b32_e32 v58, 0
	v_cmp_ne_u32_e32 vcc, 0, v2
	s_and_saveexec_b64 s[36:37], vcc
	s_cbranch_execz .LBB4_12224
; %bb.12217:                            ;   in Loop: Header=BB4_12002 Depth=3
	v_bfe_u32 v8, v2, 23, 8
	v_cmp_gt_u32_e64 s[28:29], s46, v8
	v_sub_u32_e32 v2, 0x71, v8
	v_cmp_eq_u32_e32 vcc, 0, v8
	v_cndmask_b32_e64 v2, 0, v2, s[28:29]
	v_mov_b32_e32 v6, 0x70
	v_cndmask_b32_e32 v9, v2, v6, vcc
	v_add_u32_e32 v2, 21, v9
	v_or_b32_e32 v5, 0x800000, v0
	v_lshlrev_b64 v[13:14], v2, -1
	v_cndmask_b32_e32 v0, v5, v0, vcc
	v_add_u32_e32 v2, 20, v9
	v_bfi_b32 v13, v13, 0, v0
	v_lshlrev_b64 v[15:16], v2, 1
	v_lshrrev_b64 v[0:1], v9, v[0:1]
	v_bfi_b32 v14, v14, 0, 0
	v_cmp_eq_u64_e64 s[28:29], v[13:14], v[15:16]
	v_mov_b32_e32 v2, v1
	v_mov_b32_e32 v1, v0
	s_and_saveexec_b64 s[38:39], s[28:29]
; %bb.12218:                            ;   in Loop: Header=BB4_12002 Depth=3
	v_bfe_u32 v1, v0, 21, 1
	v_add_co_u32_e64 v1, s[28:29], v0, v1
	v_add_co_u32_e64 v1, s[28:29], -1, v1
; %bb.12219:                            ;   in Loop: Header=BB4_12002 Depth=3
	s_or_b64 exec, exec, s[38:39]
	v_add_u32_e32 v2, 0xffffff81, v8
	v_mov_b32_e32 v5, 0xffffff82
	v_cndmask_b32_e32 v2, v2, v5, vcc
	v_lshrrev_b32_e32 v5, 23, v0
	v_add3_u32 v9, v9, v2, v5
	v_add_u32_e32 v8, 14, v9
	v_and_b32_e32 v1, 0x1fffff, v1
	v_add_u32_e32 v0, v1, v0
	v_mov_b32_e32 v1, v17
	v_cmp_ne_u32_e32 vcc, 0, v8
                                        ; implicit-def: $vgpr2
	s_and_saveexec_b64 s[28:29], vcc
	s_xor_b64 s[28:29], exec, s[28:29]
; %bb.12220:                            ;   in Loop: Header=BB4_12002 Depth=3
	v_cmp_lt_u64_e32 vcc, s[88:89], v[0:1]
	v_add_u32_e32 v2, 15, v9
	v_cndmask_b32_e64 v5, 0, 1, vcc
	v_cndmask_b32_e32 v2, v8, v2, vcc
	v_lshrrev_b64 v[0:1], v5, v[0:1]
; %bb.12221:                            ;   in Loop: Header=BB4_12002 Depth=3
	s_andn2_saveexec_b64 s[28:29], s[28:29]
; %bb.12222:                            ;   in Loop: Header=BB4_12002 Depth=3
	v_bfe_u32 v2, v0, 23, 1
; %bb.12223:                            ;   in Loop: Header=BB4_12002 Depth=3
	s_or_b64 exec, exec, s[28:29]
	v_lshrrev_b64 v[0:1], 21, v[0:1]
	v_cmp_gt_i32_e32 vcc, 32, v2
	v_cndmask_b32_e32 v1, 0, v1, vcc
	v_cndmask_b32_e32 v0, 3, v0, vcc
	v_cmp_eq_u64_e64 s[28:29], 0, v[0:1]
	v_min_i32_e32 v1, 31, v2
	v_lshlrev_b32_e32 v1, 2, v1
	v_cmp_eq_u32_e32 vcc, 0, v2
	v_and_b32_e32 v1, 0xfc, v1
	v_and_or_b32 v0, v0, 3, v1
	s_and_b64 s[28:29], vcc, s[28:29]
	v_cndmask_b32_e64 v0, v0, 0, s[28:29]
	v_or_b32_e32 v58, v0, v3
.LBB4_12224:                            ;   in Loop: Header=BB4_12002 Depth=3
	s_or_b64 exec, exec, s[36:37]
                                        ; implicit-def: $vgpr3
.LBB4_12225:                            ;   in Loop: Header=BB4_12002 Depth=3
	s_andn2_saveexec_b64 s[28:29], s[34:35]
; %bb.12226:                            ;   in Loop: Header=BB4_12002 Depth=3
	v_or_b32_e32 v58, 0x7b, v3
; %bb.12227:                            ;   in Loop: Header=BB4_12002 Depth=3
	s_or_b64 exec, exec, s[28:29]
                                        ; implicit-def: $vgpr2
                                        ; implicit-def: $vgpr0_vgpr1
.LBB4_12228:                            ;   in Loop: Header=BB4_12002 Depth=3
	s_andn2_saveexec_b64 s[28:29], s[30:31]
	s_cbranch_execz .LBB4_12234
; %bb.12229:                            ;   in Loop: Header=BB4_12002 Depth=3
	v_cmp_ne_u64_e32 vcc, 0, v[0:1]
                                        ; implicit-def: $vgpr58
	s_and_saveexec_b64 s[30:31], vcc
	s_xor_b64 vcc, exec, s[30:31]
; %bb.12230:                            ;   in Loop: Header=BB4_12002 Depth=3
	v_or_b32_sdwa v58, v2, s47 dst_sel:DWORD dst_unused:UNUSED_PAD src0_sel:BYTE_3 src1_sel:DWORD
                                        ; implicit-def: $vgpr2
; %bb.12231:                            ;   in Loop: Header=BB4_12002 Depth=3
	s_andn2_saveexec_b64 s[30:31], vcc
; %bb.12232:                            ;   in Loop: Header=BB4_12002 Depth=3
	v_cmp_lt_i32_e32 vcc, -1, v2
	v_bfrev_b32_e32 v0, 0.5
	v_cndmask_b32_e32 v58, v0, v52, vcc
; %bb.12233:                            ;   in Loop: Header=BB4_12002 Depth=3
	s_or_b64 exec, exec, s[30:31]
.LBB4_12234:                            ;   in Loop: Header=BB4_12002 Depth=3
	s_or_b64 exec, exec, s[28:29]
	v_cmp_ne_u16_sdwa vcc, v10, v17 src0_sel:BYTE_0 src1_sel:DWORD
	v_mov_b32_e32 v0, 0
	s_and_saveexec_b64 s[28:29], vcc
	s_cbranch_execz .LBB4_12242
; %bb.12235:                            ;   in Loop: Header=BB4_12002 Depth=3
	v_cmp_ne_u16_sdwa vcc, sext(v10), s97 src0_sel:BYTE_0 src1_sel:DWORD
	v_bfrev_b32_e32 v0, 1
	s_and_saveexec_b64 s[30:31], vcc
	s_cbranch_execz .LBB4_12241
; %bb.12236:                            ;   in Loop: Header=BB4_12002 Depth=3
	v_and_b32_e32 v0, 0x7c, v10
	v_and_b32_e32 v1, 3, v10
	v_cmp_ne_u32_e32 vcc, s85, v0
                                        ; implicit-def: $vgpr0
	s_and_saveexec_b64 s[34:35], vcc
	s_xor_b64 s[34:35], exec, s[34:35]
	s_cbranch_execz .LBB4_12238
; %bb.12237:                            ;   in Loop: Header=BB4_12002 Depth=3
	v_ffbh_u32_e32 v2, v1
	v_min_u32_e32 v5, 32, v2
	v_subrev_u32_e32 v2, 29, v5
	v_lshlrev_b64 v[2:3], v2, v[10:11]
	v_bfe_u32 v0, v10, 2, 5
	v_and_b32_e32 v2, 3, v2
	v_cmp_eq_u32_e32 vcc, 0, v0
	v_sub_u32_e32 v3, 30, v5
	v_cndmask_b32_e32 v1, v1, v2, vcc
	v_lshlrev_b32_e32 v2, 24, v10
	v_cndmask_b32_e32 v0, v0, v3, vcc
	v_and_b32_e32 v2, 0x80000000, v2
	v_lshl_add_u32 v0, v0, 23, v2
	v_lshl_or_b32 v0, v1, 21, v0
	v_add_u32_e32 v0, 0x38000000, v0
                                        ; implicit-def: $vgpr1
.LBB4_12238:                            ;   in Loop: Header=BB4_12002 Depth=3
	s_andn2_saveexec_b64 s[34:35], s[34:35]
; %bb.12239:                            ;   in Loop: Header=BB4_12002 Depth=3
	v_mov_b32_e32 v0, -1
	v_cmp_gt_i16_sdwa vcc, sext(v10), v0 src0_sel:BYTE_0 src1_sel:DWORD
	v_mov_b32_e32 v0, 0xff800000
	v_mov_b32_e32 v2, 0x7f800000
	v_cndmask_b32_e32 v0, v0, v2, vcc
	v_cmp_eq_u32_e32 vcc, 0, v1
	v_mov_b32_e32 v1, 0x7f800001
	v_cndmask_b32_e32 v0, v1, v0, vcc
; %bb.12240:                            ;   in Loop: Header=BB4_12002 Depth=3
	s_or_b64 exec, exec, s[34:35]
.LBB4_12241:                            ;   in Loop: Header=BB4_12002 Depth=3
	s_or_b64 exec, exec, s[30:31]
.LBB4_12242:                            ;   in Loop: Header=BB4_12002 Depth=3
	s_or_b64 exec, exec, s[28:29]
	v_mul_f32_e32 v2, v12, v0
	v_and_b32_e32 v8, 0x7f800000, v2
	v_mov_b32_e32 v9, v17
	v_cmp_ne_u64_e32 vcc, s[76:77], v[8:9]
	v_and_b32_e32 v0, 0x7fffff, v2
	v_mov_b32_e32 v1, v17
                                        ; implicit-def: $vgpr37
	s_and_saveexec_b64 s[28:29], vcc
	s_xor_b64 s[30:31], exec, s[28:29]
	s_cbranch_execz .LBB4_12256
; %bb.12243:                            ;   in Loop: Header=BB4_12002 Depth=3
	v_and_b32_e32 v8, 0x7fffffff, v2
	v_mov_b32_e32 v9, v17
	v_cmp_gt_u64_e32 vcc, s[78:79], v[8:9]
	v_and_b32_sdwa v3, v2, s96 dst_sel:DWORD dst_unused:UNUSED_PAD src0_sel:BYTE_3 src1_sel:DWORD
                                        ; implicit-def: $vgpr37
	s_and_saveexec_b64 s[28:29], vcc
	s_xor_b64 s[34:35], exec, s[28:29]
	s_cbranch_execz .LBB4_12253
; %bb.12244:                            ;   in Loop: Header=BB4_12002 Depth=3
	v_mov_b32_e32 v37, 0
	v_cmp_ne_u32_e32 vcc, 0, v2
	s_and_saveexec_b64 s[36:37], vcc
	s_cbranch_execz .LBB4_12252
; %bb.12245:                            ;   in Loop: Header=BB4_12002 Depth=3
	v_bfe_u32 v8, v2, 23, 8
	v_cmp_gt_u32_e64 s[28:29], s46, v8
	v_sub_u32_e32 v2, 0x71, v8
	v_cmp_eq_u32_e32 vcc, 0, v8
	v_cndmask_b32_e64 v2, 0, v2, s[28:29]
	v_mov_b32_e32 v6, 0x70
	v_cndmask_b32_e32 v9, v2, v6, vcc
	v_add_u32_e32 v2, 21, v9
	v_or_b32_e32 v5, 0x800000, v0
	v_lshlrev_b64 v[13:14], v2, -1
	v_cndmask_b32_e32 v0, v5, v0, vcc
	v_add_u32_e32 v2, 20, v9
	v_bfi_b32 v13, v13, 0, v0
	v_lshlrev_b64 v[15:16], v2, 1
	v_lshrrev_b64 v[0:1], v9, v[0:1]
	v_bfi_b32 v14, v14, 0, 0
	v_cmp_eq_u64_e64 s[28:29], v[13:14], v[15:16]
	v_mov_b32_e32 v2, v1
	v_mov_b32_e32 v1, v0
	s_and_saveexec_b64 s[38:39], s[28:29]
; %bb.12246:                            ;   in Loop: Header=BB4_12002 Depth=3
	v_bfe_u32 v1, v0, 21, 1
	v_add_co_u32_e64 v1, s[28:29], v0, v1
	v_add_co_u32_e64 v1, s[28:29], -1, v1
; %bb.12247:                            ;   in Loop: Header=BB4_12002 Depth=3
	s_or_b64 exec, exec, s[38:39]
	v_add_u32_e32 v2, 0xffffff81, v8
	v_mov_b32_e32 v5, 0xffffff82
	v_cndmask_b32_e32 v2, v2, v5, vcc
	v_lshrrev_b32_e32 v5, 23, v0
	v_add3_u32 v9, v9, v2, v5
	v_add_u32_e32 v8, 14, v9
	v_and_b32_e32 v1, 0x1fffff, v1
	v_add_u32_e32 v0, v1, v0
	v_mov_b32_e32 v1, v17
	v_cmp_ne_u32_e32 vcc, 0, v8
                                        ; implicit-def: $vgpr2
	s_and_saveexec_b64 s[28:29], vcc
	s_xor_b64 s[28:29], exec, s[28:29]
; %bb.12248:                            ;   in Loop: Header=BB4_12002 Depth=3
	v_cmp_lt_u64_e32 vcc, s[88:89], v[0:1]
	v_add_u32_e32 v2, 15, v9
	v_cndmask_b32_e64 v5, 0, 1, vcc
	v_cndmask_b32_e32 v2, v8, v2, vcc
	v_lshrrev_b64 v[0:1], v5, v[0:1]
; %bb.12249:                            ;   in Loop: Header=BB4_12002 Depth=3
	s_andn2_saveexec_b64 s[28:29], s[28:29]
; %bb.12250:                            ;   in Loop: Header=BB4_12002 Depth=3
	v_bfe_u32 v2, v0, 23, 1
; %bb.12251:                            ;   in Loop: Header=BB4_12002 Depth=3
	s_or_b64 exec, exec, s[28:29]
	v_lshrrev_b64 v[0:1], 21, v[0:1]
	v_cmp_gt_i32_e32 vcc, 32, v2
	v_cndmask_b32_e32 v1, 0, v1, vcc
	v_cndmask_b32_e32 v0, 3, v0, vcc
	v_cmp_eq_u64_e64 s[28:29], 0, v[0:1]
	v_min_i32_e32 v1, 31, v2
	v_lshlrev_b32_e32 v1, 2, v1
	v_cmp_eq_u32_e32 vcc, 0, v2
	v_and_b32_e32 v1, 0xfc, v1
	v_and_or_b32 v0, v0, 3, v1
	s_and_b64 s[28:29], vcc, s[28:29]
	v_cndmask_b32_e64 v0, v0, 0, s[28:29]
	v_or_b32_e32 v37, v0, v3
.LBB4_12252:                            ;   in Loop: Header=BB4_12002 Depth=3
	s_or_b64 exec, exec, s[36:37]
                                        ; implicit-def: $vgpr3
.LBB4_12253:                            ;   in Loop: Header=BB4_12002 Depth=3
	s_andn2_saveexec_b64 s[28:29], s[34:35]
; %bb.12254:                            ;   in Loop: Header=BB4_12002 Depth=3
	v_or_b32_e32 v37, 0x7b, v3
; %bb.12255:                            ;   in Loop: Header=BB4_12002 Depth=3
	s_or_b64 exec, exec, s[28:29]
                                        ; implicit-def: $vgpr2
                                        ; implicit-def: $vgpr0_vgpr1
.LBB4_12256:                            ;   in Loop: Header=BB4_12002 Depth=3
	s_andn2_saveexec_b64 s[28:29], s[30:31]
	s_cbranch_execz .LBB4_12262
; %bb.12257:                            ;   in Loop: Header=BB4_12002 Depth=3
	v_cmp_ne_u64_e32 vcc, 0, v[0:1]
                                        ; implicit-def: $vgpr37
	s_and_saveexec_b64 s[30:31], vcc
	s_xor_b64 vcc, exec, s[30:31]
; %bb.12258:                            ;   in Loop: Header=BB4_12002 Depth=3
	v_or_b32_sdwa v37, v2, s47 dst_sel:DWORD dst_unused:UNUSED_PAD src0_sel:BYTE_3 src1_sel:DWORD
                                        ; implicit-def: $vgpr2
; %bb.12259:                            ;   in Loop: Header=BB4_12002 Depth=3
	s_andn2_saveexec_b64 s[30:31], vcc
; %bb.12260:                            ;   in Loop: Header=BB4_12002 Depth=3
	v_cmp_lt_i32_e32 vcc, -1, v2
	v_bfrev_b32_e32 v0, 0.5
	v_cndmask_b32_e32 v37, v0, v52, vcc
; %bb.12261:                            ;   in Loop: Header=BB4_12002 Depth=3
	s_or_b64 exec, exec, s[30:31]
.LBB4_12262:                            ;   in Loop: Header=BB4_12002 Depth=3
	s_or_b64 exec, exec, s[28:29]
	v_lshrrev_b16_e32 v0, 8, v10
	v_cmp_ne_u16_e32 vcc, 0, v0
	v_mov_b32_e32 v1, 0
	s_and_saveexec_b64 s[28:29], vcc
	s_cbranch_execz .LBB4_12270
; %bb.12263:                            ;   in Loop: Header=BB4_12002 Depth=3
	v_cmp_ne_u16_e32 vcc, s96, v0
	v_bfrev_b32_e32 v1, 1
	s_and_saveexec_b64 s[30:31], vcc
	s_cbranch_execz .LBB4_12269
; %bb.12264:                            ;   in Loop: Header=BB4_12002 Depth=3
	v_and_b32_e32 v1, 0x7c, v0
	v_and_b32_e32 v2, 3, v0
	v_cmp_ne_u32_e32 vcc, s85, v1
                                        ; implicit-def: $vgpr1
	s_and_saveexec_b64 s[34:35], vcc
	s_xor_b64 s[34:35], exec, s[34:35]
	s_cbranch_execz .LBB4_12266
; %bb.12265:                            ;   in Loop: Header=BB4_12002 Depth=3
	v_ffbh_u32_e32 v5, v2
	v_min_u32_e32 v5, 32, v5
	v_mov_b32_e32 v1, v17
	v_subrev_u32_e32 v6, 29, v5
	v_bfe_u32 v3, v0, 2, 5
	v_lshlrev_b64 v[0:1], v6, v[0:1]
	v_cmp_eq_u32_e32 vcc, 0, v3
	v_and_b32_e32 v0, 3, v0
	v_sub_u32_e32 v1, 30, v5
	v_cndmask_b32_e32 v0, v2, v0, vcc
	v_lshlrev_b32_e32 v2, 16, v10
	v_cndmask_b32_e32 v1, v3, v1, vcc
	v_and_b32_e32 v2, 0x80000000, v2
	v_lshl_add_u32 v1, v1, 23, v2
	v_lshl_or_b32 v0, v0, 21, v1
	v_add_u32_e32 v1, 0x38000000, v0
                                        ; implicit-def: $vgpr2
.LBB4_12266:                            ;   in Loop: Header=BB4_12002 Depth=3
	s_andn2_saveexec_b64 s[34:35], s[34:35]
; %bb.12267:                            ;   in Loop: Header=BB4_12002 Depth=3
	v_cmp_lt_i16_e32 vcc, -1, v10
	v_mov_b32_e32 v0, 0xff800000
	v_mov_b32_e32 v1, 0x7f800000
	v_cndmask_b32_e32 v0, v0, v1, vcc
	v_cmp_eq_u32_e32 vcc, 0, v2
	v_mov_b32_e32 v1, 0x7f800001
	v_cndmask_b32_e32 v1, v1, v0, vcc
; %bb.12268:                            ;   in Loop: Header=BB4_12002 Depth=3
	s_or_b64 exec, exec, s[34:35]
.LBB4_12269:                            ;   in Loop: Header=BB4_12002 Depth=3
	s_or_b64 exec, exec, s[30:31]
.LBB4_12270:                            ;   in Loop: Header=BB4_12002 Depth=3
	s_or_b64 exec, exec, s[28:29]
	v_mul_f32_e32 v2, v12, v1
	v_and_b32_e32 v8, 0x7f800000, v2
	v_mov_b32_e32 v9, v17
	v_cmp_ne_u64_e32 vcc, s[76:77], v[8:9]
	v_and_b32_e32 v0, 0x7fffff, v2
	v_mov_b32_e32 v1, v17
                                        ; implicit-def: $vgpr55
	s_and_saveexec_b64 s[28:29], vcc
	s_xor_b64 s[30:31], exec, s[28:29]
	s_cbranch_execz .LBB4_12284
; %bb.12271:                            ;   in Loop: Header=BB4_12002 Depth=3
	v_and_b32_e32 v8, 0x7fffffff, v2
	v_mov_b32_e32 v9, v17
	v_cmp_gt_u64_e32 vcc, s[78:79], v[8:9]
	v_and_b32_sdwa v3, v2, s96 dst_sel:DWORD dst_unused:UNUSED_PAD src0_sel:BYTE_3 src1_sel:DWORD
                                        ; implicit-def: $vgpr55
	s_and_saveexec_b64 s[28:29], vcc
	s_xor_b64 s[34:35], exec, s[28:29]
	s_cbranch_execz .LBB4_12281
; %bb.12272:                            ;   in Loop: Header=BB4_12002 Depth=3
	v_mov_b32_e32 v55, 0
	v_cmp_ne_u32_e32 vcc, 0, v2
	s_and_saveexec_b64 s[36:37], vcc
	s_cbranch_execz .LBB4_12280
; %bb.12273:                            ;   in Loop: Header=BB4_12002 Depth=3
	v_bfe_u32 v8, v2, 23, 8
	v_cmp_gt_u32_e64 s[28:29], s46, v8
	v_sub_u32_e32 v2, 0x71, v8
	v_cmp_eq_u32_e32 vcc, 0, v8
	v_cndmask_b32_e64 v2, 0, v2, s[28:29]
	v_mov_b32_e32 v6, 0x70
	v_cndmask_b32_e32 v9, v2, v6, vcc
	v_add_u32_e32 v2, 21, v9
	v_or_b32_e32 v5, 0x800000, v0
	v_lshlrev_b64 v[13:14], v2, -1
	v_cndmask_b32_e32 v0, v5, v0, vcc
	v_add_u32_e32 v2, 20, v9
	v_bfi_b32 v13, v13, 0, v0
	v_lshlrev_b64 v[15:16], v2, 1
	v_lshrrev_b64 v[0:1], v9, v[0:1]
	v_bfi_b32 v14, v14, 0, 0
	v_cmp_eq_u64_e64 s[28:29], v[13:14], v[15:16]
	v_mov_b32_e32 v2, v1
	v_mov_b32_e32 v1, v0
	s_and_saveexec_b64 s[38:39], s[28:29]
; %bb.12274:                            ;   in Loop: Header=BB4_12002 Depth=3
	v_bfe_u32 v1, v0, 21, 1
	v_add_co_u32_e64 v1, s[28:29], v0, v1
	v_add_co_u32_e64 v1, s[28:29], -1, v1
; %bb.12275:                            ;   in Loop: Header=BB4_12002 Depth=3
	s_or_b64 exec, exec, s[38:39]
	v_add_u32_e32 v2, 0xffffff81, v8
	v_mov_b32_e32 v5, 0xffffff82
	v_cndmask_b32_e32 v2, v2, v5, vcc
	v_lshrrev_b32_e32 v5, 23, v0
	v_add3_u32 v9, v9, v2, v5
	v_add_u32_e32 v8, 14, v9
	v_and_b32_e32 v1, 0x1fffff, v1
	v_add_u32_e32 v0, v1, v0
	v_mov_b32_e32 v1, v17
	v_cmp_ne_u32_e32 vcc, 0, v8
                                        ; implicit-def: $vgpr2
	s_and_saveexec_b64 s[28:29], vcc
	s_xor_b64 s[28:29], exec, s[28:29]
; %bb.12276:                            ;   in Loop: Header=BB4_12002 Depth=3
	v_cmp_lt_u64_e32 vcc, s[88:89], v[0:1]
	v_add_u32_e32 v2, 15, v9
	v_cndmask_b32_e64 v5, 0, 1, vcc
	v_cndmask_b32_e32 v2, v8, v2, vcc
	v_lshrrev_b64 v[0:1], v5, v[0:1]
; %bb.12277:                            ;   in Loop: Header=BB4_12002 Depth=3
	s_andn2_saveexec_b64 s[28:29], s[28:29]
; %bb.12278:                            ;   in Loop: Header=BB4_12002 Depth=3
	v_bfe_u32 v2, v0, 23, 1
; %bb.12279:                            ;   in Loop: Header=BB4_12002 Depth=3
	s_or_b64 exec, exec, s[28:29]
	v_lshrrev_b64 v[0:1], 21, v[0:1]
	v_cmp_gt_i32_e32 vcc, 32, v2
	v_cndmask_b32_e32 v1, 0, v1, vcc
	v_cndmask_b32_e32 v0, 3, v0, vcc
	v_cmp_eq_u64_e64 s[28:29], 0, v[0:1]
	v_min_i32_e32 v1, 31, v2
	v_lshlrev_b32_e32 v1, 2, v1
	v_cmp_eq_u32_e32 vcc, 0, v2
	v_and_b32_e32 v1, 0xfc, v1
	v_and_or_b32 v0, v0, 3, v1
	s_and_b64 s[28:29], vcc, s[28:29]
	v_cndmask_b32_e64 v0, v0, 0, s[28:29]
	v_or_b32_e32 v55, v0, v3
.LBB4_12280:                            ;   in Loop: Header=BB4_12002 Depth=3
	s_or_b64 exec, exec, s[36:37]
                                        ; implicit-def: $vgpr3
.LBB4_12281:                            ;   in Loop: Header=BB4_12002 Depth=3
	s_andn2_saveexec_b64 s[28:29], s[34:35]
; %bb.12282:                            ;   in Loop: Header=BB4_12002 Depth=3
	v_or_b32_e32 v55, 0x7b, v3
; %bb.12283:                            ;   in Loop: Header=BB4_12002 Depth=3
	s_or_b64 exec, exec, s[28:29]
                                        ; implicit-def: $vgpr2
                                        ; implicit-def: $vgpr0_vgpr1
.LBB4_12284:                            ;   in Loop: Header=BB4_12002 Depth=3
	s_andn2_saveexec_b64 s[28:29], s[30:31]
	s_cbranch_execz .LBB4_12290
; %bb.12285:                            ;   in Loop: Header=BB4_12002 Depth=3
	v_cmp_ne_u64_e32 vcc, 0, v[0:1]
                                        ; implicit-def: $vgpr55
	s_and_saveexec_b64 s[30:31], vcc
	s_xor_b64 vcc, exec, s[30:31]
; %bb.12286:                            ;   in Loop: Header=BB4_12002 Depth=3
	v_or_b32_sdwa v55, v2, s47 dst_sel:DWORD dst_unused:UNUSED_PAD src0_sel:BYTE_3 src1_sel:DWORD
                                        ; implicit-def: $vgpr2
; %bb.12287:                            ;   in Loop: Header=BB4_12002 Depth=3
	s_andn2_saveexec_b64 s[30:31], vcc
; %bb.12288:                            ;   in Loop: Header=BB4_12002 Depth=3
	v_cmp_lt_i32_e32 vcc, -1, v2
	v_bfrev_b32_e32 v0, 0.5
	v_cndmask_b32_e32 v55, v0, v52, vcc
; %bb.12289:                            ;   in Loop: Header=BB4_12002 Depth=3
	s_or_b64 exec, exec, s[30:31]
.LBB4_12290:                            ;   in Loop: Header=BB4_12002 Depth=3
	s_or_b64 exec, exec, s[28:29]
	v_lshrrev_b32_e32 v0, 16, v10
	v_cmp_ne_u16_sdwa vcc, v0, v17 src0_sel:BYTE_0 src1_sel:DWORD
	v_mov_b32_e32 v1, 0
	s_and_saveexec_b64 s[28:29], vcc
	s_cbranch_execz .LBB4_12298
; %bb.12291:                            ;   in Loop: Header=BB4_12002 Depth=3
	v_cmp_ne_u16_sdwa vcc, v0, s96 src0_sel:BYTE_0 src1_sel:DWORD
	v_bfrev_b32_e32 v1, 1
	s_and_saveexec_b64 s[30:31], vcc
	s_cbranch_execz .LBB4_12297
; %bb.12292:                            ;   in Loop: Header=BB4_12002 Depth=3
	v_and_b32_e32 v1, 0x7c0000, v10
	v_bfe_u32 v2, v10, 16, 2
	v_cmp_ne_u32_e32 vcc, s44, v1
                                        ; implicit-def: $vgpr1
	s_and_saveexec_b64 s[34:35], vcc
	s_xor_b64 s[34:35], exec, s[34:35]
	s_cbranch_execz .LBB4_12294
; %bb.12293:                            ;   in Loop: Header=BB4_12002 Depth=3
	v_ffbh_u32_e32 v1, v2
	v_min_u32_e32 v5, 32, v1
	v_subrev_u32_e32 v1, 29, v5
	v_lshlrev_b64 v[0:1], v1, v[0:1]
	v_bfe_u32 v3, v10, 18, 5
	v_and_b32_e32 v0, 3, v0
	v_cmp_eq_u32_e32 vcc, 0, v3
	v_sub_u32_e32 v1, 30, v5
	v_cndmask_b32_e32 v0, v2, v0, vcc
	v_lshlrev_b32_e32 v2, 8, v10
	v_cndmask_b32_e32 v1, v3, v1, vcc
	v_and_b32_e32 v2, 0x80000000, v2
	v_lshl_add_u32 v1, v1, 23, v2
	v_lshl_or_b32 v0, v0, 21, v1
	v_add_u32_e32 v1, 0x38000000, v0
                                        ; implicit-def: $vgpr2
                                        ; implicit-def: $vgpr0
.LBB4_12294:                            ;   in Loop: Header=BB4_12002 Depth=3
	s_andn2_saveexec_b64 s[34:35], s[34:35]
; %bb.12295:                            ;   in Loop: Header=BB4_12002 Depth=3
	v_mov_b32_e32 v1, -1
	v_cmp_gt_i16_sdwa vcc, sext(v0), v1 src0_sel:BYTE_0 src1_sel:DWORD
	v_mov_b32_e32 v0, 0xff800000
	v_mov_b32_e32 v1, 0x7f800000
	v_cndmask_b32_e32 v0, v0, v1, vcc
	v_cmp_eq_u32_e32 vcc, 0, v2
	v_mov_b32_e32 v1, 0x7f800001
	v_cndmask_b32_e32 v1, v1, v0, vcc
; %bb.12296:                            ;   in Loop: Header=BB4_12002 Depth=3
	s_or_b64 exec, exec, s[34:35]
.LBB4_12297:                            ;   in Loop: Header=BB4_12002 Depth=3
	s_or_b64 exec, exec, s[30:31]
.LBB4_12298:                            ;   in Loop: Header=BB4_12002 Depth=3
	s_or_b64 exec, exec, s[28:29]
	v_mul_f32_e32 v2, v12, v1
	v_and_b32_e32 v8, 0x7f800000, v2
	v_mov_b32_e32 v9, v17
	v_cmp_ne_u64_e32 vcc, s[76:77], v[8:9]
	v_and_b32_e32 v0, 0x7fffff, v2
	v_mov_b32_e32 v1, v17
                                        ; implicit-def: $vgpr56
	s_and_saveexec_b64 s[28:29], vcc
	s_xor_b64 s[30:31], exec, s[28:29]
	s_cbranch_execz .LBB4_12312
; %bb.12299:                            ;   in Loop: Header=BB4_12002 Depth=3
	v_and_b32_e32 v8, 0x7fffffff, v2
	v_mov_b32_e32 v9, v17
	v_cmp_gt_u64_e32 vcc, s[78:79], v[8:9]
	v_and_b32_sdwa v3, v2, s96 dst_sel:DWORD dst_unused:UNUSED_PAD src0_sel:BYTE_3 src1_sel:DWORD
                                        ; implicit-def: $vgpr56
	s_and_saveexec_b64 s[28:29], vcc
	s_xor_b64 s[34:35], exec, s[28:29]
	s_cbranch_execz .LBB4_12309
; %bb.12300:                            ;   in Loop: Header=BB4_12002 Depth=3
	v_mov_b32_e32 v56, 0
	v_cmp_ne_u32_e32 vcc, 0, v2
	s_and_saveexec_b64 s[36:37], vcc
	s_cbranch_execz .LBB4_12308
; %bb.12301:                            ;   in Loop: Header=BB4_12002 Depth=3
	v_bfe_u32 v8, v2, 23, 8
	v_cmp_gt_u32_e64 s[28:29], s46, v8
	v_sub_u32_e32 v2, 0x71, v8
	v_cmp_eq_u32_e32 vcc, 0, v8
	v_cndmask_b32_e64 v2, 0, v2, s[28:29]
	v_mov_b32_e32 v6, 0x70
	v_cndmask_b32_e32 v9, v2, v6, vcc
	v_add_u32_e32 v2, 21, v9
	v_or_b32_e32 v5, 0x800000, v0
	v_lshlrev_b64 v[13:14], v2, -1
	v_cndmask_b32_e32 v0, v5, v0, vcc
	v_add_u32_e32 v2, 20, v9
	v_bfi_b32 v13, v13, 0, v0
	v_lshlrev_b64 v[15:16], v2, 1
	v_lshrrev_b64 v[0:1], v9, v[0:1]
	v_bfi_b32 v14, v14, 0, 0
	v_cmp_eq_u64_e64 s[28:29], v[13:14], v[15:16]
	v_mov_b32_e32 v2, v1
	v_mov_b32_e32 v1, v0
	s_and_saveexec_b64 s[38:39], s[28:29]
; %bb.12302:                            ;   in Loop: Header=BB4_12002 Depth=3
	v_bfe_u32 v1, v0, 21, 1
	v_add_co_u32_e64 v1, s[28:29], v0, v1
	v_add_co_u32_e64 v1, s[28:29], -1, v1
; %bb.12303:                            ;   in Loop: Header=BB4_12002 Depth=3
	s_or_b64 exec, exec, s[38:39]
	v_add_u32_e32 v2, 0xffffff81, v8
	v_mov_b32_e32 v5, 0xffffff82
	v_cndmask_b32_e32 v2, v2, v5, vcc
	v_lshrrev_b32_e32 v5, 23, v0
	v_add3_u32 v9, v9, v2, v5
	v_add_u32_e32 v8, 14, v9
	v_and_b32_e32 v1, 0x1fffff, v1
	v_add_u32_e32 v0, v1, v0
	v_mov_b32_e32 v1, v17
	v_cmp_ne_u32_e32 vcc, 0, v8
                                        ; implicit-def: $vgpr2
	s_and_saveexec_b64 s[28:29], vcc
	s_xor_b64 s[28:29], exec, s[28:29]
; %bb.12304:                            ;   in Loop: Header=BB4_12002 Depth=3
	v_cmp_lt_u64_e32 vcc, s[88:89], v[0:1]
	v_add_u32_e32 v2, 15, v9
	v_cndmask_b32_e64 v5, 0, 1, vcc
	v_cndmask_b32_e32 v2, v8, v2, vcc
	v_lshrrev_b64 v[0:1], v5, v[0:1]
; %bb.12305:                            ;   in Loop: Header=BB4_12002 Depth=3
	s_andn2_saveexec_b64 s[28:29], s[28:29]
; %bb.12306:                            ;   in Loop: Header=BB4_12002 Depth=3
	v_bfe_u32 v2, v0, 23, 1
; %bb.12307:                            ;   in Loop: Header=BB4_12002 Depth=3
	s_or_b64 exec, exec, s[28:29]
	v_lshrrev_b64 v[0:1], 21, v[0:1]
	v_cmp_gt_i32_e32 vcc, 32, v2
	v_cndmask_b32_e32 v1, 0, v1, vcc
	v_cndmask_b32_e32 v0, 3, v0, vcc
	v_cmp_eq_u64_e64 s[28:29], 0, v[0:1]
	v_min_i32_e32 v1, 31, v2
	v_lshlrev_b32_e32 v1, 2, v1
	v_cmp_eq_u32_e32 vcc, 0, v2
	v_and_b32_e32 v1, 0xfc, v1
	v_and_or_b32 v0, v0, 3, v1
	s_and_b64 s[28:29], vcc, s[28:29]
	v_cndmask_b32_e64 v0, v0, 0, s[28:29]
	v_or_b32_e32 v56, v0, v3
.LBB4_12308:                            ;   in Loop: Header=BB4_12002 Depth=3
	s_or_b64 exec, exec, s[36:37]
                                        ; implicit-def: $vgpr3
.LBB4_12309:                            ;   in Loop: Header=BB4_12002 Depth=3
	s_andn2_saveexec_b64 s[28:29], s[34:35]
; %bb.12310:                            ;   in Loop: Header=BB4_12002 Depth=3
	v_or_b32_e32 v56, 0x7b, v3
; %bb.12311:                            ;   in Loop: Header=BB4_12002 Depth=3
	s_or_b64 exec, exec, s[28:29]
                                        ; implicit-def: $vgpr2
                                        ; implicit-def: $vgpr0_vgpr1
.LBB4_12312:                            ;   in Loop: Header=BB4_12002 Depth=3
	s_andn2_saveexec_b64 s[28:29], s[30:31]
	s_cbranch_execz .LBB4_12318
; %bb.12313:                            ;   in Loop: Header=BB4_12002 Depth=3
	v_cmp_ne_u64_e32 vcc, 0, v[0:1]
                                        ; implicit-def: $vgpr56
	s_and_saveexec_b64 s[30:31], vcc
	s_xor_b64 vcc, exec, s[30:31]
; %bb.12314:                            ;   in Loop: Header=BB4_12002 Depth=3
	v_or_b32_sdwa v56, v2, s47 dst_sel:DWORD dst_unused:UNUSED_PAD src0_sel:BYTE_3 src1_sel:DWORD
                                        ; implicit-def: $vgpr2
; %bb.12315:                            ;   in Loop: Header=BB4_12002 Depth=3
	s_andn2_saveexec_b64 s[30:31], vcc
; %bb.12316:                            ;   in Loop: Header=BB4_12002 Depth=3
	v_cmp_lt_i32_e32 vcc, -1, v2
	v_bfrev_b32_e32 v0, 0.5
	v_cndmask_b32_e32 v56, v0, v52, vcc
; %bb.12317:                            ;   in Loop: Header=BB4_12002 Depth=3
	s_or_b64 exec, exec, s[30:31]
.LBB4_12318:                            ;   in Loop: Header=BB4_12002 Depth=3
	s_or_b64 exec, exec, s[28:29]
	v_cmp_lt_u32_e32 vcc, s57, v10
	v_mov_b32_e32 v1, 0
	s_and_saveexec_b64 s[28:29], vcc
	s_cbranch_execz .LBB4_12326
; %bb.12319:                            ;   in Loop: Header=BB4_12002 Depth=3
	v_lshrrev_b32_e32 v0, 24, v10
	v_cmp_ne_u32_e32 vcc, s96, v0
	v_bfrev_b32_e32 v1, 1
	s_and_saveexec_b64 s[30:31], vcc
	s_cbranch_execz .LBB4_12325
; %bb.12320:                            ;   in Loop: Header=BB4_12002 Depth=3
	v_and_b32_e32 v1, 0x7c000000, v10
	v_bfe_u32 v2, v10, 24, 2
	v_cmp_ne_u32_e32 vcc, s45, v1
                                        ; implicit-def: $vgpr1
	s_and_saveexec_b64 s[34:35], vcc
	s_xor_b64 s[34:35], exec, s[34:35]
	s_cbranch_execz .LBB4_12322
; %bb.12321:                            ;   in Loop: Header=BB4_12002 Depth=3
	v_ffbh_u32_e32 v1, v2
	v_min_u32_e32 v5, 32, v1
	v_subrev_u32_e32 v1, 29, v5
	v_lshlrev_b64 v[0:1], v1, v[0:1]
	v_bfe_u32 v3, v10, 26, 5
	v_sub_u32_e32 v1, 30, v5
	v_and_b32_e32 v0, 3, v0
	v_cmp_eq_u32_e32 vcc, 0, v3
	v_cndmask_b32_e32 v1, v3, v1, vcc
	v_cndmask_b32_e32 v0, v2, v0, vcc
	v_and_b32_e32 v2, 0x80000000, v10
	v_lshl_add_u32 v1, v1, 23, v2
	v_lshl_or_b32 v0, v0, 21, v1
	v_add_u32_e32 v1, 0x38000000, v0
                                        ; implicit-def: $vgpr2
.LBB4_12322:                            ;   in Loop: Header=BB4_12002 Depth=3
	s_andn2_saveexec_b64 s[34:35], s[34:35]
; %bb.12323:                            ;   in Loop: Header=BB4_12002 Depth=3
	v_cmp_lt_i32_e32 vcc, -1, v10
	v_mov_b32_e32 v0, 0xff800000
	v_mov_b32_e32 v1, 0x7f800000
	v_cndmask_b32_e32 v0, v0, v1, vcc
	v_cmp_eq_u32_e32 vcc, 0, v2
	v_mov_b32_e32 v1, 0x7f800001
	v_cndmask_b32_e32 v1, v1, v0, vcc
; %bb.12324:                            ;   in Loop: Header=BB4_12002 Depth=3
	s_or_b64 exec, exec, s[34:35]
.LBB4_12325:                            ;   in Loop: Header=BB4_12002 Depth=3
	s_or_b64 exec, exec, s[30:31]
.LBB4_12326:                            ;   in Loop: Header=BB4_12002 Depth=3
	s_or_b64 exec, exec, s[28:29]
	v_mul_f32_e32 v2, v12, v1
	v_and_b32_e32 v8, 0x7f800000, v2
	v_mov_b32_e32 v9, v17
	v_cmp_ne_u64_e32 vcc, s[76:77], v[8:9]
	v_and_b32_e32 v0, 0x7fffff, v2
	v_mov_b32_e32 v1, v17
                                        ; implicit-def: $vgpr57
	s_and_saveexec_b64 s[28:29], vcc
	s_xor_b64 s[30:31], exec, s[28:29]
	s_cbranch_execz .LBB4_12340
; %bb.12327:                            ;   in Loop: Header=BB4_12002 Depth=3
	v_and_b32_e32 v8, 0x7fffffff, v2
	v_mov_b32_e32 v9, v17
	v_cmp_gt_u64_e32 vcc, s[78:79], v[8:9]
	v_and_b32_sdwa v3, v2, s96 dst_sel:DWORD dst_unused:UNUSED_PAD src0_sel:BYTE_3 src1_sel:DWORD
                                        ; implicit-def: $vgpr57
	s_and_saveexec_b64 s[28:29], vcc
	s_xor_b64 s[34:35], exec, s[28:29]
	s_cbranch_execz .LBB4_12337
; %bb.12328:                            ;   in Loop: Header=BB4_12002 Depth=3
	v_mov_b32_e32 v57, 0
	v_cmp_ne_u32_e32 vcc, 0, v2
	s_and_saveexec_b64 s[36:37], vcc
	s_cbranch_execz .LBB4_12336
; %bb.12329:                            ;   in Loop: Header=BB4_12002 Depth=3
	v_bfe_u32 v8, v2, 23, 8
	v_cmp_gt_u32_e64 s[28:29], s46, v8
	v_sub_u32_e32 v2, 0x71, v8
	v_cmp_eq_u32_e32 vcc, 0, v8
	v_cndmask_b32_e64 v2, 0, v2, s[28:29]
	v_mov_b32_e32 v6, 0x70
	v_cndmask_b32_e32 v9, v2, v6, vcc
	v_add_u32_e32 v2, 21, v9
	v_or_b32_e32 v5, 0x800000, v0
	v_lshlrev_b64 v[13:14], v2, -1
	v_cndmask_b32_e32 v0, v5, v0, vcc
	v_add_u32_e32 v2, 20, v9
	v_bfi_b32 v13, v13, 0, v0
	v_lshlrev_b64 v[15:16], v2, 1
	v_lshrrev_b64 v[0:1], v9, v[0:1]
	v_bfi_b32 v14, v14, 0, 0
	v_cmp_eq_u64_e64 s[28:29], v[13:14], v[15:16]
	v_mov_b32_e32 v2, v1
	v_mov_b32_e32 v1, v0
	s_and_saveexec_b64 s[38:39], s[28:29]
; %bb.12330:                            ;   in Loop: Header=BB4_12002 Depth=3
	v_bfe_u32 v1, v0, 21, 1
	v_add_co_u32_e64 v1, s[28:29], v0, v1
	v_add_co_u32_e64 v1, s[28:29], -1, v1
; %bb.12331:                            ;   in Loop: Header=BB4_12002 Depth=3
	s_or_b64 exec, exec, s[38:39]
	v_add_u32_e32 v2, 0xffffff81, v8
	v_mov_b32_e32 v5, 0xffffff82
	v_cndmask_b32_e32 v2, v2, v5, vcc
	v_lshrrev_b32_e32 v5, 23, v0
	v_add3_u32 v9, v9, v2, v5
	v_add_u32_e32 v8, 14, v9
	v_and_b32_e32 v1, 0x1fffff, v1
	v_add_u32_e32 v0, v1, v0
	v_mov_b32_e32 v1, v17
	v_cmp_ne_u32_e32 vcc, 0, v8
                                        ; implicit-def: $vgpr2
	s_and_saveexec_b64 s[28:29], vcc
	s_xor_b64 s[28:29], exec, s[28:29]
; %bb.12332:                            ;   in Loop: Header=BB4_12002 Depth=3
	v_cmp_lt_u64_e32 vcc, s[88:89], v[0:1]
	v_add_u32_e32 v2, 15, v9
	v_cndmask_b32_e64 v5, 0, 1, vcc
	v_cndmask_b32_e32 v2, v8, v2, vcc
	v_lshrrev_b64 v[0:1], v5, v[0:1]
; %bb.12333:                            ;   in Loop: Header=BB4_12002 Depth=3
	s_andn2_saveexec_b64 s[28:29], s[28:29]
; %bb.12334:                            ;   in Loop: Header=BB4_12002 Depth=3
	v_bfe_u32 v2, v0, 23, 1
; %bb.12335:                            ;   in Loop: Header=BB4_12002 Depth=3
	s_or_b64 exec, exec, s[28:29]
	v_lshrrev_b64 v[0:1], 21, v[0:1]
	v_cmp_gt_i32_e32 vcc, 32, v2
	v_cndmask_b32_e32 v1, 0, v1, vcc
	v_cndmask_b32_e32 v0, 3, v0, vcc
	v_cmp_eq_u64_e64 s[28:29], 0, v[0:1]
	v_min_i32_e32 v1, 31, v2
	v_lshlrev_b32_e32 v1, 2, v1
	v_cmp_eq_u32_e32 vcc, 0, v2
	v_and_b32_e32 v1, 0xfc, v1
	v_and_or_b32 v0, v0, 3, v1
	s_and_b64 s[28:29], vcc, s[28:29]
	v_cndmask_b32_e64 v0, v0, 0, s[28:29]
	v_or_b32_e32 v57, v0, v3
.LBB4_12336:                            ;   in Loop: Header=BB4_12002 Depth=3
	s_or_b64 exec, exec, s[36:37]
                                        ; implicit-def: $vgpr3
.LBB4_12337:                            ;   in Loop: Header=BB4_12002 Depth=3
	s_andn2_saveexec_b64 s[28:29], s[34:35]
; %bb.12338:                            ;   in Loop: Header=BB4_12002 Depth=3
	v_or_b32_e32 v57, 0x7b, v3
; %bb.12339:                            ;   in Loop: Header=BB4_12002 Depth=3
	s_or_b64 exec, exec, s[28:29]
                                        ; implicit-def: $vgpr2
                                        ; implicit-def: $vgpr0_vgpr1
.LBB4_12340:                            ;   in Loop: Header=BB4_12002 Depth=3
	s_andn2_saveexec_b64 s[28:29], s[30:31]
	s_cbranch_execz .LBB4_12346
; %bb.12341:                            ;   in Loop: Header=BB4_12002 Depth=3
	v_cmp_ne_u64_e32 vcc, 0, v[0:1]
                                        ; implicit-def: $vgpr57
	s_and_saveexec_b64 s[30:31], vcc
	s_xor_b64 vcc, exec, s[30:31]
; %bb.12342:                            ;   in Loop: Header=BB4_12002 Depth=3
	v_or_b32_sdwa v57, v2, s47 dst_sel:DWORD dst_unused:UNUSED_PAD src0_sel:BYTE_3 src1_sel:DWORD
                                        ; implicit-def: $vgpr2
; %bb.12343:                            ;   in Loop: Header=BB4_12002 Depth=3
	s_andn2_saveexec_b64 s[30:31], vcc
; %bb.12344:                            ;   in Loop: Header=BB4_12002 Depth=3
	v_cmp_lt_i32_e32 vcc, -1, v2
	v_bfrev_b32_e32 v0, 0.5
	v_cndmask_b32_e32 v57, v0, v52, vcc
; %bb.12345:                            ;   in Loop: Header=BB4_12002 Depth=3
	s_or_b64 exec, exec, s[30:31]
.LBB4_12346:                            ;   in Loop: Header=BB4_12002 Depth=3
	s_or_b64 exec, exec, s[28:29]
	v_mov_b32_e32 v0, v11
	v_mov_b32_e32 v1, v17
	v_cmp_ne_u16_sdwa vcc, v11, v17 src0_sel:BYTE_0 src1_sel:DWORD
	v_mov_b32_e32 v2, 0
	s_and_saveexec_b64 s[28:29], vcc
	s_cbranch_execz .LBB4_12354
; %bb.12347:                            ;   in Loop: Header=BB4_12002 Depth=3
	v_cmp_ne_u16_sdwa vcc, v11, s96 src0_sel:BYTE_0 src1_sel:DWORD
	v_bfrev_b32_e32 v2, 1
	s_and_saveexec_b64 s[30:31], vcc
	s_cbranch_execz .LBB4_12353
; %bb.12348:                            ;   in Loop: Header=BB4_12002 Depth=3
	v_and_b32_e32 v2, 0x7c, v11
	v_and_b32_e32 v3, 3, v11
	v_cmp_ne_u32_e32 vcc, s85, v2
                                        ; implicit-def: $vgpr2
	s_and_saveexec_b64 s[34:35], vcc
	s_xor_b64 s[34:35], exec, s[34:35]
	s_cbranch_execz .LBB4_12350
; %bb.12349:                            ;   in Loop: Header=BB4_12002 Depth=3
	v_ffbh_u32_e32 v2, v3
	v_min_u32_e32 v6, 32, v2
	v_subrev_u32_e32 v2, 29, v6
	v_lshlrev_b64 v[1:2], v2, v[0:1]
	v_bfe_u32 v5, v11, 2, 5
	v_and_b32_e32 v1, 3, v1
	v_cmp_eq_u32_e32 vcc, 0, v5
	v_sub_u32_e32 v2, 30, v6
	v_cndmask_b32_e32 v1, v3, v1, vcc
	v_lshlrev_b32_e32 v3, 24, v11
	v_cndmask_b32_e32 v2, v5, v2, vcc
	v_and_b32_e32 v3, 0x80000000, v3
	v_lshl_add_u32 v2, v2, 23, v3
	v_lshl_or_b32 v1, v1, 21, v2
	v_add_u32_e32 v2, 0x38000000, v1
                                        ; implicit-def: $vgpr3
.LBB4_12350:                            ;   in Loop: Header=BB4_12002 Depth=3
	s_andn2_saveexec_b64 s[34:35], s[34:35]
; %bb.12351:                            ;   in Loop: Header=BB4_12002 Depth=3
	v_mov_b32_e32 v1, -1
	v_cmp_gt_i16_sdwa vcc, sext(v11), v1 src0_sel:BYTE_0 src1_sel:DWORD
	v_mov_b32_e32 v1, 0xff800000
	v_mov_b32_e32 v2, 0x7f800000
	v_cndmask_b32_e32 v1, v1, v2, vcc
	v_cmp_eq_u32_e32 vcc, 0, v3
	v_mov_b32_e32 v2, 0x7f800001
	v_cndmask_b32_e32 v2, v2, v1, vcc
; %bb.12352:                            ;   in Loop: Header=BB4_12002 Depth=3
	s_or_b64 exec, exec, s[34:35]
.LBB4_12353:                            ;   in Loop: Header=BB4_12002 Depth=3
	s_or_b64 exec, exec, s[30:31]
.LBB4_12354:                            ;   in Loop: Header=BB4_12002 Depth=3
	s_or_b64 exec, exec, s[28:29]
	v_mul_f32_e32 v3, v12, v2
	v_and_b32_e32 v8, 0x7f800000, v3
	v_mov_b32_e32 v9, v17
	v_cmp_ne_u64_e32 vcc, s[76:77], v[8:9]
	v_and_b32_e32 v1, 0x7fffff, v3
	v_mov_b32_e32 v2, v17
                                        ; implicit-def: $vgpr32
	s_and_saveexec_b64 s[28:29], vcc
	s_xor_b64 s[30:31], exec, s[28:29]
	s_cbranch_execz .LBB4_12368
; %bb.12355:                            ;   in Loop: Header=BB4_12002 Depth=3
	v_and_b32_e32 v8, 0x7fffffff, v3
	v_mov_b32_e32 v9, v17
	v_cmp_gt_u64_e32 vcc, s[78:79], v[8:9]
	v_and_b32_sdwa v8, v3, s96 dst_sel:DWORD dst_unused:UNUSED_PAD src0_sel:BYTE_3 src1_sel:DWORD
                                        ; implicit-def: $vgpr32
	s_and_saveexec_b64 s[28:29], vcc
	s_xor_b64 s[34:35], exec, s[28:29]
	s_cbranch_execz .LBB4_12365
; %bb.12356:                            ;   in Loop: Header=BB4_12002 Depth=3
	v_mov_b32_e32 v32, 0
	v_cmp_ne_u32_e32 vcc, 0, v3
	s_and_saveexec_b64 s[36:37], vcc
	s_cbranch_execz .LBB4_12364
; %bb.12357:                            ;   in Loop: Header=BB4_12002 Depth=3
	v_bfe_u32 v9, v3, 23, 8
	v_cmp_gt_u32_e64 s[28:29], s46, v9
	v_sub_u32_e32 v3, 0x71, v9
	v_cmp_eq_u32_e32 vcc, 0, v9
	v_cndmask_b32_e64 v3, 0, v3, s[28:29]
	v_mov_b32_e32 v6, 0x70
	v_cndmask_b32_e32 v13, v3, v6, vcc
	v_add_u32_e32 v3, 21, v13
	v_or_b32_e32 v5, 0x800000, v1
	v_lshlrev_b64 v[14:15], v3, -1
	v_cndmask_b32_e32 v1, v5, v1, vcc
	v_add_u32_e32 v3, 20, v13
	v_bfi_b32 v14, v14, 0, v1
	v_lshlrev_b64 v[19:20], v3, 1
	v_lshrrev_b64 v[1:2], v13, v[1:2]
	v_bfi_b32 v15, v15, 0, 0
	v_cmp_eq_u64_e64 s[28:29], v[14:15], v[19:20]
	v_mov_b32_e32 v3, v2
	v_mov_b32_e32 v2, v1
	s_and_saveexec_b64 s[38:39], s[28:29]
; %bb.12358:                            ;   in Loop: Header=BB4_12002 Depth=3
	v_bfe_u32 v2, v1, 21, 1
	v_add_co_u32_e64 v2, s[28:29], v1, v2
	v_add_co_u32_e64 v2, s[28:29], -1, v2
; %bb.12359:                            ;   in Loop: Header=BB4_12002 Depth=3
	s_or_b64 exec, exec, s[38:39]
	v_add_u32_e32 v3, 0xffffff81, v9
	v_mov_b32_e32 v5, 0xffffff82
	v_cndmask_b32_e32 v3, v3, v5, vcc
	v_lshrrev_b32_e32 v5, 23, v1
	v_add3_u32 v13, v13, v3, v5
	v_add_u32_e32 v9, 14, v13
	v_and_b32_e32 v2, 0x1fffff, v2
	v_add_u32_e32 v1, v2, v1
	v_mov_b32_e32 v2, v17
	v_cmp_ne_u32_e32 vcc, 0, v9
                                        ; implicit-def: $vgpr3
	s_and_saveexec_b64 s[28:29], vcc
	s_xor_b64 s[28:29], exec, s[28:29]
; %bb.12360:                            ;   in Loop: Header=BB4_12002 Depth=3
	v_cmp_lt_u64_e32 vcc, s[88:89], v[1:2]
	v_add_u32_e32 v3, 15, v13
	v_cndmask_b32_e64 v5, 0, 1, vcc
	v_cndmask_b32_e32 v3, v9, v3, vcc
	v_lshrrev_b64 v[1:2], v5, v[1:2]
; %bb.12361:                            ;   in Loop: Header=BB4_12002 Depth=3
	s_andn2_saveexec_b64 s[28:29], s[28:29]
; %bb.12362:                            ;   in Loop: Header=BB4_12002 Depth=3
	v_bfe_u32 v3, v1, 23, 1
; %bb.12363:                            ;   in Loop: Header=BB4_12002 Depth=3
	s_or_b64 exec, exec, s[28:29]
	v_lshrrev_b64 v[1:2], 21, v[1:2]
	v_cmp_gt_i32_e32 vcc, 32, v3
	v_cndmask_b32_e32 v2, 0, v2, vcc
	v_cndmask_b32_e32 v1, 3, v1, vcc
	v_cmp_eq_u64_e64 s[28:29], 0, v[1:2]
	v_min_i32_e32 v2, 31, v3
	v_lshlrev_b32_e32 v2, 2, v2
	v_cmp_eq_u32_e32 vcc, 0, v3
	v_and_b32_e32 v2, 0xfc, v2
	v_and_or_b32 v1, v1, 3, v2
	s_and_b64 s[28:29], vcc, s[28:29]
	v_cndmask_b32_e64 v1, v1, 0, s[28:29]
	v_or_b32_e32 v32, v1, v8
.LBB4_12364:                            ;   in Loop: Header=BB4_12002 Depth=3
	s_or_b64 exec, exec, s[36:37]
                                        ; implicit-def: $vgpr8
.LBB4_12365:                            ;   in Loop: Header=BB4_12002 Depth=3
	s_andn2_saveexec_b64 s[28:29], s[34:35]
; %bb.12366:                            ;   in Loop: Header=BB4_12002 Depth=3
	v_or_b32_e32 v32, 0x7b, v8
; %bb.12367:                            ;   in Loop: Header=BB4_12002 Depth=3
	s_or_b64 exec, exec, s[28:29]
                                        ; implicit-def: $vgpr3
                                        ; implicit-def: $vgpr1_vgpr2
.LBB4_12368:                            ;   in Loop: Header=BB4_12002 Depth=3
	s_andn2_saveexec_b64 s[28:29], s[30:31]
	s_cbranch_execz .LBB4_12374
; %bb.12369:                            ;   in Loop: Header=BB4_12002 Depth=3
	v_cmp_ne_u64_e32 vcc, 0, v[1:2]
                                        ; implicit-def: $vgpr32
	s_and_saveexec_b64 s[30:31], vcc
	s_xor_b64 vcc, exec, s[30:31]
; %bb.12370:                            ;   in Loop: Header=BB4_12002 Depth=3
	v_or_b32_sdwa v32, v3, s47 dst_sel:DWORD dst_unused:UNUSED_PAD src0_sel:BYTE_3 src1_sel:DWORD
                                        ; implicit-def: $vgpr3
; %bb.12371:                            ;   in Loop: Header=BB4_12002 Depth=3
	s_andn2_saveexec_b64 s[30:31], vcc
; %bb.12372:                            ;   in Loop: Header=BB4_12002 Depth=3
	v_cmp_lt_i32_e32 vcc, -1, v3
	v_bfrev_b32_e32 v1, 0.5
	v_cndmask_b32_e32 v32, v1, v52, vcc
; %bb.12373:                            ;   in Loop: Header=BB4_12002 Depth=3
	s_or_b64 exec, exec, s[30:31]
.LBB4_12374:                            ;   in Loop: Header=BB4_12002 Depth=3
	s_or_b64 exec, exec, s[28:29]
	v_lshrrev_b16_e32 v1, 8, v0
	v_cmp_ne_u16_e32 vcc, 0, v1
	v_mov_b32_e32 v2, 0
	s_and_saveexec_b64 s[28:29], vcc
	s_cbranch_execz .LBB4_12382
; %bb.12375:                            ;   in Loop: Header=BB4_12002 Depth=3
	v_cmp_ne_u16_e32 vcc, s96, v1
	v_bfrev_b32_e32 v2, 1
	s_and_saveexec_b64 s[30:31], vcc
	s_cbranch_execz .LBB4_12381
; %bb.12376:                            ;   in Loop: Header=BB4_12002 Depth=3
	v_and_b32_e32 v2, 0x7c, v1
	v_and_b32_e32 v3, 3, v1
	v_cmp_ne_u32_e32 vcc, s85, v2
                                        ; implicit-def: $vgpr2
	s_and_saveexec_b64 s[34:35], vcc
	s_xor_b64 s[34:35], exec, s[34:35]
	s_cbranch_execz .LBB4_12378
; %bb.12377:                            ;   in Loop: Header=BB4_12002 Depth=3
	v_ffbh_u32_e32 v6, v3
	v_min_u32_e32 v6, 32, v6
	v_mov_b32_e32 v2, v17
	v_subrev_u32_e32 v8, 29, v6
	v_bfe_u32 v5, v1, 2, 5
	v_lshlrev_b64 v[1:2], v8, v[1:2]
	v_sub_u32_e32 v2, 30, v6
	v_cmp_eq_u32_e32 vcc, 0, v5
	v_lshlrev_b32_e32 v0, 16, v0
	v_and_b32_e32 v1, 3, v1
	v_cndmask_b32_e32 v2, v5, v2, vcc
	v_and_b32_e32 v0, 0x80000000, v0
	v_cndmask_b32_e32 v1, v3, v1, vcc
	v_lshl_add_u32 v0, v2, 23, v0
	v_lshl_or_b32 v0, v1, 21, v0
	v_add_u32_e32 v2, 0x38000000, v0
                                        ; implicit-def: $vgpr3
                                        ; implicit-def: $vgpr0_vgpr1
.LBB4_12378:                            ;   in Loop: Header=BB4_12002 Depth=3
	s_andn2_saveexec_b64 s[34:35], s[34:35]
; %bb.12379:                            ;   in Loop: Header=BB4_12002 Depth=3
	v_cmp_lt_i16_e32 vcc, -1, v0
	v_mov_b32_e32 v0, 0xff800000
	v_mov_b32_e32 v1, 0x7f800000
	v_cndmask_b32_e32 v0, v0, v1, vcc
	v_cmp_eq_u32_e32 vcc, 0, v3
	v_mov_b32_e32 v1, 0x7f800001
	v_cndmask_b32_e32 v2, v1, v0, vcc
; %bb.12380:                            ;   in Loop: Header=BB4_12002 Depth=3
	s_or_b64 exec, exec, s[34:35]
.LBB4_12381:                            ;   in Loop: Header=BB4_12002 Depth=3
	s_or_b64 exec, exec, s[30:31]
.LBB4_12382:                            ;   in Loop: Header=BB4_12002 Depth=3
	s_or_b64 exec, exec, s[28:29]
	v_mul_f32_e32 v2, v12, v2
	v_and_b32_e32 v8, 0x7f800000, v2
	v_mov_b32_e32 v9, v17
	v_cmp_ne_u64_e32 vcc, s[76:77], v[8:9]
	v_and_b32_e32 v0, 0x7fffff, v2
	v_mov_b32_e32 v1, v17
                                        ; implicit-def: $vgpr50
	s_and_saveexec_b64 s[28:29], vcc
	s_xor_b64 s[30:31], exec, s[28:29]
	s_cbranch_execz .LBB4_12396
; %bb.12383:                            ;   in Loop: Header=BB4_12002 Depth=3
	v_and_b32_e32 v8, 0x7fffffff, v2
	v_mov_b32_e32 v9, v17
	v_cmp_gt_u64_e32 vcc, s[78:79], v[8:9]
	v_and_b32_sdwa v3, v2, s96 dst_sel:DWORD dst_unused:UNUSED_PAD src0_sel:BYTE_3 src1_sel:DWORD
                                        ; implicit-def: $vgpr50
	s_and_saveexec_b64 s[28:29], vcc
	s_xor_b64 s[34:35], exec, s[28:29]
	s_cbranch_execz .LBB4_12393
; %bb.12384:                            ;   in Loop: Header=BB4_12002 Depth=3
	v_mov_b32_e32 v50, 0
	v_cmp_ne_u32_e32 vcc, 0, v2
	s_and_saveexec_b64 s[36:37], vcc
	s_cbranch_execz .LBB4_12392
; %bb.12385:                            ;   in Loop: Header=BB4_12002 Depth=3
	v_bfe_u32 v8, v2, 23, 8
	v_cmp_gt_u32_e64 s[28:29], s46, v8
	v_sub_u32_e32 v2, 0x71, v8
	v_cmp_eq_u32_e32 vcc, 0, v8
	v_cndmask_b32_e64 v2, 0, v2, s[28:29]
	v_mov_b32_e32 v6, 0x70
	v_cndmask_b32_e32 v9, v2, v6, vcc
	v_add_u32_e32 v2, 21, v9
	v_or_b32_e32 v5, 0x800000, v0
	v_lshlrev_b64 v[13:14], v2, -1
	v_cndmask_b32_e32 v0, v5, v0, vcc
	v_add_u32_e32 v2, 20, v9
	v_bfi_b32 v13, v13, 0, v0
	v_lshlrev_b64 v[15:16], v2, 1
	v_lshrrev_b64 v[0:1], v9, v[0:1]
	v_bfi_b32 v14, v14, 0, 0
	v_cmp_eq_u64_e64 s[28:29], v[13:14], v[15:16]
	v_mov_b32_e32 v2, v1
	v_mov_b32_e32 v1, v0
	s_and_saveexec_b64 s[38:39], s[28:29]
; %bb.12386:                            ;   in Loop: Header=BB4_12002 Depth=3
	v_bfe_u32 v1, v0, 21, 1
	v_add_co_u32_e64 v1, s[28:29], v0, v1
	v_add_co_u32_e64 v1, s[28:29], -1, v1
; %bb.12387:                            ;   in Loop: Header=BB4_12002 Depth=3
	s_or_b64 exec, exec, s[38:39]
	v_add_u32_e32 v2, 0xffffff81, v8
	v_mov_b32_e32 v5, 0xffffff82
	v_cndmask_b32_e32 v2, v2, v5, vcc
	v_lshrrev_b32_e32 v5, 23, v0
	v_add3_u32 v9, v9, v2, v5
	v_add_u32_e32 v8, 14, v9
	v_and_b32_e32 v1, 0x1fffff, v1
	v_add_u32_e32 v0, v1, v0
	v_mov_b32_e32 v1, v17
	v_cmp_ne_u32_e32 vcc, 0, v8
                                        ; implicit-def: $vgpr2
	s_and_saveexec_b64 s[28:29], vcc
	s_xor_b64 s[28:29], exec, s[28:29]
; %bb.12388:                            ;   in Loop: Header=BB4_12002 Depth=3
	v_cmp_lt_u64_e32 vcc, s[88:89], v[0:1]
	v_add_u32_e32 v2, 15, v9
	v_cndmask_b32_e64 v5, 0, 1, vcc
	v_cndmask_b32_e32 v2, v8, v2, vcc
	v_lshrrev_b64 v[0:1], v5, v[0:1]
; %bb.12389:                            ;   in Loop: Header=BB4_12002 Depth=3
	s_andn2_saveexec_b64 s[28:29], s[28:29]
; %bb.12390:                            ;   in Loop: Header=BB4_12002 Depth=3
	v_bfe_u32 v2, v0, 23, 1
; %bb.12391:                            ;   in Loop: Header=BB4_12002 Depth=3
	s_or_b64 exec, exec, s[28:29]
	v_lshrrev_b64 v[0:1], 21, v[0:1]
	v_cmp_gt_i32_e32 vcc, 32, v2
	v_cndmask_b32_e32 v1, 0, v1, vcc
	v_cndmask_b32_e32 v0, 3, v0, vcc
	v_cmp_eq_u64_e64 s[28:29], 0, v[0:1]
	v_min_i32_e32 v1, 31, v2
	v_lshlrev_b32_e32 v1, 2, v1
	v_cmp_eq_u32_e32 vcc, 0, v2
	v_and_b32_e32 v1, 0xfc, v1
	v_and_or_b32 v0, v0, 3, v1
	s_and_b64 s[28:29], vcc, s[28:29]
	v_cndmask_b32_e64 v0, v0, 0, s[28:29]
	v_or_b32_e32 v50, v0, v3
.LBB4_12392:                            ;   in Loop: Header=BB4_12002 Depth=3
	s_or_b64 exec, exec, s[36:37]
                                        ; implicit-def: $vgpr3
.LBB4_12393:                            ;   in Loop: Header=BB4_12002 Depth=3
	s_andn2_saveexec_b64 s[28:29], s[34:35]
; %bb.12394:                            ;   in Loop: Header=BB4_12002 Depth=3
	v_or_b32_e32 v50, 0x7b, v3
; %bb.12395:                            ;   in Loop: Header=BB4_12002 Depth=3
	s_or_b64 exec, exec, s[28:29]
                                        ; implicit-def: $vgpr2
                                        ; implicit-def: $vgpr0_vgpr1
.LBB4_12396:                            ;   in Loop: Header=BB4_12002 Depth=3
	s_andn2_saveexec_b64 s[28:29], s[30:31]
	s_cbranch_execz .LBB4_12402
; %bb.12397:                            ;   in Loop: Header=BB4_12002 Depth=3
	v_cmp_ne_u64_e32 vcc, 0, v[0:1]
                                        ; implicit-def: $vgpr50
	s_and_saveexec_b64 s[30:31], vcc
	s_xor_b64 vcc, exec, s[30:31]
; %bb.12398:                            ;   in Loop: Header=BB4_12002 Depth=3
	v_or_b32_sdwa v50, v2, s47 dst_sel:DWORD dst_unused:UNUSED_PAD src0_sel:BYTE_3 src1_sel:DWORD
                                        ; implicit-def: $vgpr2
; %bb.12399:                            ;   in Loop: Header=BB4_12002 Depth=3
	s_andn2_saveexec_b64 s[30:31], vcc
; %bb.12400:                            ;   in Loop: Header=BB4_12002 Depth=3
	v_cmp_lt_i32_e32 vcc, -1, v2
	v_bfrev_b32_e32 v0, 0.5
	v_cndmask_b32_e32 v50, v0, v52, vcc
; %bb.12401:                            ;   in Loop: Header=BB4_12002 Depth=3
	s_or_b64 exec, exec, s[30:31]
.LBB4_12402:                            ;   in Loop: Header=BB4_12002 Depth=3
	s_or_b64 exec, exec, s[28:29]
	v_lshrrev_b32_e32 v0, 16, v11
	v_cmp_ne_u16_sdwa vcc, v0, v17 src0_sel:BYTE_0 src1_sel:DWORD
	v_mov_b32_e32 v1, 0
	s_and_saveexec_b64 s[28:29], vcc
	s_cbranch_execz .LBB4_12410
; %bb.12403:                            ;   in Loop: Header=BB4_12002 Depth=3
	v_cmp_ne_u16_sdwa vcc, v0, s96 src0_sel:BYTE_0 src1_sel:DWORD
	v_bfrev_b32_e32 v1, 1
	s_and_saveexec_b64 s[30:31], vcc
	s_cbranch_execz .LBB4_12409
; %bb.12404:                            ;   in Loop: Header=BB4_12002 Depth=3
	v_and_b32_e32 v1, 0x7c0000, v11
	v_bfe_u32 v2, v11, 16, 2
	v_cmp_ne_u32_e32 vcc, s44, v1
                                        ; implicit-def: $vgpr1
	s_and_saveexec_b64 s[34:35], vcc
	s_xor_b64 s[34:35], exec, s[34:35]
	s_cbranch_execz .LBB4_12406
; %bb.12405:                            ;   in Loop: Header=BB4_12002 Depth=3
	v_ffbh_u32_e32 v1, v2
	v_min_u32_e32 v5, 32, v1
	v_subrev_u32_e32 v1, 29, v5
	v_lshlrev_b64 v[0:1], v1, v[0:1]
	v_bfe_u32 v3, v11, 18, 5
	v_and_b32_e32 v0, 3, v0
	v_cmp_eq_u32_e32 vcc, 0, v3
	v_sub_u32_e32 v1, 30, v5
	v_cndmask_b32_e32 v0, v2, v0, vcc
	v_lshlrev_b32_e32 v2, 8, v11
	v_cndmask_b32_e32 v1, v3, v1, vcc
	v_and_b32_e32 v2, 0x80000000, v2
	v_lshl_add_u32 v1, v1, 23, v2
	v_lshl_or_b32 v0, v0, 21, v1
	v_add_u32_e32 v1, 0x38000000, v0
                                        ; implicit-def: $vgpr2
                                        ; implicit-def: $vgpr0
.LBB4_12406:                            ;   in Loop: Header=BB4_12002 Depth=3
	s_andn2_saveexec_b64 s[34:35], s[34:35]
; %bb.12407:                            ;   in Loop: Header=BB4_12002 Depth=3
	v_mov_b32_e32 v1, -1
	v_cmp_gt_i16_sdwa vcc, sext(v0), v1 src0_sel:BYTE_0 src1_sel:DWORD
	v_mov_b32_e32 v0, 0xff800000
	v_mov_b32_e32 v1, 0x7f800000
	v_cndmask_b32_e32 v0, v0, v1, vcc
	v_cmp_eq_u32_e32 vcc, 0, v2
	v_mov_b32_e32 v1, 0x7f800001
	v_cndmask_b32_e32 v1, v1, v0, vcc
; %bb.12408:                            ;   in Loop: Header=BB4_12002 Depth=3
	s_or_b64 exec, exec, s[34:35]
.LBB4_12409:                            ;   in Loop: Header=BB4_12002 Depth=3
	s_or_b64 exec, exec, s[30:31]
.LBB4_12410:                            ;   in Loop: Header=BB4_12002 Depth=3
	s_or_b64 exec, exec, s[28:29]
	v_mul_f32_e32 v2, v12, v1
	v_and_b32_e32 v8, 0x7f800000, v2
	v_mov_b32_e32 v9, v17
	v_cmp_ne_u64_e32 vcc, s[76:77], v[8:9]
	v_and_b32_e32 v0, 0x7fffff, v2
	v_mov_b32_e32 v1, v17
                                        ; implicit-def: $vgpr54
	s_and_saveexec_b64 s[28:29], vcc
	s_xor_b64 s[30:31], exec, s[28:29]
	s_cbranch_execz .LBB4_12424
; %bb.12411:                            ;   in Loop: Header=BB4_12002 Depth=3
	v_and_b32_e32 v8, 0x7fffffff, v2
	v_mov_b32_e32 v9, v17
	v_cmp_gt_u64_e32 vcc, s[78:79], v[8:9]
	v_and_b32_sdwa v3, v2, s96 dst_sel:DWORD dst_unused:UNUSED_PAD src0_sel:BYTE_3 src1_sel:DWORD
                                        ; implicit-def: $vgpr54
	s_and_saveexec_b64 s[28:29], vcc
	s_xor_b64 s[34:35], exec, s[28:29]
	s_cbranch_execz .LBB4_12421
; %bb.12412:                            ;   in Loop: Header=BB4_12002 Depth=3
	v_mov_b32_e32 v54, 0
	v_cmp_ne_u32_e32 vcc, 0, v2
	s_and_saveexec_b64 s[36:37], vcc
	s_cbranch_execz .LBB4_12420
; %bb.12413:                            ;   in Loop: Header=BB4_12002 Depth=3
	v_bfe_u32 v8, v2, 23, 8
	v_cmp_gt_u32_e64 s[28:29], s46, v8
	v_sub_u32_e32 v2, 0x71, v8
	v_cmp_eq_u32_e32 vcc, 0, v8
	v_cndmask_b32_e64 v2, 0, v2, s[28:29]
	v_mov_b32_e32 v6, 0x70
	v_cndmask_b32_e32 v9, v2, v6, vcc
	v_add_u32_e32 v2, 21, v9
	v_or_b32_e32 v5, 0x800000, v0
	v_lshlrev_b64 v[13:14], v2, -1
	v_cndmask_b32_e32 v0, v5, v0, vcc
	v_add_u32_e32 v2, 20, v9
	v_bfi_b32 v13, v13, 0, v0
	v_lshlrev_b64 v[15:16], v2, 1
	v_lshrrev_b64 v[0:1], v9, v[0:1]
	v_bfi_b32 v14, v14, 0, 0
	v_cmp_eq_u64_e64 s[28:29], v[13:14], v[15:16]
	v_mov_b32_e32 v2, v1
	v_mov_b32_e32 v1, v0
	s_and_saveexec_b64 s[38:39], s[28:29]
; %bb.12414:                            ;   in Loop: Header=BB4_12002 Depth=3
	v_bfe_u32 v1, v0, 21, 1
	v_add_co_u32_e64 v1, s[28:29], v0, v1
	v_add_co_u32_e64 v1, s[28:29], -1, v1
; %bb.12415:                            ;   in Loop: Header=BB4_12002 Depth=3
	s_or_b64 exec, exec, s[38:39]
	v_add_u32_e32 v2, 0xffffff81, v8
	v_mov_b32_e32 v5, 0xffffff82
	v_cndmask_b32_e32 v2, v2, v5, vcc
	v_lshrrev_b32_e32 v5, 23, v0
	v_add3_u32 v9, v9, v2, v5
	v_add_u32_e32 v8, 14, v9
	v_and_b32_e32 v1, 0x1fffff, v1
	v_add_u32_e32 v0, v1, v0
	v_mov_b32_e32 v1, v17
	v_cmp_ne_u32_e32 vcc, 0, v8
                                        ; implicit-def: $vgpr2
	s_and_saveexec_b64 s[28:29], vcc
	s_xor_b64 s[28:29], exec, s[28:29]
; %bb.12416:                            ;   in Loop: Header=BB4_12002 Depth=3
	v_cmp_lt_u64_e32 vcc, s[88:89], v[0:1]
	v_add_u32_e32 v2, 15, v9
	v_cndmask_b32_e64 v5, 0, 1, vcc
	v_cndmask_b32_e32 v2, v8, v2, vcc
	v_lshrrev_b64 v[0:1], v5, v[0:1]
; %bb.12417:                            ;   in Loop: Header=BB4_12002 Depth=3
	s_andn2_saveexec_b64 s[28:29], s[28:29]
; %bb.12418:                            ;   in Loop: Header=BB4_12002 Depth=3
	v_bfe_u32 v2, v0, 23, 1
; %bb.12419:                            ;   in Loop: Header=BB4_12002 Depth=3
	s_or_b64 exec, exec, s[28:29]
	v_lshrrev_b64 v[0:1], 21, v[0:1]
	v_cmp_gt_i32_e32 vcc, 32, v2
	v_cndmask_b32_e32 v1, 0, v1, vcc
	v_cndmask_b32_e32 v0, 3, v0, vcc
	v_cmp_eq_u64_e64 s[28:29], 0, v[0:1]
	v_min_i32_e32 v1, 31, v2
	v_lshlrev_b32_e32 v1, 2, v1
	v_cmp_eq_u32_e32 vcc, 0, v2
	v_and_b32_e32 v1, 0xfc, v1
	v_and_or_b32 v0, v0, 3, v1
	s_and_b64 s[28:29], vcc, s[28:29]
	v_cndmask_b32_e64 v0, v0, 0, s[28:29]
	v_or_b32_e32 v54, v0, v3
.LBB4_12420:                            ;   in Loop: Header=BB4_12002 Depth=3
	s_or_b64 exec, exec, s[36:37]
                                        ; implicit-def: $vgpr3
.LBB4_12421:                            ;   in Loop: Header=BB4_12002 Depth=3
	s_andn2_saveexec_b64 s[28:29], s[34:35]
; %bb.12422:                            ;   in Loop: Header=BB4_12002 Depth=3
	v_or_b32_e32 v54, 0x7b, v3
; %bb.12423:                            ;   in Loop: Header=BB4_12002 Depth=3
	s_or_b64 exec, exec, s[28:29]
                                        ; implicit-def: $vgpr2
                                        ; implicit-def: $vgpr0_vgpr1
.LBB4_12424:                            ;   in Loop: Header=BB4_12002 Depth=3
	s_andn2_saveexec_b64 s[28:29], s[30:31]
	s_cbranch_execz .LBB4_12430
; %bb.12425:                            ;   in Loop: Header=BB4_12002 Depth=3
	v_cmp_ne_u64_e32 vcc, 0, v[0:1]
                                        ; implicit-def: $vgpr54
	s_and_saveexec_b64 s[30:31], vcc
	s_xor_b64 vcc, exec, s[30:31]
; %bb.12426:                            ;   in Loop: Header=BB4_12002 Depth=3
	v_or_b32_sdwa v54, v2, s47 dst_sel:DWORD dst_unused:UNUSED_PAD src0_sel:BYTE_3 src1_sel:DWORD
                                        ; implicit-def: $vgpr2
; %bb.12427:                            ;   in Loop: Header=BB4_12002 Depth=3
	s_andn2_saveexec_b64 s[30:31], vcc
; %bb.12428:                            ;   in Loop: Header=BB4_12002 Depth=3
	v_cmp_lt_i32_e32 vcc, -1, v2
	v_bfrev_b32_e32 v0, 0.5
	v_cndmask_b32_e32 v54, v0, v52, vcc
; %bb.12429:                            ;   in Loop: Header=BB4_12002 Depth=3
	s_or_b64 exec, exec, s[30:31]
.LBB4_12430:                            ;   in Loop: Header=BB4_12002 Depth=3
	s_or_b64 exec, exec, s[28:29]
	v_cmp_lt_u64_e32 vcc, s[56:57], v[10:11]
	v_mov_b32_e32 v1, 0
	s_and_saveexec_b64 s[28:29], vcc
	s_cbranch_execz .LBB4_12438
; %bb.12431:                            ;   in Loop: Header=BB4_12002 Depth=3
	v_lshrrev_b32_e32 v0, 24, v11
	v_cmp_ne_u32_e32 vcc, s96, v0
	v_bfrev_b32_e32 v1, 1
	s_and_saveexec_b64 s[30:31], vcc
	s_cbranch_execz .LBB4_12437
; %bb.12432:                            ;   in Loop: Header=BB4_12002 Depth=3
	v_and_b32_e32 v1, 0x7c000000, v11
	v_bfe_u32 v2, v11, 24, 2
	v_cmp_ne_u32_e32 vcc, s45, v1
                                        ; implicit-def: $vgpr1
	s_and_saveexec_b64 s[34:35], vcc
	s_xor_b64 s[34:35], exec, s[34:35]
	s_cbranch_execz .LBB4_12434
; %bb.12433:                            ;   in Loop: Header=BB4_12002 Depth=3
	v_ffbh_u32_e32 v1, v2
	v_min_u32_e32 v5, 32, v1
	v_subrev_u32_e32 v1, 29, v5
	v_lshlrev_b64 v[0:1], v1, v[0:1]
	v_bfe_u32 v3, v11, 26, 5
	v_sub_u32_e32 v1, 30, v5
	v_and_b32_e32 v0, 3, v0
	v_cmp_eq_u32_e32 vcc, 0, v3
	v_cndmask_b32_e32 v1, v3, v1, vcc
	v_cndmask_b32_e32 v0, v2, v0, vcc
	v_and_b32_e32 v2, 0x80000000, v11
	v_lshl_add_u32 v1, v1, 23, v2
	v_lshl_or_b32 v0, v0, 21, v1
	v_add_u32_e32 v1, 0x38000000, v0
                                        ; implicit-def: $vgpr2
                                        ; implicit-def: $vgpr10_vgpr11
.LBB4_12434:                            ;   in Loop: Header=BB4_12002 Depth=3
	s_andn2_saveexec_b64 s[34:35], s[34:35]
; %bb.12435:                            ;   in Loop: Header=BB4_12002 Depth=3
	v_cmp_lt_i64_e32 vcc, -1, v[10:11]
	v_mov_b32_e32 v0, 0xff800000
	v_mov_b32_e32 v1, 0x7f800000
	v_cndmask_b32_e32 v0, v0, v1, vcc
	v_cmp_eq_u32_e32 vcc, 0, v2
	v_mov_b32_e32 v1, 0x7f800001
	v_cndmask_b32_e32 v1, v1, v0, vcc
; %bb.12436:                            ;   in Loop: Header=BB4_12002 Depth=3
	s_or_b64 exec, exec, s[34:35]
.LBB4_12437:                            ;   in Loop: Header=BB4_12002 Depth=3
	s_or_b64 exec, exec, s[30:31]
.LBB4_12438:                            ;   in Loop: Header=BB4_12002 Depth=3
	s_or_b64 exec, exec, s[28:29]
	v_mul_f32_e32 v2, v12, v1
	v_and_b32_e32 v8, 0x7f800000, v2
	v_mov_b32_e32 v9, v17
	v_cmp_ne_u64_e32 vcc, s[76:77], v[8:9]
	v_and_b32_e32 v0, 0x7fffff, v2
	v_mov_b32_e32 v1, v17
                                        ; implicit-def: $vgpr41
	s_and_saveexec_b64 s[28:29], vcc
	s_xor_b64 s[30:31], exec, s[28:29]
	s_cbranch_execz .LBB4_12452
; %bb.12439:                            ;   in Loop: Header=BB4_12002 Depth=3
	v_and_b32_e32 v8, 0x7fffffff, v2
	v_mov_b32_e32 v9, v17
	v_cmp_gt_u64_e32 vcc, s[78:79], v[8:9]
	v_and_b32_sdwa v3, v2, s96 dst_sel:DWORD dst_unused:UNUSED_PAD src0_sel:BYTE_3 src1_sel:DWORD
                                        ; implicit-def: $vgpr41
	s_and_saveexec_b64 s[28:29], vcc
	s_xor_b64 s[34:35], exec, s[28:29]
	s_cbranch_execz .LBB4_12449
; %bb.12440:                            ;   in Loop: Header=BB4_12002 Depth=3
	v_mov_b32_e32 v41, 0
	v_cmp_ne_u32_e32 vcc, 0, v2
	s_and_saveexec_b64 s[36:37], vcc
	s_cbranch_execz .LBB4_12448
; %bb.12441:                            ;   in Loop: Header=BB4_12002 Depth=3
	v_bfe_u32 v8, v2, 23, 8
	v_cmp_gt_u32_e64 s[28:29], s46, v8
	v_sub_u32_e32 v2, 0x71, v8
	v_cmp_eq_u32_e32 vcc, 0, v8
	v_cndmask_b32_e64 v2, 0, v2, s[28:29]
	v_mov_b32_e32 v6, 0x70
	v_cndmask_b32_e32 v9, v2, v6, vcc
	v_add_u32_e32 v2, 21, v9
	v_or_b32_e32 v5, 0x800000, v0
	v_lshlrev_b64 v[10:11], v2, -1
	v_cndmask_b32_e32 v0, v5, v0, vcc
	v_add_u32_e32 v2, 20, v9
	v_bfi_b32 v10, v10, 0, v0
	v_lshlrev_b64 v[13:14], v2, 1
	v_lshrrev_b64 v[0:1], v9, v[0:1]
	v_bfi_b32 v11, v11, 0, 0
	v_cmp_eq_u64_e64 s[28:29], v[10:11], v[13:14]
	v_mov_b32_e32 v2, v1
	v_mov_b32_e32 v1, v0
	s_and_saveexec_b64 s[38:39], s[28:29]
; %bb.12442:                            ;   in Loop: Header=BB4_12002 Depth=3
	v_bfe_u32 v1, v0, 21, 1
	v_add_co_u32_e64 v1, s[28:29], v0, v1
	v_add_co_u32_e64 v1, s[28:29], -1, v1
; %bb.12443:                            ;   in Loop: Header=BB4_12002 Depth=3
	s_or_b64 exec, exec, s[38:39]
	v_add_u32_e32 v2, 0xffffff81, v8
	v_mov_b32_e32 v5, 0xffffff82
	v_cndmask_b32_e32 v2, v2, v5, vcc
	v_lshrrev_b32_e32 v5, 23, v0
	v_add3_u32 v9, v9, v2, v5
	v_add_u32_e32 v8, 14, v9
	v_and_b32_e32 v1, 0x1fffff, v1
	v_add_u32_e32 v0, v1, v0
	v_mov_b32_e32 v1, v17
	v_cmp_ne_u32_e32 vcc, 0, v8
                                        ; implicit-def: $vgpr2
	s_and_saveexec_b64 s[28:29], vcc
	s_xor_b64 s[28:29], exec, s[28:29]
; %bb.12444:                            ;   in Loop: Header=BB4_12002 Depth=3
	v_cmp_lt_u64_e32 vcc, s[88:89], v[0:1]
	v_add_u32_e32 v2, 15, v9
	v_cndmask_b32_e64 v5, 0, 1, vcc
	v_cndmask_b32_e32 v2, v8, v2, vcc
	v_lshrrev_b64 v[0:1], v5, v[0:1]
; %bb.12445:                            ;   in Loop: Header=BB4_12002 Depth=3
	s_andn2_saveexec_b64 s[28:29], s[28:29]
; %bb.12446:                            ;   in Loop: Header=BB4_12002 Depth=3
	v_bfe_u32 v2, v0, 23, 1
; %bb.12447:                            ;   in Loop: Header=BB4_12002 Depth=3
	s_or_b64 exec, exec, s[28:29]
	v_lshrrev_b64 v[0:1], 21, v[0:1]
	v_cmp_gt_i32_e32 vcc, 32, v2
	v_cndmask_b32_e32 v1, 0, v1, vcc
	v_cndmask_b32_e32 v0, 3, v0, vcc
	v_cmp_eq_u64_e64 s[28:29], 0, v[0:1]
	v_min_i32_e32 v1, 31, v2
	v_lshlrev_b32_e32 v1, 2, v1
	v_cmp_eq_u32_e32 vcc, 0, v2
	v_and_b32_e32 v1, 0xfc, v1
	v_and_or_b32 v0, v0, 3, v1
	s_and_b64 s[28:29], vcc, s[28:29]
	v_cndmask_b32_e64 v0, v0, 0, s[28:29]
	v_or_b32_e32 v41, v0, v3
.LBB4_12448:                            ;   in Loop: Header=BB4_12002 Depth=3
	s_or_b64 exec, exec, s[36:37]
                                        ; implicit-def: $vgpr3
.LBB4_12449:                            ;   in Loop: Header=BB4_12002 Depth=3
	s_andn2_saveexec_b64 s[28:29], s[34:35]
; %bb.12450:                            ;   in Loop: Header=BB4_12002 Depth=3
	v_or_b32_e32 v41, 0x7b, v3
; %bb.12451:                            ;   in Loop: Header=BB4_12002 Depth=3
	s_or_b64 exec, exec, s[28:29]
                                        ; implicit-def: $vgpr2
                                        ; implicit-def: $vgpr0_vgpr1
.LBB4_12452:                            ;   in Loop: Header=BB4_12002 Depth=3
	s_andn2_saveexec_b64 s[28:29], s[30:31]
	s_cbranch_execz .LBB4_12458
; %bb.12453:                            ;   in Loop: Header=BB4_12002 Depth=3
	v_cmp_ne_u64_e32 vcc, 0, v[0:1]
                                        ; implicit-def: $vgpr41
	s_and_saveexec_b64 s[30:31], vcc
	s_xor_b64 vcc, exec, s[30:31]
; %bb.12454:                            ;   in Loop: Header=BB4_12002 Depth=3
	v_or_b32_sdwa v41, v2, s47 dst_sel:DWORD dst_unused:UNUSED_PAD src0_sel:BYTE_3 src1_sel:DWORD
                                        ; implicit-def: $vgpr2
; %bb.12455:                            ;   in Loop: Header=BB4_12002 Depth=3
	s_andn2_saveexec_b64 s[30:31], vcc
; %bb.12456:                            ;   in Loop: Header=BB4_12002 Depth=3
	v_cmp_lt_i32_e32 vcc, -1, v2
	v_bfrev_b32_e32 v0, 0.5
	v_cndmask_b32_e32 v41, v0, v52, vcc
; %bb.12457:                            ;   in Loop: Header=BB4_12002 Depth=3
	s_or_b64 exec, exec, s[30:31]
.LBB4_12458:                            ;   in Loop: Header=BB4_12002 Depth=3
	s_or_b64 exec, exec, s[28:29]
	global_load_dwordx4 v[8:11], v[42:43], off offset:1024 glc slc
	v_mov_b32_e32 v0, 0
	s_waitcnt vmcnt(0)
	v_cmp_ne_u16_sdwa vcc, v8, v17 src0_sel:BYTE_0 src1_sel:DWORD
	s_and_saveexec_b64 s[28:29], vcc
	s_cbranch_execz .LBB4_12466
; %bb.12459:                            ;   in Loop: Header=BB4_12002 Depth=3
	v_cmp_ne_u16_sdwa vcc, sext(v8), s97 src0_sel:BYTE_0 src1_sel:DWORD
	v_bfrev_b32_e32 v0, 1
	s_and_saveexec_b64 s[30:31], vcc
	s_cbranch_execz .LBB4_12465
; %bb.12460:                            ;   in Loop: Header=BB4_12002 Depth=3
	v_and_b32_e32 v0, 0x7c, v8
	v_and_b32_e32 v1, 3, v8
	v_cmp_ne_u32_e32 vcc, s85, v0
                                        ; implicit-def: $vgpr0
	s_and_saveexec_b64 s[34:35], vcc
	s_xor_b64 s[34:35], exec, s[34:35]
	s_cbranch_execz .LBB4_12462
; %bb.12461:                            ;   in Loop: Header=BB4_12002 Depth=3
	v_ffbh_u32_e32 v2, v1
	v_min_u32_e32 v5, 32, v2
	v_subrev_u32_e32 v2, 29, v5
	v_lshlrev_b64 v[2:3], v2, v[8:9]
	v_bfe_u32 v0, v8, 2, 5
	v_and_b32_e32 v2, 3, v2
	v_cmp_eq_u32_e32 vcc, 0, v0
	v_sub_u32_e32 v3, 30, v5
	v_cndmask_b32_e32 v1, v1, v2, vcc
	v_lshlrev_b32_e32 v2, 24, v8
	v_cndmask_b32_e32 v0, v0, v3, vcc
	v_and_b32_e32 v2, 0x80000000, v2
	v_lshl_add_u32 v0, v0, 23, v2
	v_lshl_or_b32 v0, v1, 21, v0
	v_add_u32_e32 v0, 0x38000000, v0
                                        ; implicit-def: $vgpr1
.LBB4_12462:                            ;   in Loop: Header=BB4_12002 Depth=3
	s_andn2_saveexec_b64 s[34:35], s[34:35]
; %bb.12463:                            ;   in Loop: Header=BB4_12002 Depth=3
	v_mov_b32_e32 v0, -1
	v_cmp_gt_i16_sdwa vcc, sext(v8), v0 src0_sel:BYTE_0 src1_sel:DWORD
	v_mov_b32_e32 v0, 0xff800000
	v_mov_b32_e32 v2, 0x7f800000
	v_cndmask_b32_e32 v0, v0, v2, vcc
	v_cmp_eq_u32_e32 vcc, 0, v1
	v_mov_b32_e32 v1, 0x7f800001
	v_cndmask_b32_e32 v0, v1, v0, vcc
; %bb.12464:                            ;   in Loop: Header=BB4_12002 Depth=3
	s_or_b64 exec, exec, s[34:35]
.LBB4_12465:                            ;   in Loop: Header=BB4_12002 Depth=3
	s_or_b64 exec, exec, s[30:31]
.LBB4_12466:                            ;   in Loop: Header=BB4_12002 Depth=3
	s_or_b64 exec, exec, s[28:29]
	v_mul_f32_e32 v2, v12, v0
	v_and_b32_e32 v13, 0x7f800000, v2
	v_mov_b32_e32 v14, v17
	v_cmp_ne_u64_e32 vcc, s[76:77], v[13:14]
	v_and_b32_e32 v0, 0x7fffff, v2
	v_mov_b32_e32 v1, v17
                                        ; implicit-def: $vgpr25
	s_and_saveexec_b64 s[28:29], vcc
	s_xor_b64 s[30:31], exec, s[28:29]
	s_cbranch_execz .LBB4_12480
; %bb.12467:                            ;   in Loop: Header=BB4_12002 Depth=3
	v_and_b32_e32 v13, 0x7fffffff, v2
	v_mov_b32_e32 v14, v17
	v_cmp_gt_u64_e32 vcc, s[78:79], v[13:14]
	v_and_b32_sdwa v3, v2, s96 dst_sel:DWORD dst_unused:UNUSED_PAD src0_sel:BYTE_3 src1_sel:DWORD
                                        ; implicit-def: $vgpr25
	s_and_saveexec_b64 s[28:29], vcc
	s_xor_b64 s[34:35], exec, s[28:29]
	s_cbranch_execz .LBB4_12477
; %bb.12468:                            ;   in Loop: Header=BB4_12002 Depth=3
	v_mov_b32_e32 v25, 0
	v_cmp_ne_u32_e32 vcc, 0, v2
	s_and_saveexec_b64 s[36:37], vcc
	s_cbranch_execz .LBB4_12476
; %bb.12469:                            ;   in Loop: Header=BB4_12002 Depth=3
	v_bfe_u32 v13, v2, 23, 8
	v_cmp_gt_u32_e64 s[28:29], s46, v13
	v_sub_u32_e32 v2, 0x71, v13
	v_cmp_eq_u32_e32 vcc, 0, v13
	v_cndmask_b32_e64 v2, 0, v2, s[28:29]
	v_mov_b32_e32 v6, 0x70
	v_cndmask_b32_e32 v14, v2, v6, vcc
	v_add_u32_e32 v2, 21, v14
	v_or_b32_e32 v5, 0x800000, v0
	v_lshlrev_b64 v[15:16], v2, -1
	v_cndmask_b32_e32 v0, v5, v0, vcc
	v_add_u32_e32 v2, 20, v14
	v_bfi_b32 v15, v15, 0, v0
	v_lshlrev_b64 v[19:20], v2, 1
	v_lshrrev_b64 v[0:1], v14, v[0:1]
	v_bfi_b32 v16, v16, 0, 0
	v_cmp_eq_u64_e64 s[28:29], v[15:16], v[19:20]
	v_mov_b32_e32 v2, v1
	v_mov_b32_e32 v1, v0
	s_and_saveexec_b64 s[38:39], s[28:29]
; %bb.12470:                            ;   in Loop: Header=BB4_12002 Depth=3
	v_bfe_u32 v1, v0, 21, 1
	v_add_co_u32_e64 v1, s[28:29], v0, v1
	v_add_co_u32_e64 v1, s[28:29], -1, v1
; %bb.12471:                            ;   in Loop: Header=BB4_12002 Depth=3
	s_or_b64 exec, exec, s[38:39]
	v_add_u32_e32 v2, 0xffffff81, v13
	v_mov_b32_e32 v5, 0xffffff82
	v_cndmask_b32_e32 v2, v2, v5, vcc
	v_lshrrev_b32_e32 v5, 23, v0
	v_add3_u32 v14, v14, v2, v5
	v_add_u32_e32 v13, 14, v14
	v_and_b32_e32 v1, 0x1fffff, v1
	v_add_u32_e32 v0, v1, v0
	v_mov_b32_e32 v1, v17
	v_cmp_ne_u32_e32 vcc, 0, v13
                                        ; implicit-def: $vgpr2
	s_and_saveexec_b64 s[28:29], vcc
	s_xor_b64 s[28:29], exec, s[28:29]
; %bb.12472:                            ;   in Loop: Header=BB4_12002 Depth=3
	v_cmp_lt_u64_e32 vcc, s[88:89], v[0:1]
	v_add_u32_e32 v2, 15, v14
	v_cndmask_b32_e64 v5, 0, 1, vcc
	v_lshrrev_b64 v[0:1], v5, v[0:1]
	v_cndmask_b32_e32 v2, v13, v2, vcc
; %bb.12473:                            ;   in Loop: Header=BB4_12002 Depth=3
	s_andn2_saveexec_b64 s[28:29], s[28:29]
; %bb.12474:                            ;   in Loop: Header=BB4_12002 Depth=3
	v_bfe_u32 v2, v0, 23, 1
; %bb.12475:                            ;   in Loop: Header=BB4_12002 Depth=3
	s_or_b64 exec, exec, s[28:29]
	v_lshrrev_b64 v[0:1], 21, v[0:1]
	v_cmp_gt_i32_e32 vcc, 32, v2
	v_cndmask_b32_e32 v1, 0, v1, vcc
	v_cndmask_b32_e32 v0, 3, v0, vcc
	v_cmp_eq_u64_e64 s[28:29], 0, v[0:1]
	v_min_i32_e32 v1, 31, v2
	v_lshlrev_b32_e32 v1, 2, v1
	v_cmp_eq_u32_e32 vcc, 0, v2
	v_and_b32_e32 v1, 0xfc, v1
	v_and_or_b32 v0, v0, 3, v1
	s_and_b64 s[28:29], vcc, s[28:29]
	v_cndmask_b32_e64 v0, v0, 0, s[28:29]
	v_or_b32_e32 v25, v0, v3
.LBB4_12476:                            ;   in Loop: Header=BB4_12002 Depth=3
	s_or_b64 exec, exec, s[36:37]
                                        ; implicit-def: $vgpr3
.LBB4_12477:                            ;   in Loop: Header=BB4_12002 Depth=3
	s_andn2_saveexec_b64 s[28:29], s[34:35]
; %bb.12478:                            ;   in Loop: Header=BB4_12002 Depth=3
	v_or_b32_e32 v25, 0x7b, v3
; %bb.12479:                            ;   in Loop: Header=BB4_12002 Depth=3
	s_or_b64 exec, exec, s[28:29]
                                        ; implicit-def: $vgpr2
                                        ; implicit-def: $vgpr0_vgpr1
.LBB4_12480:                            ;   in Loop: Header=BB4_12002 Depth=3
	s_andn2_saveexec_b64 s[28:29], s[30:31]
	s_cbranch_execz .LBB4_12486
; %bb.12481:                            ;   in Loop: Header=BB4_12002 Depth=3
	v_cmp_ne_u64_e32 vcc, 0, v[0:1]
                                        ; implicit-def: $vgpr25
	s_and_saveexec_b64 s[30:31], vcc
	s_xor_b64 vcc, exec, s[30:31]
; %bb.12482:                            ;   in Loop: Header=BB4_12002 Depth=3
	v_or_b32_sdwa v25, v2, s47 dst_sel:DWORD dst_unused:UNUSED_PAD src0_sel:BYTE_3 src1_sel:DWORD
                                        ; implicit-def: $vgpr2
; %bb.12483:                            ;   in Loop: Header=BB4_12002 Depth=3
	s_andn2_saveexec_b64 s[30:31], vcc
; %bb.12484:                            ;   in Loop: Header=BB4_12002 Depth=3
	v_cmp_lt_i32_e32 vcc, -1, v2
	v_bfrev_b32_e32 v0, 0.5
	v_cndmask_b32_e32 v25, v0, v52, vcc
; %bb.12485:                            ;   in Loop: Header=BB4_12002 Depth=3
	s_or_b64 exec, exec, s[30:31]
.LBB4_12486:                            ;   in Loop: Header=BB4_12002 Depth=3
	s_or_b64 exec, exec, s[28:29]
	v_lshrrev_b16_e32 v0, 8, v8
	v_cmp_ne_u16_e32 vcc, 0, v0
	v_mov_b32_e32 v1, 0
	s_and_saveexec_b64 s[28:29], vcc
	s_cbranch_execz .LBB4_12494
; %bb.12487:                            ;   in Loop: Header=BB4_12002 Depth=3
	v_cmp_ne_u16_e32 vcc, s96, v0
	v_bfrev_b32_e32 v1, 1
	s_and_saveexec_b64 s[30:31], vcc
	s_cbranch_execz .LBB4_12493
; %bb.12488:                            ;   in Loop: Header=BB4_12002 Depth=3
	v_and_b32_e32 v1, 0x7c, v0
	v_and_b32_e32 v2, 3, v0
	v_cmp_ne_u32_e32 vcc, s85, v1
                                        ; implicit-def: $vgpr1
	s_and_saveexec_b64 s[34:35], vcc
	s_xor_b64 s[34:35], exec, s[34:35]
	s_cbranch_execz .LBB4_12490
; %bb.12489:                            ;   in Loop: Header=BB4_12002 Depth=3
	v_ffbh_u32_e32 v5, v2
	v_min_u32_e32 v5, 32, v5
	v_mov_b32_e32 v1, v17
	v_subrev_u32_e32 v6, 29, v5
	v_bfe_u32 v3, v0, 2, 5
	v_lshlrev_b64 v[0:1], v6, v[0:1]
	v_cmp_eq_u32_e32 vcc, 0, v3
	v_and_b32_e32 v0, 3, v0
	v_sub_u32_e32 v1, 30, v5
	v_cndmask_b32_e32 v0, v2, v0, vcc
	v_lshlrev_b32_e32 v2, 16, v8
	v_cndmask_b32_e32 v1, v3, v1, vcc
	v_and_b32_e32 v2, 0x80000000, v2
	v_lshl_add_u32 v1, v1, 23, v2
	v_lshl_or_b32 v0, v0, 21, v1
	v_add_u32_e32 v1, 0x38000000, v0
                                        ; implicit-def: $vgpr2
.LBB4_12490:                            ;   in Loop: Header=BB4_12002 Depth=3
	s_andn2_saveexec_b64 s[34:35], s[34:35]
; %bb.12491:                            ;   in Loop: Header=BB4_12002 Depth=3
	v_cmp_lt_i16_e32 vcc, -1, v8
	v_mov_b32_e32 v0, 0xff800000
	v_mov_b32_e32 v1, 0x7f800000
	v_cndmask_b32_e32 v0, v0, v1, vcc
	v_cmp_eq_u32_e32 vcc, 0, v2
	v_mov_b32_e32 v1, 0x7f800001
	v_cndmask_b32_e32 v1, v1, v0, vcc
; %bb.12492:                            ;   in Loop: Header=BB4_12002 Depth=3
	s_or_b64 exec, exec, s[34:35]
.LBB4_12493:                            ;   in Loop: Header=BB4_12002 Depth=3
	s_or_b64 exec, exec, s[30:31]
.LBB4_12494:                            ;   in Loop: Header=BB4_12002 Depth=3
	s_or_b64 exec, exec, s[28:29]
	v_mul_f32_e32 v2, v12, v1
	v_and_b32_e32 v13, 0x7f800000, v2
	v_mov_b32_e32 v14, v17
	v_cmp_ne_u64_e32 vcc, s[76:77], v[13:14]
	v_and_b32_e32 v0, 0x7fffff, v2
	v_mov_b32_e32 v1, v17
                                        ; implicit-def: $vgpr35
	s_and_saveexec_b64 s[28:29], vcc
	s_xor_b64 s[30:31], exec, s[28:29]
	s_cbranch_execz .LBB4_12508
; %bb.12495:                            ;   in Loop: Header=BB4_12002 Depth=3
	v_and_b32_e32 v13, 0x7fffffff, v2
	v_mov_b32_e32 v14, v17
	v_cmp_gt_u64_e32 vcc, s[78:79], v[13:14]
	v_and_b32_sdwa v3, v2, s96 dst_sel:DWORD dst_unused:UNUSED_PAD src0_sel:BYTE_3 src1_sel:DWORD
                                        ; implicit-def: $vgpr35
	s_and_saveexec_b64 s[28:29], vcc
	s_xor_b64 s[34:35], exec, s[28:29]
	s_cbranch_execz .LBB4_12505
; %bb.12496:                            ;   in Loop: Header=BB4_12002 Depth=3
	v_mov_b32_e32 v35, 0
	v_cmp_ne_u32_e32 vcc, 0, v2
	s_and_saveexec_b64 s[36:37], vcc
	s_cbranch_execz .LBB4_12504
; %bb.12497:                            ;   in Loop: Header=BB4_12002 Depth=3
	v_bfe_u32 v13, v2, 23, 8
	v_cmp_gt_u32_e64 s[28:29], s46, v13
	v_sub_u32_e32 v2, 0x71, v13
	v_cmp_eq_u32_e32 vcc, 0, v13
	v_cndmask_b32_e64 v2, 0, v2, s[28:29]
	v_mov_b32_e32 v6, 0x70
	v_cndmask_b32_e32 v14, v2, v6, vcc
	v_add_u32_e32 v2, 21, v14
	v_or_b32_e32 v5, 0x800000, v0
	v_lshlrev_b64 v[15:16], v2, -1
	v_cndmask_b32_e32 v0, v5, v0, vcc
	v_add_u32_e32 v2, 20, v14
	v_bfi_b32 v15, v15, 0, v0
	v_lshlrev_b64 v[19:20], v2, 1
	v_lshrrev_b64 v[0:1], v14, v[0:1]
	v_bfi_b32 v16, v16, 0, 0
	v_cmp_eq_u64_e64 s[28:29], v[15:16], v[19:20]
	v_mov_b32_e32 v2, v1
	v_mov_b32_e32 v1, v0
	s_and_saveexec_b64 s[38:39], s[28:29]
; %bb.12498:                            ;   in Loop: Header=BB4_12002 Depth=3
	v_bfe_u32 v1, v0, 21, 1
	v_add_co_u32_e64 v1, s[28:29], v0, v1
	v_add_co_u32_e64 v1, s[28:29], -1, v1
; %bb.12499:                            ;   in Loop: Header=BB4_12002 Depth=3
	s_or_b64 exec, exec, s[38:39]
	v_add_u32_e32 v2, 0xffffff81, v13
	v_mov_b32_e32 v5, 0xffffff82
	v_cndmask_b32_e32 v2, v2, v5, vcc
	v_lshrrev_b32_e32 v5, 23, v0
	v_add3_u32 v14, v14, v2, v5
	v_add_u32_e32 v13, 14, v14
	v_and_b32_e32 v1, 0x1fffff, v1
	v_add_u32_e32 v0, v1, v0
	v_mov_b32_e32 v1, v17
	v_cmp_ne_u32_e32 vcc, 0, v13
                                        ; implicit-def: $vgpr2
	s_and_saveexec_b64 s[28:29], vcc
	s_xor_b64 s[28:29], exec, s[28:29]
; %bb.12500:                            ;   in Loop: Header=BB4_12002 Depth=3
	v_cmp_lt_u64_e32 vcc, s[88:89], v[0:1]
	v_add_u32_e32 v2, 15, v14
	v_cndmask_b32_e64 v5, 0, 1, vcc
	v_lshrrev_b64 v[0:1], v5, v[0:1]
	v_cndmask_b32_e32 v2, v13, v2, vcc
; %bb.12501:                            ;   in Loop: Header=BB4_12002 Depth=3
	s_andn2_saveexec_b64 s[28:29], s[28:29]
; %bb.12502:                            ;   in Loop: Header=BB4_12002 Depth=3
	v_bfe_u32 v2, v0, 23, 1
; %bb.12503:                            ;   in Loop: Header=BB4_12002 Depth=3
	s_or_b64 exec, exec, s[28:29]
	v_lshrrev_b64 v[0:1], 21, v[0:1]
	v_cmp_gt_i32_e32 vcc, 32, v2
	v_cndmask_b32_e32 v1, 0, v1, vcc
	v_cndmask_b32_e32 v0, 3, v0, vcc
	v_cmp_eq_u64_e64 s[28:29], 0, v[0:1]
	v_min_i32_e32 v1, 31, v2
	v_lshlrev_b32_e32 v1, 2, v1
	v_cmp_eq_u32_e32 vcc, 0, v2
	v_and_b32_e32 v1, 0xfc, v1
	v_and_or_b32 v0, v0, 3, v1
	s_and_b64 s[28:29], vcc, s[28:29]
	v_cndmask_b32_e64 v0, v0, 0, s[28:29]
	v_or_b32_e32 v35, v0, v3
.LBB4_12504:                            ;   in Loop: Header=BB4_12002 Depth=3
	s_or_b64 exec, exec, s[36:37]
                                        ; implicit-def: $vgpr3
.LBB4_12505:                            ;   in Loop: Header=BB4_12002 Depth=3
	s_andn2_saveexec_b64 s[28:29], s[34:35]
; %bb.12506:                            ;   in Loop: Header=BB4_12002 Depth=3
	v_or_b32_e32 v35, 0x7b, v3
; %bb.12507:                            ;   in Loop: Header=BB4_12002 Depth=3
	s_or_b64 exec, exec, s[28:29]
                                        ; implicit-def: $vgpr2
                                        ; implicit-def: $vgpr0_vgpr1
.LBB4_12508:                            ;   in Loop: Header=BB4_12002 Depth=3
	s_andn2_saveexec_b64 s[28:29], s[30:31]
	s_cbranch_execz .LBB4_12514
; %bb.12509:                            ;   in Loop: Header=BB4_12002 Depth=3
	v_cmp_ne_u64_e32 vcc, 0, v[0:1]
                                        ; implicit-def: $vgpr35
	s_and_saveexec_b64 s[30:31], vcc
	s_xor_b64 vcc, exec, s[30:31]
; %bb.12510:                            ;   in Loop: Header=BB4_12002 Depth=3
	v_or_b32_sdwa v35, v2, s47 dst_sel:DWORD dst_unused:UNUSED_PAD src0_sel:BYTE_3 src1_sel:DWORD
                                        ; implicit-def: $vgpr2
; %bb.12511:                            ;   in Loop: Header=BB4_12002 Depth=3
	s_andn2_saveexec_b64 s[30:31], vcc
; %bb.12512:                            ;   in Loop: Header=BB4_12002 Depth=3
	v_cmp_lt_i32_e32 vcc, -1, v2
	v_bfrev_b32_e32 v0, 0.5
	v_cndmask_b32_e32 v35, v0, v52, vcc
; %bb.12513:                            ;   in Loop: Header=BB4_12002 Depth=3
	s_or_b64 exec, exec, s[30:31]
.LBB4_12514:                            ;   in Loop: Header=BB4_12002 Depth=3
	s_or_b64 exec, exec, s[28:29]
	v_lshrrev_b32_e32 v0, 16, v8
	v_cmp_ne_u16_sdwa vcc, v0, v17 src0_sel:BYTE_0 src1_sel:DWORD
	v_mov_b32_e32 v1, 0
	s_and_saveexec_b64 s[28:29], vcc
	s_cbranch_execz .LBB4_12522
; %bb.12515:                            ;   in Loop: Header=BB4_12002 Depth=3
	v_cmp_ne_u16_sdwa vcc, v0, s96 src0_sel:BYTE_0 src1_sel:DWORD
	v_bfrev_b32_e32 v1, 1
	s_and_saveexec_b64 s[30:31], vcc
	s_cbranch_execz .LBB4_12521
; %bb.12516:                            ;   in Loop: Header=BB4_12002 Depth=3
	v_and_b32_e32 v1, 0x7c0000, v8
	v_bfe_u32 v2, v8, 16, 2
	v_cmp_ne_u32_e32 vcc, s44, v1
                                        ; implicit-def: $vgpr1
	s_and_saveexec_b64 s[34:35], vcc
	s_xor_b64 s[34:35], exec, s[34:35]
	s_cbranch_execz .LBB4_12518
; %bb.12517:                            ;   in Loop: Header=BB4_12002 Depth=3
	v_ffbh_u32_e32 v1, v2
	v_min_u32_e32 v5, 32, v1
	v_subrev_u32_e32 v1, 29, v5
	v_lshlrev_b64 v[0:1], v1, v[0:1]
	v_bfe_u32 v3, v8, 18, 5
	v_and_b32_e32 v0, 3, v0
	v_cmp_eq_u32_e32 vcc, 0, v3
	v_sub_u32_e32 v1, 30, v5
	v_cndmask_b32_e32 v0, v2, v0, vcc
	v_lshlrev_b32_e32 v2, 8, v8
	v_cndmask_b32_e32 v1, v3, v1, vcc
	v_and_b32_e32 v2, 0x80000000, v2
	v_lshl_add_u32 v1, v1, 23, v2
	v_lshl_or_b32 v0, v0, 21, v1
	v_add_u32_e32 v1, 0x38000000, v0
                                        ; implicit-def: $vgpr2
                                        ; implicit-def: $vgpr0
.LBB4_12518:                            ;   in Loop: Header=BB4_12002 Depth=3
	s_andn2_saveexec_b64 s[34:35], s[34:35]
; %bb.12519:                            ;   in Loop: Header=BB4_12002 Depth=3
	v_mov_b32_e32 v1, -1
	v_cmp_gt_i16_sdwa vcc, sext(v0), v1 src0_sel:BYTE_0 src1_sel:DWORD
	v_mov_b32_e32 v0, 0xff800000
	v_mov_b32_e32 v1, 0x7f800000
	v_cndmask_b32_e32 v0, v0, v1, vcc
	v_cmp_eq_u32_e32 vcc, 0, v2
	v_mov_b32_e32 v1, 0x7f800001
	v_cndmask_b32_e32 v1, v1, v0, vcc
; %bb.12520:                            ;   in Loop: Header=BB4_12002 Depth=3
	s_or_b64 exec, exec, s[34:35]
.LBB4_12521:                            ;   in Loop: Header=BB4_12002 Depth=3
	s_or_b64 exec, exec, s[30:31]
.LBB4_12522:                            ;   in Loop: Header=BB4_12002 Depth=3
	s_or_b64 exec, exec, s[28:29]
	v_mul_f32_e32 v2, v12, v1
	v_and_b32_e32 v13, 0x7f800000, v2
	v_mov_b32_e32 v14, v17
	v_cmp_ne_u64_e32 vcc, s[76:77], v[13:14]
	v_and_b32_e32 v0, 0x7fffff, v2
	v_mov_b32_e32 v1, v17
                                        ; implicit-def: $vgpr39
	s_and_saveexec_b64 s[28:29], vcc
	s_xor_b64 s[30:31], exec, s[28:29]
	s_cbranch_execz .LBB4_12536
; %bb.12523:                            ;   in Loop: Header=BB4_12002 Depth=3
	v_and_b32_e32 v13, 0x7fffffff, v2
	v_mov_b32_e32 v14, v17
	v_cmp_gt_u64_e32 vcc, s[78:79], v[13:14]
	v_and_b32_sdwa v3, v2, s96 dst_sel:DWORD dst_unused:UNUSED_PAD src0_sel:BYTE_3 src1_sel:DWORD
                                        ; implicit-def: $vgpr39
	s_and_saveexec_b64 s[28:29], vcc
	s_xor_b64 s[34:35], exec, s[28:29]
	s_cbranch_execz .LBB4_12533
; %bb.12524:                            ;   in Loop: Header=BB4_12002 Depth=3
	v_mov_b32_e32 v39, 0
	v_cmp_ne_u32_e32 vcc, 0, v2
	s_and_saveexec_b64 s[36:37], vcc
	s_cbranch_execz .LBB4_12532
; %bb.12525:                            ;   in Loop: Header=BB4_12002 Depth=3
	v_bfe_u32 v13, v2, 23, 8
	v_cmp_gt_u32_e64 s[28:29], s46, v13
	v_sub_u32_e32 v2, 0x71, v13
	v_cmp_eq_u32_e32 vcc, 0, v13
	v_cndmask_b32_e64 v2, 0, v2, s[28:29]
	v_mov_b32_e32 v6, 0x70
	v_cndmask_b32_e32 v14, v2, v6, vcc
	v_add_u32_e32 v2, 21, v14
	v_or_b32_e32 v5, 0x800000, v0
	v_lshlrev_b64 v[15:16], v2, -1
	v_cndmask_b32_e32 v0, v5, v0, vcc
	v_add_u32_e32 v2, 20, v14
	v_bfi_b32 v15, v15, 0, v0
	v_lshlrev_b64 v[19:20], v2, 1
	v_lshrrev_b64 v[0:1], v14, v[0:1]
	v_bfi_b32 v16, v16, 0, 0
	v_cmp_eq_u64_e64 s[28:29], v[15:16], v[19:20]
	v_mov_b32_e32 v2, v1
	v_mov_b32_e32 v1, v0
	s_and_saveexec_b64 s[38:39], s[28:29]
; %bb.12526:                            ;   in Loop: Header=BB4_12002 Depth=3
	v_bfe_u32 v1, v0, 21, 1
	v_add_co_u32_e64 v1, s[28:29], v0, v1
	v_add_co_u32_e64 v1, s[28:29], -1, v1
; %bb.12527:                            ;   in Loop: Header=BB4_12002 Depth=3
	s_or_b64 exec, exec, s[38:39]
	v_add_u32_e32 v2, 0xffffff81, v13
	v_mov_b32_e32 v5, 0xffffff82
	v_cndmask_b32_e32 v2, v2, v5, vcc
	v_lshrrev_b32_e32 v5, 23, v0
	v_add3_u32 v14, v14, v2, v5
	v_add_u32_e32 v13, 14, v14
	v_and_b32_e32 v1, 0x1fffff, v1
	v_add_u32_e32 v0, v1, v0
	v_mov_b32_e32 v1, v17
	v_cmp_ne_u32_e32 vcc, 0, v13
                                        ; implicit-def: $vgpr2
	s_and_saveexec_b64 s[28:29], vcc
	s_xor_b64 s[28:29], exec, s[28:29]
; %bb.12528:                            ;   in Loop: Header=BB4_12002 Depth=3
	v_cmp_lt_u64_e32 vcc, s[88:89], v[0:1]
	v_add_u32_e32 v2, 15, v14
	v_cndmask_b32_e64 v5, 0, 1, vcc
	v_lshrrev_b64 v[0:1], v5, v[0:1]
	v_cndmask_b32_e32 v2, v13, v2, vcc
; %bb.12529:                            ;   in Loop: Header=BB4_12002 Depth=3
	s_andn2_saveexec_b64 s[28:29], s[28:29]
; %bb.12530:                            ;   in Loop: Header=BB4_12002 Depth=3
	v_bfe_u32 v2, v0, 23, 1
; %bb.12531:                            ;   in Loop: Header=BB4_12002 Depth=3
	s_or_b64 exec, exec, s[28:29]
	v_lshrrev_b64 v[0:1], 21, v[0:1]
	v_cmp_gt_i32_e32 vcc, 32, v2
	v_cndmask_b32_e32 v1, 0, v1, vcc
	v_cndmask_b32_e32 v0, 3, v0, vcc
	v_cmp_eq_u64_e64 s[28:29], 0, v[0:1]
	v_min_i32_e32 v1, 31, v2
	v_lshlrev_b32_e32 v1, 2, v1
	v_cmp_eq_u32_e32 vcc, 0, v2
	v_and_b32_e32 v1, 0xfc, v1
	v_and_or_b32 v0, v0, 3, v1
	s_and_b64 s[28:29], vcc, s[28:29]
	v_cndmask_b32_e64 v0, v0, 0, s[28:29]
	v_or_b32_e32 v39, v0, v3
.LBB4_12532:                            ;   in Loop: Header=BB4_12002 Depth=3
	s_or_b64 exec, exec, s[36:37]
                                        ; implicit-def: $vgpr3
.LBB4_12533:                            ;   in Loop: Header=BB4_12002 Depth=3
	s_andn2_saveexec_b64 s[28:29], s[34:35]
; %bb.12534:                            ;   in Loop: Header=BB4_12002 Depth=3
	v_or_b32_e32 v39, 0x7b, v3
; %bb.12535:                            ;   in Loop: Header=BB4_12002 Depth=3
	s_or_b64 exec, exec, s[28:29]
                                        ; implicit-def: $vgpr2
                                        ; implicit-def: $vgpr0_vgpr1
.LBB4_12536:                            ;   in Loop: Header=BB4_12002 Depth=3
	s_andn2_saveexec_b64 s[28:29], s[30:31]
	s_cbranch_execz .LBB4_12542
; %bb.12537:                            ;   in Loop: Header=BB4_12002 Depth=3
	v_cmp_ne_u64_e32 vcc, 0, v[0:1]
                                        ; implicit-def: $vgpr39
	s_and_saveexec_b64 s[30:31], vcc
	s_xor_b64 vcc, exec, s[30:31]
; %bb.12538:                            ;   in Loop: Header=BB4_12002 Depth=3
	v_or_b32_sdwa v39, v2, s47 dst_sel:DWORD dst_unused:UNUSED_PAD src0_sel:BYTE_3 src1_sel:DWORD
                                        ; implicit-def: $vgpr2
; %bb.12539:                            ;   in Loop: Header=BB4_12002 Depth=3
	s_andn2_saveexec_b64 s[30:31], vcc
; %bb.12540:                            ;   in Loop: Header=BB4_12002 Depth=3
	v_cmp_lt_i32_e32 vcc, -1, v2
	v_bfrev_b32_e32 v0, 0.5
	v_cndmask_b32_e32 v39, v0, v52, vcc
; %bb.12541:                            ;   in Loop: Header=BB4_12002 Depth=3
	s_or_b64 exec, exec, s[30:31]
.LBB4_12542:                            ;   in Loop: Header=BB4_12002 Depth=3
	s_or_b64 exec, exec, s[28:29]
	v_cmp_lt_u32_e32 vcc, s57, v8
	v_mov_b32_e32 v1, 0
	s_and_saveexec_b64 s[28:29], vcc
	s_cbranch_execz .LBB4_12550
; %bb.12543:                            ;   in Loop: Header=BB4_12002 Depth=3
	v_lshrrev_b32_e32 v0, 24, v8
	v_cmp_ne_u32_e32 vcc, s96, v0
	v_bfrev_b32_e32 v1, 1
	s_and_saveexec_b64 s[30:31], vcc
	s_cbranch_execz .LBB4_12549
; %bb.12544:                            ;   in Loop: Header=BB4_12002 Depth=3
	v_and_b32_e32 v1, 0x7c000000, v8
	v_bfe_u32 v2, v8, 24, 2
	v_cmp_ne_u32_e32 vcc, s45, v1
                                        ; implicit-def: $vgpr1
	s_and_saveexec_b64 s[34:35], vcc
	s_xor_b64 s[34:35], exec, s[34:35]
	s_cbranch_execz .LBB4_12546
; %bb.12545:                            ;   in Loop: Header=BB4_12002 Depth=3
	v_ffbh_u32_e32 v1, v2
	v_min_u32_e32 v5, 32, v1
	v_subrev_u32_e32 v1, 29, v5
	v_lshlrev_b64 v[0:1], v1, v[0:1]
	v_bfe_u32 v3, v8, 26, 5
	v_sub_u32_e32 v1, 30, v5
	v_and_b32_e32 v0, 3, v0
	v_cmp_eq_u32_e32 vcc, 0, v3
	v_cndmask_b32_e32 v1, v3, v1, vcc
	v_cndmask_b32_e32 v0, v2, v0, vcc
	v_and_b32_e32 v2, 0x80000000, v8
	v_lshl_add_u32 v1, v1, 23, v2
	v_lshl_or_b32 v0, v0, 21, v1
	v_add_u32_e32 v1, 0x38000000, v0
                                        ; implicit-def: $vgpr2
.LBB4_12546:                            ;   in Loop: Header=BB4_12002 Depth=3
	s_andn2_saveexec_b64 s[34:35], s[34:35]
; %bb.12547:                            ;   in Loop: Header=BB4_12002 Depth=3
	v_cmp_lt_i32_e32 vcc, -1, v8
	v_mov_b32_e32 v0, 0xff800000
	v_mov_b32_e32 v1, 0x7f800000
	v_cndmask_b32_e32 v0, v0, v1, vcc
	v_cmp_eq_u32_e32 vcc, 0, v2
	v_mov_b32_e32 v1, 0x7f800001
	v_cndmask_b32_e32 v1, v1, v0, vcc
; %bb.12548:                            ;   in Loop: Header=BB4_12002 Depth=3
	s_or_b64 exec, exec, s[34:35]
.LBB4_12549:                            ;   in Loop: Header=BB4_12002 Depth=3
	s_or_b64 exec, exec, s[30:31]
.LBB4_12550:                            ;   in Loop: Header=BB4_12002 Depth=3
	s_or_b64 exec, exec, s[28:29]
	v_mul_f32_e32 v2, v12, v1
	v_and_b32_e32 v13, 0x7f800000, v2
	v_mov_b32_e32 v14, v17
	v_cmp_ne_u64_e32 vcc, s[76:77], v[13:14]
	v_and_b32_e32 v0, 0x7fffff, v2
	v_mov_b32_e32 v1, v17
                                        ; implicit-def: $vgpr53
	s_and_saveexec_b64 s[28:29], vcc
	s_xor_b64 s[30:31], exec, s[28:29]
	s_cbranch_execz .LBB4_12564
; %bb.12551:                            ;   in Loop: Header=BB4_12002 Depth=3
	v_and_b32_e32 v13, 0x7fffffff, v2
	v_mov_b32_e32 v14, v17
	v_cmp_gt_u64_e32 vcc, s[78:79], v[13:14]
	v_and_b32_sdwa v3, v2, s96 dst_sel:DWORD dst_unused:UNUSED_PAD src0_sel:BYTE_3 src1_sel:DWORD
                                        ; implicit-def: $vgpr53
	s_and_saveexec_b64 s[28:29], vcc
	s_xor_b64 s[34:35], exec, s[28:29]
	s_cbranch_execz .LBB4_12561
; %bb.12552:                            ;   in Loop: Header=BB4_12002 Depth=3
	v_mov_b32_e32 v53, 0
	v_cmp_ne_u32_e32 vcc, 0, v2
	s_and_saveexec_b64 s[36:37], vcc
	s_cbranch_execz .LBB4_12560
; %bb.12553:                            ;   in Loop: Header=BB4_12002 Depth=3
	v_bfe_u32 v13, v2, 23, 8
	v_cmp_gt_u32_e64 s[28:29], s46, v13
	v_sub_u32_e32 v2, 0x71, v13
	v_cmp_eq_u32_e32 vcc, 0, v13
	v_cndmask_b32_e64 v2, 0, v2, s[28:29]
	v_mov_b32_e32 v6, 0x70
	v_cndmask_b32_e32 v14, v2, v6, vcc
	v_add_u32_e32 v2, 21, v14
	v_or_b32_e32 v5, 0x800000, v0
	v_lshlrev_b64 v[15:16], v2, -1
	v_cndmask_b32_e32 v0, v5, v0, vcc
	v_add_u32_e32 v2, 20, v14
	v_bfi_b32 v15, v15, 0, v0
	v_lshlrev_b64 v[19:20], v2, 1
	v_lshrrev_b64 v[0:1], v14, v[0:1]
	v_bfi_b32 v16, v16, 0, 0
	v_cmp_eq_u64_e64 s[28:29], v[15:16], v[19:20]
	v_mov_b32_e32 v2, v1
	v_mov_b32_e32 v1, v0
	s_and_saveexec_b64 s[38:39], s[28:29]
; %bb.12554:                            ;   in Loop: Header=BB4_12002 Depth=3
	v_bfe_u32 v1, v0, 21, 1
	v_add_co_u32_e64 v1, s[28:29], v0, v1
	v_add_co_u32_e64 v1, s[28:29], -1, v1
; %bb.12555:                            ;   in Loop: Header=BB4_12002 Depth=3
	s_or_b64 exec, exec, s[38:39]
	v_add_u32_e32 v2, 0xffffff81, v13
	v_mov_b32_e32 v5, 0xffffff82
	v_cndmask_b32_e32 v2, v2, v5, vcc
	v_lshrrev_b32_e32 v5, 23, v0
	v_add3_u32 v14, v14, v2, v5
	v_add_u32_e32 v13, 14, v14
	v_and_b32_e32 v1, 0x1fffff, v1
	v_add_u32_e32 v0, v1, v0
	v_mov_b32_e32 v1, v17
	v_cmp_ne_u32_e32 vcc, 0, v13
                                        ; implicit-def: $vgpr2
	s_and_saveexec_b64 s[28:29], vcc
	s_xor_b64 s[28:29], exec, s[28:29]
; %bb.12556:                            ;   in Loop: Header=BB4_12002 Depth=3
	v_cmp_lt_u64_e32 vcc, s[88:89], v[0:1]
	v_add_u32_e32 v2, 15, v14
	v_cndmask_b32_e64 v5, 0, 1, vcc
	v_lshrrev_b64 v[0:1], v5, v[0:1]
	v_cndmask_b32_e32 v2, v13, v2, vcc
; %bb.12557:                            ;   in Loop: Header=BB4_12002 Depth=3
	s_andn2_saveexec_b64 s[28:29], s[28:29]
; %bb.12558:                            ;   in Loop: Header=BB4_12002 Depth=3
	v_bfe_u32 v2, v0, 23, 1
; %bb.12559:                            ;   in Loop: Header=BB4_12002 Depth=3
	s_or_b64 exec, exec, s[28:29]
	v_lshrrev_b64 v[0:1], 21, v[0:1]
	v_cmp_gt_i32_e32 vcc, 32, v2
	v_cndmask_b32_e32 v1, 0, v1, vcc
	v_cndmask_b32_e32 v0, 3, v0, vcc
	v_cmp_eq_u64_e64 s[28:29], 0, v[0:1]
	v_min_i32_e32 v1, 31, v2
	v_lshlrev_b32_e32 v1, 2, v1
	v_cmp_eq_u32_e32 vcc, 0, v2
	v_and_b32_e32 v1, 0xfc, v1
	v_and_or_b32 v0, v0, 3, v1
	s_and_b64 s[28:29], vcc, s[28:29]
	v_cndmask_b32_e64 v0, v0, 0, s[28:29]
	v_or_b32_e32 v53, v0, v3
.LBB4_12560:                            ;   in Loop: Header=BB4_12002 Depth=3
	s_or_b64 exec, exec, s[36:37]
                                        ; implicit-def: $vgpr3
.LBB4_12561:                            ;   in Loop: Header=BB4_12002 Depth=3
	s_andn2_saveexec_b64 s[28:29], s[34:35]
; %bb.12562:                            ;   in Loop: Header=BB4_12002 Depth=3
	v_or_b32_e32 v53, 0x7b, v3
; %bb.12563:                            ;   in Loop: Header=BB4_12002 Depth=3
	s_or_b64 exec, exec, s[28:29]
                                        ; implicit-def: $vgpr2
                                        ; implicit-def: $vgpr0_vgpr1
.LBB4_12564:                            ;   in Loop: Header=BB4_12002 Depth=3
	s_andn2_saveexec_b64 s[28:29], s[30:31]
	s_cbranch_execz .LBB4_12570
; %bb.12565:                            ;   in Loop: Header=BB4_12002 Depth=3
	v_cmp_ne_u64_e32 vcc, 0, v[0:1]
                                        ; implicit-def: $vgpr53
	s_and_saveexec_b64 s[30:31], vcc
	s_xor_b64 vcc, exec, s[30:31]
; %bb.12566:                            ;   in Loop: Header=BB4_12002 Depth=3
	v_or_b32_sdwa v53, v2, s47 dst_sel:DWORD dst_unused:UNUSED_PAD src0_sel:BYTE_3 src1_sel:DWORD
                                        ; implicit-def: $vgpr2
; %bb.12567:                            ;   in Loop: Header=BB4_12002 Depth=3
	s_andn2_saveexec_b64 s[30:31], vcc
; %bb.12568:                            ;   in Loop: Header=BB4_12002 Depth=3
	v_cmp_lt_i32_e32 vcc, -1, v2
	v_bfrev_b32_e32 v0, 0.5
	v_cndmask_b32_e32 v53, v0, v52, vcc
; %bb.12569:                            ;   in Loop: Header=BB4_12002 Depth=3
	s_or_b64 exec, exec, s[30:31]
.LBB4_12570:                            ;   in Loop: Header=BB4_12002 Depth=3
	s_or_b64 exec, exec, s[28:29]
	v_mov_b32_e32 v0, v9
	v_mov_b32_e32 v1, v17
	v_cmp_ne_u16_sdwa vcc, v9, v17 src0_sel:BYTE_0 src1_sel:DWORD
	v_mov_b32_e32 v2, 0
	s_and_saveexec_b64 s[28:29], vcc
	s_cbranch_execz .LBB4_12578
; %bb.12571:                            ;   in Loop: Header=BB4_12002 Depth=3
	v_cmp_ne_u16_sdwa vcc, v9, s96 src0_sel:BYTE_0 src1_sel:DWORD
	v_bfrev_b32_e32 v2, 1
	s_and_saveexec_b64 s[30:31], vcc
	s_cbranch_execz .LBB4_12577
; %bb.12572:                            ;   in Loop: Header=BB4_12002 Depth=3
	v_and_b32_e32 v2, 0x7c, v9
	v_and_b32_e32 v3, 3, v9
	v_cmp_ne_u32_e32 vcc, s85, v2
                                        ; implicit-def: $vgpr2
	s_and_saveexec_b64 s[34:35], vcc
	s_xor_b64 s[34:35], exec, s[34:35]
	s_cbranch_execz .LBB4_12574
; %bb.12573:                            ;   in Loop: Header=BB4_12002 Depth=3
	v_ffbh_u32_e32 v2, v3
	v_min_u32_e32 v6, 32, v2
	v_subrev_u32_e32 v2, 29, v6
	v_lshlrev_b64 v[1:2], v2, v[0:1]
	v_bfe_u32 v5, v9, 2, 5
	v_and_b32_e32 v1, 3, v1
	v_cmp_eq_u32_e32 vcc, 0, v5
	v_sub_u32_e32 v2, 30, v6
	v_cndmask_b32_e32 v1, v3, v1, vcc
	v_lshlrev_b32_e32 v3, 24, v9
	v_cndmask_b32_e32 v2, v5, v2, vcc
	v_and_b32_e32 v3, 0x80000000, v3
	v_lshl_add_u32 v2, v2, 23, v3
	v_lshl_or_b32 v1, v1, 21, v2
	v_add_u32_e32 v2, 0x38000000, v1
                                        ; implicit-def: $vgpr3
.LBB4_12574:                            ;   in Loop: Header=BB4_12002 Depth=3
	s_andn2_saveexec_b64 s[34:35], s[34:35]
; %bb.12575:                            ;   in Loop: Header=BB4_12002 Depth=3
	v_mov_b32_e32 v1, -1
	v_cmp_gt_i16_sdwa vcc, sext(v9), v1 src0_sel:BYTE_0 src1_sel:DWORD
	v_mov_b32_e32 v1, 0xff800000
	v_mov_b32_e32 v2, 0x7f800000
	v_cndmask_b32_e32 v1, v1, v2, vcc
	v_cmp_eq_u32_e32 vcc, 0, v3
	v_mov_b32_e32 v2, 0x7f800001
	v_cndmask_b32_e32 v2, v2, v1, vcc
; %bb.12576:                            ;   in Loop: Header=BB4_12002 Depth=3
	s_or_b64 exec, exec, s[34:35]
.LBB4_12577:                            ;   in Loop: Header=BB4_12002 Depth=3
	s_or_b64 exec, exec, s[30:31]
.LBB4_12578:                            ;   in Loop: Header=BB4_12002 Depth=3
	s_or_b64 exec, exec, s[28:29]
	v_mul_f32_e32 v3, v12, v2
	v_and_b32_e32 v13, 0x7f800000, v3
	v_mov_b32_e32 v14, v17
	v_cmp_ne_u64_e32 vcc, s[76:77], v[13:14]
	v_and_b32_e32 v1, 0x7fffff, v3
	v_mov_b32_e32 v2, v17
                                        ; implicit-def: $vgpr21
	s_and_saveexec_b64 s[28:29], vcc
	s_xor_b64 s[30:31], exec, s[28:29]
	s_cbranch_execz .LBB4_12592
; %bb.12579:                            ;   in Loop: Header=BB4_12002 Depth=3
	v_and_b32_e32 v13, 0x7fffffff, v3
	v_mov_b32_e32 v14, v17
	v_cmp_gt_u64_e32 vcc, s[78:79], v[13:14]
	v_and_b32_sdwa v13, v3, s96 dst_sel:DWORD dst_unused:UNUSED_PAD src0_sel:BYTE_3 src1_sel:DWORD
                                        ; implicit-def: $vgpr21
	s_and_saveexec_b64 s[28:29], vcc
	s_xor_b64 s[34:35], exec, s[28:29]
	s_cbranch_execz .LBB4_12589
; %bb.12580:                            ;   in Loop: Header=BB4_12002 Depth=3
	v_mov_b32_e32 v21, 0
	v_cmp_ne_u32_e32 vcc, 0, v3
	s_and_saveexec_b64 s[36:37], vcc
	s_cbranch_execz .LBB4_12588
; %bb.12581:                            ;   in Loop: Header=BB4_12002 Depth=3
	v_bfe_u32 v14, v3, 23, 8
	v_cmp_gt_u32_e64 s[28:29], s46, v14
	v_sub_u32_e32 v3, 0x71, v14
	v_cmp_eq_u32_e32 vcc, 0, v14
	v_cndmask_b32_e64 v3, 0, v3, s[28:29]
	v_mov_b32_e32 v6, 0x70
	v_cndmask_b32_e32 v15, v3, v6, vcc
	v_add_u32_e32 v3, 21, v15
	v_or_b32_e32 v5, 0x800000, v1
	v_lshlrev_b64 v[19:20], v3, -1
	v_cndmask_b32_e32 v1, v5, v1, vcc
	v_add_u32_e32 v3, 20, v15
	v_bfi_b32 v19, v19, 0, v1
	v_lshlrev_b64 v[23:24], v3, 1
	v_lshrrev_b64 v[1:2], v15, v[1:2]
	v_bfi_b32 v20, v20, 0, 0
	v_cmp_eq_u64_e64 s[28:29], v[19:20], v[23:24]
	v_mov_b32_e32 v3, v2
	v_mov_b32_e32 v2, v1
	s_and_saveexec_b64 s[38:39], s[28:29]
; %bb.12582:                            ;   in Loop: Header=BB4_12002 Depth=3
	v_bfe_u32 v2, v1, 21, 1
	v_add_co_u32_e64 v2, s[28:29], v1, v2
	v_add_co_u32_e64 v2, s[28:29], -1, v2
; %bb.12583:                            ;   in Loop: Header=BB4_12002 Depth=3
	s_or_b64 exec, exec, s[38:39]
	v_add_u32_e32 v3, 0xffffff81, v14
	v_mov_b32_e32 v5, 0xffffff82
	v_cndmask_b32_e32 v3, v3, v5, vcc
	v_lshrrev_b32_e32 v5, 23, v1
	v_add3_u32 v15, v15, v3, v5
	v_add_u32_e32 v14, 14, v15
	v_and_b32_e32 v2, 0x1fffff, v2
	v_add_u32_e32 v1, v2, v1
	v_mov_b32_e32 v2, v17
	v_cmp_ne_u32_e32 vcc, 0, v14
                                        ; implicit-def: $vgpr3
	s_and_saveexec_b64 s[28:29], vcc
	s_xor_b64 s[28:29], exec, s[28:29]
; %bb.12584:                            ;   in Loop: Header=BB4_12002 Depth=3
	v_cmp_lt_u64_e32 vcc, s[88:89], v[1:2]
	v_add_u32_e32 v3, 15, v15
	v_cndmask_b32_e64 v5, 0, 1, vcc
	v_lshrrev_b64 v[1:2], v5, v[1:2]
	v_cndmask_b32_e32 v3, v14, v3, vcc
; %bb.12585:                            ;   in Loop: Header=BB4_12002 Depth=3
	s_andn2_saveexec_b64 s[28:29], s[28:29]
; %bb.12586:                            ;   in Loop: Header=BB4_12002 Depth=3
	v_bfe_u32 v3, v1, 23, 1
; %bb.12587:                            ;   in Loop: Header=BB4_12002 Depth=3
	s_or_b64 exec, exec, s[28:29]
	v_lshrrev_b64 v[1:2], 21, v[1:2]
	v_cmp_gt_i32_e32 vcc, 32, v3
	v_cndmask_b32_e32 v2, 0, v2, vcc
	v_cndmask_b32_e32 v1, 3, v1, vcc
	v_cmp_eq_u64_e64 s[28:29], 0, v[1:2]
	v_min_i32_e32 v2, 31, v3
	v_lshlrev_b32_e32 v2, 2, v2
	v_cmp_eq_u32_e32 vcc, 0, v3
	v_and_b32_e32 v2, 0xfc, v2
	v_and_or_b32 v1, v1, 3, v2
	s_and_b64 s[28:29], vcc, s[28:29]
	v_cndmask_b32_e64 v1, v1, 0, s[28:29]
	v_or_b32_e32 v21, v1, v13
.LBB4_12588:                            ;   in Loop: Header=BB4_12002 Depth=3
	s_or_b64 exec, exec, s[36:37]
                                        ; implicit-def: $vgpr13
.LBB4_12589:                            ;   in Loop: Header=BB4_12002 Depth=3
	s_andn2_saveexec_b64 s[28:29], s[34:35]
; %bb.12590:                            ;   in Loop: Header=BB4_12002 Depth=3
	v_or_b32_e32 v21, 0x7b, v13
; %bb.12591:                            ;   in Loop: Header=BB4_12002 Depth=3
	s_or_b64 exec, exec, s[28:29]
                                        ; implicit-def: $vgpr3
                                        ; implicit-def: $vgpr1_vgpr2
.LBB4_12592:                            ;   in Loop: Header=BB4_12002 Depth=3
	s_andn2_saveexec_b64 s[28:29], s[30:31]
	s_cbranch_execz .LBB4_12598
; %bb.12593:                            ;   in Loop: Header=BB4_12002 Depth=3
	v_cmp_ne_u64_e32 vcc, 0, v[1:2]
                                        ; implicit-def: $vgpr21
	s_and_saveexec_b64 s[30:31], vcc
	s_xor_b64 vcc, exec, s[30:31]
; %bb.12594:                            ;   in Loop: Header=BB4_12002 Depth=3
	v_or_b32_sdwa v21, v3, s47 dst_sel:DWORD dst_unused:UNUSED_PAD src0_sel:BYTE_3 src1_sel:DWORD
                                        ; implicit-def: $vgpr3
; %bb.12595:                            ;   in Loop: Header=BB4_12002 Depth=3
	s_andn2_saveexec_b64 s[30:31], vcc
; %bb.12596:                            ;   in Loop: Header=BB4_12002 Depth=3
	v_cmp_lt_i32_e32 vcc, -1, v3
	v_bfrev_b32_e32 v1, 0.5
	v_cndmask_b32_e32 v21, v1, v52, vcc
; %bb.12597:                            ;   in Loop: Header=BB4_12002 Depth=3
	s_or_b64 exec, exec, s[30:31]
.LBB4_12598:                            ;   in Loop: Header=BB4_12002 Depth=3
	s_or_b64 exec, exec, s[28:29]
	v_lshrrev_b16_e32 v1, 8, v0
	v_cmp_ne_u16_e32 vcc, 0, v1
	v_mov_b32_e32 v2, 0
	s_and_saveexec_b64 s[28:29], vcc
	s_cbranch_execz .LBB4_12606
; %bb.12599:                            ;   in Loop: Header=BB4_12002 Depth=3
	v_cmp_ne_u16_e32 vcc, s96, v1
	v_bfrev_b32_e32 v2, 1
	s_and_saveexec_b64 s[30:31], vcc
	s_cbranch_execz .LBB4_12605
; %bb.12600:                            ;   in Loop: Header=BB4_12002 Depth=3
	v_and_b32_e32 v2, 0x7c, v1
	v_and_b32_e32 v3, 3, v1
	v_cmp_ne_u32_e32 vcc, s85, v2
                                        ; implicit-def: $vgpr2
	s_and_saveexec_b64 s[34:35], vcc
	s_xor_b64 s[34:35], exec, s[34:35]
	s_cbranch_execz .LBB4_12602
; %bb.12601:                            ;   in Loop: Header=BB4_12002 Depth=3
	v_ffbh_u32_e32 v6, v3
	v_min_u32_e32 v6, 32, v6
	v_mov_b32_e32 v2, v17
	v_subrev_u32_e32 v13, 29, v6
	v_bfe_u32 v5, v1, 2, 5
	v_lshlrev_b64 v[1:2], v13, v[1:2]
	v_sub_u32_e32 v2, 30, v6
	v_cmp_eq_u32_e32 vcc, 0, v5
	v_lshlrev_b32_e32 v0, 16, v0
	v_and_b32_e32 v1, 3, v1
	v_cndmask_b32_e32 v2, v5, v2, vcc
	v_and_b32_e32 v0, 0x80000000, v0
	v_cndmask_b32_e32 v1, v3, v1, vcc
	v_lshl_add_u32 v0, v2, 23, v0
	v_lshl_or_b32 v0, v1, 21, v0
	v_add_u32_e32 v2, 0x38000000, v0
                                        ; implicit-def: $vgpr3
                                        ; implicit-def: $vgpr0_vgpr1
.LBB4_12602:                            ;   in Loop: Header=BB4_12002 Depth=3
	s_andn2_saveexec_b64 s[34:35], s[34:35]
; %bb.12603:                            ;   in Loop: Header=BB4_12002 Depth=3
	v_cmp_lt_i16_e32 vcc, -1, v0
	v_mov_b32_e32 v0, 0xff800000
	v_mov_b32_e32 v1, 0x7f800000
	v_cndmask_b32_e32 v0, v0, v1, vcc
	v_cmp_eq_u32_e32 vcc, 0, v3
	v_mov_b32_e32 v1, 0x7f800001
	v_cndmask_b32_e32 v2, v1, v0, vcc
; %bb.12604:                            ;   in Loop: Header=BB4_12002 Depth=3
	s_or_b64 exec, exec, s[34:35]
.LBB4_12605:                            ;   in Loop: Header=BB4_12002 Depth=3
	s_or_b64 exec, exec, s[30:31]
.LBB4_12606:                            ;   in Loop: Header=BB4_12002 Depth=3
	s_or_b64 exec, exec, s[28:29]
	v_mul_f32_e32 v2, v12, v2
	v_and_b32_e32 v13, 0x7f800000, v2
	v_mov_b32_e32 v14, v17
	v_cmp_ne_u64_e32 vcc, s[76:77], v[13:14]
	v_and_b32_e32 v0, 0x7fffff, v2
	v_mov_b32_e32 v1, v17
                                        ; implicit-def: $vgpr30
	s_and_saveexec_b64 s[28:29], vcc
	s_xor_b64 s[30:31], exec, s[28:29]
	s_cbranch_execz .LBB4_12620
; %bb.12607:                            ;   in Loop: Header=BB4_12002 Depth=3
	v_and_b32_e32 v13, 0x7fffffff, v2
	v_mov_b32_e32 v14, v17
	v_cmp_gt_u64_e32 vcc, s[78:79], v[13:14]
	v_and_b32_sdwa v3, v2, s96 dst_sel:DWORD dst_unused:UNUSED_PAD src0_sel:BYTE_3 src1_sel:DWORD
                                        ; implicit-def: $vgpr30
	s_and_saveexec_b64 s[28:29], vcc
	s_xor_b64 s[34:35], exec, s[28:29]
	s_cbranch_execz .LBB4_12617
; %bb.12608:                            ;   in Loop: Header=BB4_12002 Depth=3
	v_mov_b32_e32 v30, 0
	v_cmp_ne_u32_e32 vcc, 0, v2
	s_and_saveexec_b64 s[36:37], vcc
	s_cbranch_execz .LBB4_12616
; %bb.12609:                            ;   in Loop: Header=BB4_12002 Depth=3
	v_bfe_u32 v13, v2, 23, 8
	v_cmp_gt_u32_e64 s[28:29], s46, v13
	v_sub_u32_e32 v2, 0x71, v13
	v_cmp_eq_u32_e32 vcc, 0, v13
	v_cndmask_b32_e64 v2, 0, v2, s[28:29]
	v_mov_b32_e32 v6, 0x70
	v_cndmask_b32_e32 v14, v2, v6, vcc
	v_add_u32_e32 v2, 21, v14
	v_or_b32_e32 v5, 0x800000, v0
	v_lshlrev_b64 v[15:16], v2, -1
	v_cndmask_b32_e32 v0, v5, v0, vcc
	v_add_u32_e32 v2, 20, v14
	v_bfi_b32 v15, v15, 0, v0
	v_lshlrev_b64 v[19:20], v2, 1
	v_lshrrev_b64 v[0:1], v14, v[0:1]
	v_bfi_b32 v16, v16, 0, 0
	v_cmp_eq_u64_e64 s[28:29], v[15:16], v[19:20]
	v_mov_b32_e32 v2, v1
	v_mov_b32_e32 v1, v0
	s_and_saveexec_b64 s[38:39], s[28:29]
; %bb.12610:                            ;   in Loop: Header=BB4_12002 Depth=3
	v_bfe_u32 v1, v0, 21, 1
	v_add_co_u32_e64 v1, s[28:29], v0, v1
	v_add_co_u32_e64 v1, s[28:29], -1, v1
; %bb.12611:                            ;   in Loop: Header=BB4_12002 Depth=3
	s_or_b64 exec, exec, s[38:39]
	v_add_u32_e32 v2, 0xffffff81, v13
	v_mov_b32_e32 v5, 0xffffff82
	v_cndmask_b32_e32 v2, v2, v5, vcc
	v_lshrrev_b32_e32 v5, 23, v0
	v_add3_u32 v14, v14, v2, v5
	v_add_u32_e32 v13, 14, v14
	v_and_b32_e32 v1, 0x1fffff, v1
	v_add_u32_e32 v0, v1, v0
	v_mov_b32_e32 v1, v17
	v_cmp_ne_u32_e32 vcc, 0, v13
                                        ; implicit-def: $vgpr2
	s_and_saveexec_b64 s[28:29], vcc
	s_xor_b64 s[28:29], exec, s[28:29]
; %bb.12612:                            ;   in Loop: Header=BB4_12002 Depth=3
	v_cmp_lt_u64_e32 vcc, s[88:89], v[0:1]
	v_add_u32_e32 v2, 15, v14
	v_cndmask_b32_e64 v5, 0, 1, vcc
	v_lshrrev_b64 v[0:1], v5, v[0:1]
	v_cndmask_b32_e32 v2, v13, v2, vcc
; %bb.12613:                            ;   in Loop: Header=BB4_12002 Depth=3
	s_andn2_saveexec_b64 s[28:29], s[28:29]
; %bb.12614:                            ;   in Loop: Header=BB4_12002 Depth=3
	v_bfe_u32 v2, v0, 23, 1
; %bb.12615:                            ;   in Loop: Header=BB4_12002 Depth=3
	s_or_b64 exec, exec, s[28:29]
	v_lshrrev_b64 v[0:1], 21, v[0:1]
	v_cmp_gt_i32_e32 vcc, 32, v2
	v_cndmask_b32_e32 v1, 0, v1, vcc
	v_cndmask_b32_e32 v0, 3, v0, vcc
	v_cmp_eq_u64_e64 s[28:29], 0, v[0:1]
	v_min_i32_e32 v1, 31, v2
	v_lshlrev_b32_e32 v1, 2, v1
	v_cmp_eq_u32_e32 vcc, 0, v2
	v_and_b32_e32 v1, 0xfc, v1
	v_and_or_b32 v0, v0, 3, v1
	s_and_b64 s[28:29], vcc, s[28:29]
	v_cndmask_b32_e64 v0, v0, 0, s[28:29]
	v_or_b32_e32 v30, v0, v3
.LBB4_12616:                            ;   in Loop: Header=BB4_12002 Depth=3
	s_or_b64 exec, exec, s[36:37]
                                        ; implicit-def: $vgpr3
.LBB4_12617:                            ;   in Loop: Header=BB4_12002 Depth=3
	s_andn2_saveexec_b64 s[28:29], s[34:35]
; %bb.12618:                            ;   in Loop: Header=BB4_12002 Depth=3
	v_or_b32_e32 v30, 0x7b, v3
; %bb.12619:                            ;   in Loop: Header=BB4_12002 Depth=3
	s_or_b64 exec, exec, s[28:29]
                                        ; implicit-def: $vgpr2
                                        ; implicit-def: $vgpr0_vgpr1
.LBB4_12620:                            ;   in Loop: Header=BB4_12002 Depth=3
	s_andn2_saveexec_b64 s[28:29], s[30:31]
	s_cbranch_execz .LBB4_12626
; %bb.12621:                            ;   in Loop: Header=BB4_12002 Depth=3
	v_cmp_ne_u64_e32 vcc, 0, v[0:1]
                                        ; implicit-def: $vgpr30
	s_and_saveexec_b64 s[30:31], vcc
	s_xor_b64 vcc, exec, s[30:31]
; %bb.12622:                            ;   in Loop: Header=BB4_12002 Depth=3
	v_or_b32_sdwa v30, v2, s47 dst_sel:DWORD dst_unused:UNUSED_PAD src0_sel:BYTE_3 src1_sel:DWORD
                                        ; implicit-def: $vgpr2
; %bb.12623:                            ;   in Loop: Header=BB4_12002 Depth=3
	s_andn2_saveexec_b64 s[30:31], vcc
; %bb.12624:                            ;   in Loop: Header=BB4_12002 Depth=3
	v_cmp_lt_i32_e32 vcc, -1, v2
	v_bfrev_b32_e32 v0, 0.5
	v_cndmask_b32_e32 v30, v0, v52, vcc
; %bb.12625:                            ;   in Loop: Header=BB4_12002 Depth=3
	s_or_b64 exec, exec, s[30:31]
.LBB4_12626:                            ;   in Loop: Header=BB4_12002 Depth=3
	s_or_b64 exec, exec, s[28:29]
	v_lshrrev_b32_e32 v0, 16, v9
	v_cmp_ne_u16_sdwa vcc, v0, v17 src0_sel:BYTE_0 src1_sel:DWORD
	v_mov_b32_e32 v1, 0
	s_and_saveexec_b64 s[28:29], vcc
	s_cbranch_execz .LBB4_12634
; %bb.12627:                            ;   in Loop: Header=BB4_12002 Depth=3
	v_cmp_ne_u16_sdwa vcc, v0, s96 src0_sel:BYTE_0 src1_sel:DWORD
	v_bfrev_b32_e32 v1, 1
	s_and_saveexec_b64 s[30:31], vcc
	s_cbranch_execz .LBB4_12633
; %bb.12628:                            ;   in Loop: Header=BB4_12002 Depth=3
	v_and_b32_e32 v1, 0x7c0000, v9
	v_bfe_u32 v2, v9, 16, 2
	v_cmp_ne_u32_e32 vcc, s44, v1
                                        ; implicit-def: $vgpr1
	s_and_saveexec_b64 s[34:35], vcc
	s_xor_b64 s[34:35], exec, s[34:35]
	s_cbranch_execz .LBB4_12630
; %bb.12629:                            ;   in Loop: Header=BB4_12002 Depth=3
	v_ffbh_u32_e32 v1, v2
	v_min_u32_e32 v5, 32, v1
	v_subrev_u32_e32 v1, 29, v5
	v_lshlrev_b64 v[0:1], v1, v[0:1]
	v_bfe_u32 v3, v9, 18, 5
	v_and_b32_e32 v0, 3, v0
	v_cmp_eq_u32_e32 vcc, 0, v3
	v_sub_u32_e32 v1, 30, v5
	v_cndmask_b32_e32 v0, v2, v0, vcc
	v_lshlrev_b32_e32 v2, 8, v9
	v_cndmask_b32_e32 v1, v3, v1, vcc
	v_and_b32_e32 v2, 0x80000000, v2
	v_lshl_add_u32 v1, v1, 23, v2
	v_lshl_or_b32 v0, v0, 21, v1
	v_add_u32_e32 v1, 0x38000000, v0
                                        ; implicit-def: $vgpr2
                                        ; implicit-def: $vgpr0
.LBB4_12630:                            ;   in Loop: Header=BB4_12002 Depth=3
	s_andn2_saveexec_b64 s[34:35], s[34:35]
; %bb.12631:                            ;   in Loop: Header=BB4_12002 Depth=3
	v_mov_b32_e32 v1, -1
	v_cmp_gt_i16_sdwa vcc, sext(v0), v1 src0_sel:BYTE_0 src1_sel:DWORD
	v_mov_b32_e32 v0, 0xff800000
	v_mov_b32_e32 v1, 0x7f800000
	v_cndmask_b32_e32 v0, v0, v1, vcc
	v_cmp_eq_u32_e32 vcc, 0, v2
	v_mov_b32_e32 v1, 0x7f800001
	v_cndmask_b32_e32 v1, v1, v0, vcc
; %bb.12632:                            ;   in Loop: Header=BB4_12002 Depth=3
	s_or_b64 exec, exec, s[34:35]
.LBB4_12633:                            ;   in Loop: Header=BB4_12002 Depth=3
	s_or_b64 exec, exec, s[30:31]
.LBB4_12634:                            ;   in Loop: Header=BB4_12002 Depth=3
	s_or_b64 exec, exec, s[28:29]
	v_mul_f32_e32 v2, v12, v1
	v_and_b32_e32 v13, 0x7f800000, v2
	v_mov_b32_e32 v14, v17
	v_cmp_ne_u64_e32 vcc, s[76:77], v[13:14]
	v_and_b32_e32 v0, 0x7fffff, v2
	v_mov_b32_e32 v1, v17
                                        ; implicit-def: $vgpr34
	s_and_saveexec_b64 s[28:29], vcc
	s_xor_b64 s[30:31], exec, s[28:29]
	s_cbranch_execz .LBB4_12648
; %bb.12635:                            ;   in Loop: Header=BB4_12002 Depth=3
	v_and_b32_e32 v13, 0x7fffffff, v2
	v_mov_b32_e32 v14, v17
	v_cmp_gt_u64_e32 vcc, s[78:79], v[13:14]
	v_and_b32_sdwa v3, v2, s96 dst_sel:DWORD dst_unused:UNUSED_PAD src0_sel:BYTE_3 src1_sel:DWORD
                                        ; implicit-def: $vgpr34
	s_and_saveexec_b64 s[28:29], vcc
	s_xor_b64 s[34:35], exec, s[28:29]
	s_cbranch_execz .LBB4_12645
; %bb.12636:                            ;   in Loop: Header=BB4_12002 Depth=3
	v_mov_b32_e32 v34, 0
	v_cmp_ne_u32_e32 vcc, 0, v2
	s_and_saveexec_b64 s[36:37], vcc
	s_cbranch_execz .LBB4_12644
; %bb.12637:                            ;   in Loop: Header=BB4_12002 Depth=3
	v_bfe_u32 v13, v2, 23, 8
	v_cmp_gt_u32_e64 s[28:29], s46, v13
	v_sub_u32_e32 v2, 0x71, v13
	v_cmp_eq_u32_e32 vcc, 0, v13
	v_cndmask_b32_e64 v2, 0, v2, s[28:29]
	v_mov_b32_e32 v6, 0x70
	v_cndmask_b32_e32 v14, v2, v6, vcc
	v_add_u32_e32 v2, 21, v14
	v_or_b32_e32 v5, 0x800000, v0
	v_lshlrev_b64 v[15:16], v2, -1
	v_cndmask_b32_e32 v0, v5, v0, vcc
	v_add_u32_e32 v2, 20, v14
	v_bfi_b32 v15, v15, 0, v0
	v_lshlrev_b64 v[19:20], v2, 1
	v_lshrrev_b64 v[0:1], v14, v[0:1]
	v_bfi_b32 v16, v16, 0, 0
	v_cmp_eq_u64_e64 s[28:29], v[15:16], v[19:20]
	v_mov_b32_e32 v2, v1
	v_mov_b32_e32 v1, v0
	s_and_saveexec_b64 s[38:39], s[28:29]
; %bb.12638:                            ;   in Loop: Header=BB4_12002 Depth=3
	v_bfe_u32 v1, v0, 21, 1
	v_add_co_u32_e64 v1, s[28:29], v0, v1
	v_add_co_u32_e64 v1, s[28:29], -1, v1
; %bb.12639:                            ;   in Loop: Header=BB4_12002 Depth=3
	s_or_b64 exec, exec, s[38:39]
	v_add_u32_e32 v2, 0xffffff81, v13
	v_mov_b32_e32 v5, 0xffffff82
	v_cndmask_b32_e32 v2, v2, v5, vcc
	v_lshrrev_b32_e32 v5, 23, v0
	v_add3_u32 v14, v14, v2, v5
	v_add_u32_e32 v13, 14, v14
	v_and_b32_e32 v1, 0x1fffff, v1
	v_add_u32_e32 v0, v1, v0
	v_mov_b32_e32 v1, v17
	v_cmp_ne_u32_e32 vcc, 0, v13
                                        ; implicit-def: $vgpr2
	s_and_saveexec_b64 s[28:29], vcc
	s_xor_b64 s[28:29], exec, s[28:29]
; %bb.12640:                            ;   in Loop: Header=BB4_12002 Depth=3
	v_cmp_lt_u64_e32 vcc, s[88:89], v[0:1]
	v_add_u32_e32 v2, 15, v14
	v_cndmask_b32_e64 v5, 0, 1, vcc
	v_lshrrev_b64 v[0:1], v5, v[0:1]
	v_cndmask_b32_e32 v2, v13, v2, vcc
; %bb.12641:                            ;   in Loop: Header=BB4_12002 Depth=3
	s_andn2_saveexec_b64 s[28:29], s[28:29]
; %bb.12642:                            ;   in Loop: Header=BB4_12002 Depth=3
	v_bfe_u32 v2, v0, 23, 1
; %bb.12643:                            ;   in Loop: Header=BB4_12002 Depth=3
	s_or_b64 exec, exec, s[28:29]
	v_lshrrev_b64 v[0:1], 21, v[0:1]
	v_cmp_gt_i32_e32 vcc, 32, v2
	v_cndmask_b32_e32 v1, 0, v1, vcc
	v_cndmask_b32_e32 v0, 3, v0, vcc
	v_cmp_eq_u64_e64 s[28:29], 0, v[0:1]
	v_min_i32_e32 v1, 31, v2
	v_lshlrev_b32_e32 v1, 2, v1
	v_cmp_eq_u32_e32 vcc, 0, v2
	v_and_b32_e32 v1, 0xfc, v1
	v_and_or_b32 v0, v0, 3, v1
	s_and_b64 s[28:29], vcc, s[28:29]
	v_cndmask_b32_e64 v0, v0, 0, s[28:29]
	v_or_b32_e32 v34, v0, v3
.LBB4_12644:                            ;   in Loop: Header=BB4_12002 Depth=3
	s_or_b64 exec, exec, s[36:37]
                                        ; implicit-def: $vgpr3
.LBB4_12645:                            ;   in Loop: Header=BB4_12002 Depth=3
	s_andn2_saveexec_b64 s[28:29], s[34:35]
; %bb.12646:                            ;   in Loop: Header=BB4_12002 Depth=3
	v_or_b32_e32 v34, 0x7b, v3
; %bb.12647:                            ;   in Loop: Header=BB4_12002 Depth=3
	s_or_b64 exec, exec, s[28:29]
                                        ; implicit-def: $vgpr2
                                        ; implicit-def: $vgpr0_vgpr1
.LBB4_12648:                            ;   in Loop: Header=BB4_12002 Depth=3
	s_andn2_saveexec_b64 s[28:29], s[30:31]
	s_cbranch_execz .LBB4_12654
; %bb.12649:                            ;   in Loop: Header=BB4_12002 Depth=3
	v_cmp_ne_u64_e32 vcc, 0, v[0:1]
                                        ; implicit-def: $vgpr34
	s_and_saveexec_b64 s[30:31], vcc
	s_xor_b64 vcc, exec, s[30:31]
; %bb.12650:                            ;   in Loop: Header=BB4_12002 Depth=3
	v_or_b32_sdwa v34, v2, s47 dst_sel:DWORD dst_unused:UNUSED_PAD src0_sel:BYTE_3 src1_sel:DWORD
                                        ; implicit-def: $vgpr2
; %bb.12651:                            ;   in Loop: Header=BB4_12002 Depth=3
	s_andn2_saveexec_b64 s[30:31], vcc
; %bb.12652:                            ;   in Loop: Header=BB4_12002 Depth=3
	v_cmp_lt_i32_e32 vcc, -1, v2
	v_bfrev_b32_e32 v0, 0.5
	v_cndmask_b32_e32 v34, v0, v52, vcc
; %bb.12653:                            ;   in Loop: Header=BB4_12002 Depth=3
	s_or_b64 exec, exec, s[30:31]
.LBB4_12654:                            ;   in Loop: Header=BB4_12002 Depth=3
	s_or_b64 exec, exec, s[28:29]
	v_cmp_lt_u64_e32 vcc, s[56:57], v[8:9]
	v_mov_b32_e32 v1, 0
	s_and_saveexec_b64 s[28:29], vcc
	s_cbranch_execz .LBB4_12662
; %bb.12655:                            ;   in Loop: Header=BB4_12002 Depth=3
	v_lshrrev_b32_e32 v0, 24, v9
	v_cmp_ne_u32_e32 vcc, s96, v0
	v_bfrev_b32_e32 v1, 1
	s_and_saveexec_b64 s[30:31], vcc
	s_cbranch_execz .LBB4_12661
; %bb.12656:                            ;   in Loop: Header=BB4_12002 Depth=3
	v_and_b32_e32 v1, 0x7c000000, v9
	v_bfe_u32 v2, v9, 24, 2
	v_cmp_ne_u32_e32 vcc, s45, v1
                                        ; implicit-def: $vgpr1
	s_and_saveexec_b64 s[34:35], vcc
	s_xor_b64 s[34:35], exec, s[34:35]
	s_cbranch_execz .LBB4_12658
; %bb.12657:                            ;   in Loop: Header=BB4_12002 Depth=3
	v_ffbh_u32_e32 v1, v2
	v_min_u32_e32 v5, 32, v1
	v_subrev_u32_e32 v1, 29, v5
	v_lshlrev_b64 v[0:1], v1, v[0:1]
	v_bfe_u32 v3, v9, 26, 5
	v_sub_u32_e32 v1, 30, v5
	v_and_b32_e32 v0, 3, v0
	v_cmp_eq_u32_e32 vcc, 0, v3
	v_cndmask_b32_e32 v1, v3, v1, vcc
	v_cndmask_b32_e32 v0, v2, v0, vcc
	v_and_b32_e32 v2, 0x80000000, v9
	v_lshl_add_u32 v1, v1, 23, v2
	v_lshl_or_b32 v0, v0, 21, v1
	v_add_u32_e32 v1, 0x38000000, v0
                                        ; implicit-def: $vgpr2
.LBB4_12658:                            ;   in Loop: Header=BB4_12002 Depth=3
	s_andn2_saveexec_b64 s[34:35], s[34:35]
; %bb.12659:                            ;   in Loop: Header=BB4_12002 Depth=3
	v_cmp_lt_i64_e32 vcc, -1, v[8:9]
	v_mov_b32_e32 v0, 0xff800000
	v_mov_b32_e32 v1, 0x7f800000
	v_cndmask_b32_e32 v0, v0, v1, vcc
	v_cmp_eq_u32_e32 vcc, 0, v2
	v_mov_b32_e32 v1, 0x7f800001
	v_cndmask_b32_e32 v1, v1, v0, vcc
; %bb.12660:                            ;   in Loop: Header=BB4_12002 Depth=3
	s_or_b64 exec, exec, s[34:35]
.LBB4_12661:                            ;   in Loop: Header=BB4_12002 Depth=3
	s_or_b64 exec, exec, s[30:31]
.LBB4_12662:                            ;   in Loop: Header=BB4_12002 Depth=3
	s_or_b64 exec, exec, s[28:29]
	v_mul_f32_e32 v2, v12, v1
	v_and_b32_e32 v8, 0x7f800000, v2
	v_mov_b32_e32 v9, v17
	v_cmp_ne_u64_e32 vcc, s[76:77], v[8:9]
	v_and_b32_e32 v0, 0x7fffff, v2
	v_mov_b32_e32 v1, v17
                                        ; implicit-def: $vgpr38
	s_and_saveexec_b64 s[28:29], vcc
	s_xor_b64 s[30:31], exec, s[28:29]
	s_cbranch_execz .LBB4_12676
; %bb.12663:                            ;   in Loop: Header=BB4_12002 Depth=3
	v_and_b32_e32 v8, 0x7fffffff, v2
	v_mov_b32_e32 v9, v17
	v_cmp_gt_u64_e32 vcc, s[78:79], v[8:9]
	v_and_b32_sdwa v3, v2, s96 dst_sel:DWORD dst_unused:UNUSED_PAD src0_sel:BYTE_3 src1_sel:DWORD
                                        ; implicit-def: $vgpr38
	s_and_saveexec_b64 s[28:29], vcc
	s_xor_b64 s[34:35], exec, s[28:29]
	s_cbranch_execz .LBB4_12673
; %bb.12664:                            ;   in Loop: Header=BB4_12002 Depth=3
	v_mov_b32_e32 v38, 0
	v_cmp_ne_u32_e32 vcc, 0, v2
	s_and_saveexec_b64 s[36:37], vcc
	s_cbranch_execz .LBB4_12672
; %bb.12665:                            ;   in Loop: Header=BB4_12002 Depth=3
	v_bfe_u32 v8, v2, 23, 8
	v_cmp_gt_u32_e64 s[28:29], s46, v8
	v_sub_u32_e32 v2, 0x71, v8
	v_cmp_eq_u32_e32 vcc, 0, v8
	v_cndmask_b32_e64 v2, 0, v2, s[28:29]
	v_mov_b32_e32 v6, 0x70
	v_cndmask_b32_e32 v9, v2, v6, vcc
	v_add_u32_e32 v2, 21, v9
	v_or_b32_e32 v5, 0x800000, v0
	v_lshlrev_b64 v[13:14], v2, -1
	v_cndmask_b32_e32 v0, v5, v0, vcc
	v_add_u32_e32 v2, 20, v9
	v_bfi_b32 v13, v13, 0, v0
	v_lshlrev_b64 v[15:16], v2, 1
	v_lshrrev_b64 v[0:1], v9, v[0:1]
	v_bfi_b32 v14, v14, 0, 0
	v_cmp_eq_u64_e64 s[28:29], v[13:14], v[15:16]
	v_mov_b32_e32 v2, v1
	v_mov_b32_e32 v1, v0
	s_and_saveexec_b64 s[38:39], s[28:29]
; %bb.12666:                            ;   in Loop: Header=BB4_12002 Depth=3
	v_bfe_u32 v1, v0, 21, 1
	v_add_co_u32_e64 v1, s[28:29], v0, v1
	v_add_co_u32_e64 v1, s[28:29], -1, v1
; %bb.12667:                            ;   in Loop: Header=BB4_12002 Depth=3
	s_or_b64 exec, exec, s[38:39]
	v_add_u32_e32 v2, 0xffffff81, v8
	v_mov_b32_e32 v5, 0xffffff82
	v_cndmask_b32_e32 v2, v2, v5, vcc
	v_lshrrev_b32_e32 v5, 23, v0
	v_add3_u32 v9, v9, v2, v5
	v_add_u32_e32 v8, 14, v9
	v_and_b32_e32 v1, 0x1fffff, v1
	v_add_u32_e32 v0, v1, v0
	v_mov_b32_e32 v1, v17
	v_cmp_ne_u32_e32 vcc, 0, v8
                                        ; implicit-def: $vgpr2
	s_and_saveexec_b64 s[28:29], vcc
	s_xor_b64 s[28:29], exec, s[28:29]
; %bb.12668:                            ;   in Loop: Header=BB4_12002 Depth=3
	v_cmp_lt_u64_e32 vcc, s[88:89], v[0:1]
	v_add_u32_e32 v2, 15, v9
	v_cndmask_b32_e64 v5, 0, 1, vcc
	v_lshrrev_b64 v[0:1], v5, v[0:1]
	v_cndmask_b32_e32 v2, v8, v2, vcc
; %bb.12669:                            ;   in Loop: Header=BB4_12002 Depth=3
	s_andn2_saveexec_b64 s[28:29], s[28:29]
; %bb.12670:                            ;   in Loop: Header=BB4_12002 Depth=3
	v_bfe_u32 v2, v0, 23, 1
; %bb.12671:                            ;   in Loop: Header=BB4_12002 Depth=3
	s_or_b64 exec, exec, s[28:29]
	v_lshrrev_b64 v[0:1], 21, v[0:1]
	v_cmp_gt_i32_e32 vcc, 32, v2
	v_cndmask_b32_e32 v1, 0, v1, vcc
	v_cndmask_b32_e32 v0, 3, v0, vcc
	v_cmp_eq_u64_e64 s[28:29], 0, v[0:1]
	v_min_i32_e32 v1, 31, v2
	v_lshlrev_b32_e32 v1, 2, v1
	v_cmp_eq_u32_e32 vcc, 0, v2
	v_and_b32_e32 v1, 0xfc, v1
	v_and_or_b32 v0, v0, 3, v1
	s_and_b64 s[28:29], vcc, s[28:29]
	v_cndmask_b32_e64 v0, v0, 0, s[28:29]
	v_or_b32_e32 v38, v0, v3
.LBB4_12672:                            ;   in Loop: Header=BB4_12002 Depth=3
	s_or_b64 exec, exec, s[36:37]
                                        ; implicit-def: $vgpr3
.LBB4_12673:                            ;   in Loop: Header=BB4_12002 Depth=3
	s_andn2_saveexec_b64 s[28:29], s[34:35]
; %bb.12674:                            ;   in Loop: Header=BB4_12002 Depth=3
	v_or_b32_e32 v38, 0x7b, v3
; %bb.12675:                            ;   in Loop: Header=BB4_12002 Depth=3
	s_or_b64 exec, exec, s[28:29]
                                        ; implicit-def: $vgpr2
                                        ; implicit-def: $vgpr0_vgpr1
.LBB4_12676:                            ;   in Loop: Header=BB4_12002 Depth=3
	s_andn2_saveexec_b64 s[28:29], s[30:31]
	s_cbranch_execz .LBB4_12682
; %bb.12677:                            ;   in Loop: Header=BB4_12002 Depth=3
	v_cmp_ne_u64_e32 vcc, 0, v[0:1]
                                        ; implicit-def: $vgpr38
	s_and_saveexec_b64 s[30:31], vcc
	s_xor_b64 vcc, exec, s[30:31]
; %bb.12678:                            ;   in Loop: Header=BB4_12002 Depth=3
	v_or_b32_sdwa v38, v2, s47 dst_sel:DWORD dst_unused:UNUSED_PAD src0_sel:BYTE_3 src1_sel:DWORD
                                        ; implicit-def: $vgpr2
; %bb.12679:                            ;   in Loop: Header=BB4_12002 Depth=3
	s_andn2_saveexec_b64 s[30:31], vcc
; %bb.12680:                            ;   in Loop: Header=BB4_12002 Depth=3
	v_cmp_lt_i32_e32 vcc, -1, v2
	v_bfrev_b32_e32 v0, 0.5
	v_cndmask_b32_e32 v38, v0, v52, vcc
; %bb.12681:                            ;   in Loop: Header=BB4_12002 Depth=3
	s_or_b64 exec, exec, s[30:31]
.LBB4_12682:                            ;   in Loop: Header=BB4_12002 Depth=3
	s_or_b64 exec, exec, s[28:29]
	v_cmp_ne_u16_sdwa vcc, v10, v17 src0_sel:BYTE_0 src1_sel:DWORD
	v_mov_b32_e32 v0, 0
	s_and_saveexec_b64 s[28:29], vcc
	s_cbranch_execz .LBB4_12690
; %bb.12683:                            ;   in Loop: Header=BB4_12002 Depth=3
	v_cmp_ne_u16_sdwa vcc, sext(v10), s97 src0_sel:BYTE_0 src1_sel:DWORD
	v_bfrev_b32_e32 v0, 1
	s_and_saveexec_b64 s[30:31], vcc
	s_cbranch_execz .LBB4_12689
; %bb.12684:                            ;   in Loop: Header=BB4_12002 Depth=3
	v_and_b32_e32 v0, 0x7c, v10
	v_and_b32_e32 v1, 3, v10
	v_cmp_ne_u32_e32 vcc, s85, v0
                                        ; implicit-def: $vgpr0
	s_and_saveexec_b64 s[34:35], vcc
	s_xor_b64 s[34:35], exec, s[34:35]
	s_cbranch_execz .LBB4_12686
; %bb.12685:                            ;   in Loop: Header=BB4_12002 Depth=3
	v_ffbh_u32_e32 v2, v1
	v_min_u32_e32 v5, 32, v2
	v_subrev_u32_e32 v2, 29, v5
	v_lshlrev_b64 v[2:3], v2, v[10:11]
	v_bfe_u32 v0, v10, 2, 5
	v_and_b32_e32 v2, 3, v2
	v_cmp_eq_u32_e32 vcc, 0, v0
	v_sub_u32_e32 v3, 30, v5
	v_cndmask_b32_e32 v1, v1, v2, vcc
	v_lshlrev_b32_e32 v2, 24, v10
	v_cndmask_b32_e32 v0, v0, v3, vcc
	v_and_b32_e32 v2, 0x80000000, v2
	v_lshl_add_u32 v0, v0, 23, v2
	v_lshl_or_b32 v0, v1, 21, v0
	v_add_u32_e32 v0, 0x38000000, v0
                                        ; implicit-def: $vgpr1
.LBB4_12686:                            ;   in Loop: Header=BB4_12002 Depth=3
	s_andn2_saveexec_b64 s[34:35], s[34:35]
; %bb.12687:                            ;   in Loop: Header=BB4_12002 Depth=3
	v_mov_b32_e32 v0, -1
	v_cmp_gt_i16_sdwa vcc, sext(v10), v0 src0_sel:BYTE_0 src1_sel:DWORD
	v_mov_b32_e32 v0, 0xff800000
	v_mov_b32_e32 v2, 0x7f800000
	v_cndmask_b32_e32 v0, v0, v2, vcc
	v_cmp_eq_u32_e32 vcc, 0, v1
	v_mov_b32_e32 v1, 0x7f800001
	v_cndmask_b32_e32 v0, v1, v0, vcc
; %bb.12688:                            ;   in Loop: Header=BB4_12002 Depth=3
	s_or_b64 exec, exec, s[34:35]
.LBB4_12689:                            ;   in Loop: Header=BB4_12002 Depth=3
	s_or_b64 exec, exec, s[30:31]
.LBB4_12690:                            ;   in Loop: Header=BB4_12002 Depth=3
	s_or_b64 exec, exec, s[28:29]
	v_mul_f32_e32 v2, v12, v0
	v_and_b32_e32 v8, 0x7f800000, v2
	v_mov_b32_e32 v9, v17
	v_cmp_ne_u64_e32 vcc, s[76:77], v[8:9]
	v_and_b32_e32 v0, 0x7fffff, v2
	v_mov_b32_e32 v1, v17
                                        ; implicit-def: $vgpr19
	s_and_saveexec_b64 s[28:29], vcc
	s_xor_b64 s[30:31], exec, s[28:29]
	s_cbranch_execz .LBB4_12704
; %bb.12691:                            ;   in Loop: Header=BB4_12002 Depth=3
	v_and_b32_e32 v8, 0x7fffffff, v2
	v_mov_b32_e32 v9, v17
	v_cmp_gt_u64_e32 vcc, s[78:79], v[8:9]
	v_and_b32_sdwa v3, v2, s96 dst_sel:DWORD dst_unused:UNUSED_PAD src0_sel:BYTE_3 src1_sel:DWORD
                                        ; implicit-def: $vgpr19
	s_and_saveexec_b64 s[28:29], vcc
	s_xor_b64 s[34:35], exec, s[28:29]
	s_cbranch_execz .LBB4_12701
; %bb.12692:                            ;   in Loop: Header=BB4_12002 Depth=3
	v_mov_b32_e32 v19, 0
	v_cmp_ne_u32_e32 vcc, 0, v2
	s_and_saveexec_b64 s[36:37], vcc
	s_cbranch_execz .LBB4_12700
; %bb.12693:                            ;   in Loop: Header=BB4_12002 Depth=3
	v_bfe_u32 v8, v2, 23, 8
	v_cmp_gt_u32_e64 s[28:29], s46, v8
	v_sub_u32_e32 v2, 0x71, v8
	v_cmp_eq_u32_e32 vcc, 0, v8
	v_cndmask_b32_e64 v2, 0, v2, s[28:29]
	v_mov_b32_e32 v6, 0x70
	v_cndmask_b32_e32 v9, v2, v6, vcc
	v_add_u32_e32 v2, 21, v9
	v_or_b32_e32 v5, 0x800000, v0
	v_lshlrev_b64 v[13:14], v2, -1
	v_cndmask_b32_e32 v0, v5, v0, vcc
	v_add_u32_e32 v2, 20, v9
	v_bfi_b32 v13, v13, 0, v0
	v_lshlrev_b64 v[15:16], v2, 1
	v_lshrrev_b64 v[0:1], v9, v[0:1]
	v_bfi_b32 v14, v14, 0, 0
	v_cmp_eq_u64_e64 s[28:29], v[13:14], v[15:16]
	v_mov_b32_e32 v2, v1
	v_mov_b32_e32 v1, v0
	s_and_saveexec_b64 s[38:39], s[28:29]
; %bb.12694:                            ;   in Loop: Header=BB4_12002 Depth=3
	v_bfe_u32 v1, v0, 21, 1
	v_add_co_u32_e64 v1, s[28:29], v0, v1
	v_add_co_u32_e64 v1, s[28:29], -1, v1
; %bb.12695:                            ;   in Loop: Header=BB4_12002 Depth=3
	s_or_b64 exec, exec, s[38:39]
	v_add_u32_e32 v2, 0xffffff81, v8
	v_mov_b32_e32 v5, 0xffffff82
	v_cndmask_b32_e32 v2, v2, v5, vcc
	v_lshrrev_b32_e32 v5, 23, v0
	v_add3_u32 v9, v9, v2, v5
	v_add_u32_e32 v8, 14, v9
	v_and_b32_e32 v1, 0x1fffff, v1
	v_add_u32_e32 v0, v1, v0
	v_mov_b32_e32 v1, v17
	v_cmp_ne_u32_e32 vcc, 0, v8
                                        ; implicit-def: $vgpr2
	s_and_saveexec_b64 s[28:29], vcc
	s_xor_b64 s[28:29], exec, s[28:29]
; %bb.12696:                            ;   in Loop: Header=BB4_12002 Depth=3
	v_cmp_lt_u64_e32 vcc, s[88:89], v[0:1]
	v_add_u32_e32 v2, 15, v9
	v_cndmask_b32_e64 v5, 0, 1, vcc
	v_lshrrev_b64 v[0:1], v5, v[0:1]
	v_cndmask_b32_e32 v2, v8, v2, vcc
; %bb.12697:                            ;   in Loop: Header=BB4_12002 Depth=3
	s_andn2_saveexec_b64 s[28:29], s[28:29]
; %bb.12698:                            ;   in Loop: Header=BB4_12002 Depth=3
	v_bfe_u32 v2, v0, 23, 1
; %bb.12699:                            ;   in Loop: Header=BB4_12002 Depth=3
	s_or_b64 exec, exec, s[28:29]
	v_lshrrev_b64 v[0:1], 21, v[0:1]
	v_cmp_gt_i32_e32 vcc, 32, v2
	v_cndmask_b32_e32 v1, 0, v1, vcc
	v_cndmask_b32_e32 v0, 3, v0, vcc
	v_cmp_eq_u64_e64 s[28:29], 0, v[0:1]
	v_min_i32_e32 v1, 31, v2
	v_lshlrev_b32_e32 v1, 2, v1
	v_cmp_eq_u32_e32 vcc, 0, v2
	v_and_b32_e32 v1, 0xfc, v1
	v_and_or_b32 v0, v0, 3, v1
	s_and_b64 s[28:29], vcc, s[28:29]
	v_cndmask_b32_e64 v0, v0, 0, s[28:29]
	v_or_b32_e32 v19, v0, v3
.LBB4_12700:                            ;   in Loop: Header=BB4_12002 Depth=3
	s_or_b64 exec, exec, s[36:37]
                                        ; implicit-def: $vgpr3
.LBB4_12701:                            ;   in Loop: Header=BB4_12002 Depth=3
	s_andn2_saveexec_b64 s[28:29], s[34:35]
; %bb.12702:                            ;   in Loop: Header=BB4_12002 Depth=3
	v_or_b32_e32 v19, 0x7b, v3
; %bb.12703:                            ;   in Loop: Header=BB4_12002 Depth=3
	s_or_b64 exec, exec, s[28:29]
                                        ; implicit-def: $vgpr2
                                        ; implicit-def: $vgpr0_vgpr1
.LBB4_12704:                            ;   in Loop: Header=BB4_12002 Depth=3
	s_andn2_saveexec_b64 s[28:29], s[30:31]
	s_cbranch_execz .LBB4_12710
; %bb.12705:                            ;   in Loop: Header=BB4_12002 Depth=3
	v_cmp_ne_u64_e32 vcc, 0, v[0:1]
                                        ; implicit-def: $vgpr19
	s_and_saveexec_b64 s[30:31], vcc
	s_xor_b64 vcc, exec, s[30:31]
; %bb.12706:                            ;   in Loop: Header=BB4_12002 Depth=3
	v_or_b32_sdwa v19, v2, s47 dst_sel:DWORD dst_unused:UNUSED_PAD src0_sel:BYTE_3 src1_sel:DWORD
                                        ; implicit-def: $vgpr2
; %bb.12707:                            ;   in Loop: Header=BB4_12002 Depth=3
	s_andn2_saveexec_b64 s[30:31], vcc
; %bb.12708:                            ;   in Loop: Header=BB4_12002 Depth=3
	v_cmp_lt_i32_e32 vcc, -1, v2
	v_bfrev_b32_e32 v0, 0.5
	v_cndmask_b32_e32 v19, v0, v52, vcc
; %bb.12709:                            ;   in Loop: Header=BB4_12002 Depth=3
	s_or_b64 exec, exec, s[30:31]
.LBB4_12710:                            ;   in Loop: Header=BB4_12002 Depth=3
	s_or_b64 exec, exec, s[28:29]
	v_lshrrev_b16_e32 v0, 8, v10
	v_cmp_ne_u16_e32 vcc, 0, v0
	v_mov_b32_e32 v1, 0
	s_and_saveexec_b64 s[28:29], vcc
	s_cbranch_execz .LBB4_12718
; %bb.12711:                            ;   in Loop: Header=BB4_12002 Depth=3
	v_cmp_ne_u16_e32 vcc, s96, v0
	v_bfrev_b32_e32 v1, 1
	s_and_saveexec_b64 s[30:31], vcc
	s_cbranch_execz .LBB4_12717
; %bb.12712:                            ;   in Loop: Header=BB4_12002 Depth=3
	v_and_b32_e32 v1, 0x7c, v0
	v_and_b32_e32 v2, 3, v0
	v_cmp_ne_u32_e32 vcc, s85, v1
                                        ; implicit-def: $vgpr1
	s_and_saveexec_b64 s[34:35], vcc
	s_xor_b64 s[34:35], exec, s[34:35]
	s_cbranch_execz .LBB4_12714
; %bb.12713:                            ;   in Loop: Header=BB4_12002 Depth=3
	v_ffbh_u32_e32 v5, v2
	v_min_u32_e32 v5, 32, v5
	v_mov_b32_e32 v1, v17
	v_subrev_u32_e32 v6, 29, v5
	v_bfe_u32 v3, v0, 2, 5
	v_lshlrev_b64 v[0:1], v6, v[0:1]
	v_cmp_eq_u32_e32 vcc, 0, v3
	v_and_b32_e32 v0, 3, v0
	v_sub_u32_e32 v1, 30, v5
	v_cndmask_b32_e32 v0, v2, v0, vcc
	v_lshlrev_b32_e32 v2, 16, v10
	v_cndmask_b32_e32 v1, v3, v1, vcc
	v_and_b32_e32 v2, 0x80000000, v2
	v_lshl_add_u32 v1, v1, 23, v2
	v_lshl_or_b32 v0, v0, 21, v1
	v_add_u32_e32 v1, 0x38000000, v0
                                        ; implicit-def: $vgpr2
.LBB4_12714:                            ;   in Loop: Header=BB4_12002 Depth=3
	s_andn2_saveexec_b64 s[34:35], s[34:35]
; %bb.12715:                            ;   in Loop: Header=BB4_12002 Depth=3
	v_cmp_lt_i16_e32 vcc, -1, v10
	v_mov_b32_e32 v0, 0xff800000
	v_mov_b32_e32 v1, 0x7f800000
	v_cndmask_b32_e32 v0, v0, v1, vcc
	v_cmp_eq_u32_e32 vcc, 0, v2
	v_mov_b32_e32 v1, 0x7f800001
	v_cndmask_b32_e32 v1, v1, v0, vcc
; %bb.12716:                            ;   in Loop: Header=BB4_12002 Depth=3
	s_or_b64 exec, exec, s[34:35]
.LBB4_12717:                            ;   in Loop: Header=BB4_12002 Depth=3
	s_or_b64 exec, exec, s[30:31]
.LBB4_12718:                            ;   in Loop: Header=BB4_12002 Depth=3
	s_or_b64 exec, exec, s[28:29]
	v_mul_f32_e32 v2, v12, v1
	v_and_b32_e32 v8, 0x7f800000, v2
	v_mov_b32_e32 v9, v17
	v_cmp_ne_u64_e32 vcc, s[76:77], v[8:9]
	v_and_b32_e32 v0, 0x7fffff, v2
	v_mov_b32_e32 v1, v17
                                        ; implicit-def: $vgpr24
	s_and_saveexec_b64 s[28:29], vcc
	s_xor_b64 s[30:31], exec, s[28:29]
	s_cbranch_execz .LBB4_12732
; %bb.12719:                            ;   in Loop: Header=BB4_12002 Depth=3
	v_and_b32_e32 v8, 0x7fffffff, v2
	v_mov_b32_e32 v9, v17
	v_cmp_gt_u64_e32 vcc, s[78:79], v[8:9]
	v_and_b32_sdwa v3, v2, s96 dst_sel:DWORD dst_unused:UNUSED_PAD src0_sel:BYTE_3 src1_sel:DWORD
                                        ; implicit-def: $vgpr24
	s_and_saveexec_b64 s[28:29], vcc
	s_xor_b64 s[34:35], exec, s[28:29]
	s_cbranch_execz .LBB4_12729
; %bb.12720:                            ;   in Loop: Header=BB4_12002 Depth=3
	v_mov_b32_e32 v24, 0
	v_cmp_ne_u32_e32 vcc, 0, v2
	s_and_saveexec_b64 s[36:37], vcc
	s_cbranch_execz .LBB4_12728
; %bb.12721:                            ;   in Loop: Header=BB4_12002 Depth=3
	v_bfe_u32 v8, v2, 23, 8
	v_cmp_gt_u32_e64 s[28:29], s46, v8
	v_sub_u32_e32 v2, 0x71, v8
	v_cmp_eq_u32_e32 vcc, 0, v8
	v_cndmask_b32_e64 v2, 0, v2, s[28:29]
	v_mov_b32_e32 v6, 0x70
	v_cndmask_b32_e32 v9, v2, v6, vcc
	v_add_u32_e32 v2, 21, v9
	v_or_b32_e32 v5, 0x800000, v0
	v_lshlrev_b64 v[13:14], v2, -1
	v_cndmask_b32_e32 v0, v5, v0, vcc
	v_add_u32_e32 v2, 20, v9
	v_bfi_b32 v13, v13, 0, v0
	v_lshlrev_b64 v[15:16], v2, 1
	v_lshrrev_b64 v[0:1], v9, v[0:1]
	v_bfi_b32 v14, v14, 0, 0
	v_cmp_eq_u64_e64 s[28:29], v[13:14], v[15:16]
	v_mov_b32_e32 v2, v1
	v_mov_b32_e32 v1, v0
	s_and_saveexec_b64 s[38:39], s[28:29]
; %bb.12722:                            ;   in Loop: Header=BB4_12002 Depth=3
	v_bfe_u32 v1, v0, 21, 1
	v_add_co_u32_e64 v1, s[28:29], v0, v1
	v_add_co_u32_e64 v1, s[28:29], -1, v1
; %bb.12723:                            ;   in Loop: Header=BB4_12002 Depth=3
	s_or_b64 exec, exec, s[38:39]
	v_add_u32_e32 v2, 0xffffff81, v8
	v_mov_b32_e32 v5, 0xffffff82
	v_cndmask_b32_e32 v2, v2, v5, vcc
	v_lshrrev_b32_e32 v5, 23, v0
	v_add3_u32 v9, v9, v2, v5
	v_add_u32_e32 v8, 14, v9
	v_and_b32_e32 v1, 0x1fffff, v1
	v_add_u32_e32 v0, v1, v0
	v_mov_b32_e32 v1, v17
	v_cmp_ne_u32_e32 vcc, 0, v8
                                        ; implicit-def: $vgpr2
	s_and_saveexec_b64 s[28:29], vcc
	s_xor_b64 s[28:29], exec, s[28:29]
; %bb.12724:                            ;   in Loop: Header=BB4_12002 Depth=3
	v_cmp_lt_u64_e32 vcc, s[88:89], v[0:1]
	v_add_u32_e32 v2, 15, v9
	v_cndmask_b32_e64 v5, 0, 1, vcc
	v_lshrrev_b64 v[0:1], v5, v[0:1]
	v_cndmask_b32_e32 v2, v8, v2, vcc
; %bb.12725:                            ;   in Loop: Header=BB4_12002 Depth=3
	s_andn2_saveexec_b64 s[28:29], s[28:29]
; %bb.12726:                            ;   in Loop: Header=BB4_12002 Depth=3
	v_bfe_u32 v2, v0, 23, 1
; %bb.12727:                            ;   in Loop: Header=BB4_12002 Depth=3
	s_or_b64 exec, exec, s[28:29]
	v_lshrrev_b64 v[0:1], 21, v[0:1]
	v_cmp_gt_i32_e32 vcc, 32, v2
	v_cndmask_b32_e32 v1, 0, v1, vcc
	v_cndmask_b32_e32 v0, 3, v0, vcc
	v_cmp_eq_u64_e64 s[28:29], 0, v[0:1]
	v_min_i32_e32 v1, 31, v2
	v_lshlrev_b32_e32 v1, 2, v1
	v_cmp_eq_u32_e32 vcc, 0, v2
	v_and_b32_e32 v1, 0xfc, v1
	v_and_or_b32 v0, v0, 3, v1
	s_and_b64 s[28:29], vcc, s[28:29]
	v_cndmask_b32_e64 v0, v0, 0, s[28:29]
	v_or_b32_e32 v24, v0, v3
.LBB4_12728:                            ;   in Loop: Header=BB4_12002 Depth=3
	s_or_b64 exec, exec, s[36:37]
                                        ; implicit-def: $vgpr3
.LBB4_12729:                            ;   in Loop: Header=BB4_12002 Depth=3
	s_andn2_saveexec_b64 s[28:29], s[34:35]
; %bb.12730:                            ;   in Loop: Header=BB4_12002 Depth=3
	v_or_b32_e32 v24, 0x7b, v3
; %bb.12731:                            ;   in Loop: Header=BB4_12002 Depth=3
	s_or_b64 exec, exec, s[28:29]
                                        ; implicit-def: $vgpr2
                                        ; implicit-def: $vgpr0_vgpr1
.LBB4_12732:                            ;   in Loop: Header=BB4_12002 Depth=3
	s_andn2_saveexec_b64 s[28:29], s[30:31]
	s_cbranch_execz .LBB4_12738
; %bb.12733:                            ;   in Loop: Header=BB4_12002 Depth=3
	v_cmp_ne_u64_e32 vcc, 0, v[0:1]
                                        ; implicit-def: $vgpr24
	s_and_saveexec_b64 s[30:31], vcc
	s_xor_b64 vcc, exec, s[30:31]
; %bb.12734:                            ;   in Loop: Header=BB4_12002 Depth=3
	v_or_b32_sdwa v24, v2, s47 dst_sel:DWORD dst_unused:UNUSED_PAD src0_sel:BYTE_3 src1_sel:DWORD
                                        ; implicit-def: $vgpr2
; %bb.12735:                            ;   in Loop: Header=BB4_12002 Depth=3
	s_andn2_saveexec_b64 s[30:31], vcc
; %bb.12736:                            ;   in Loop: Header=BB4_12002 Depth=3
	v_cmp_lt_i32_e32 vcc, -1, v2
	v_bfrev_b32_e32 v0, 0.5
	v_cndmask_b32_e32 v24, v0, v52, vcc
; %bb.12737:                            ;   in Loop: Header=BB4_12002 Depth=3
	s_or_b64 exec, exec, s[30:31]
.LBB4_12738:                            ;   in Loop: Header=BB4_12002 Depth=3
	s_or_b64 exec, exec, s[28:29]
	v_lshrrev_b32_e32 v0, 16, v10
	v_cmp_ne_u16_sdwa vcc, v0, v17 src0_sel:BYTE_0 src1_sel:DWORD
	v_mov_b32_e32 v1, 0
	s_and_saveexec_b64 s[28:29], vcc
	s_cbranch_execz .LBB4_12746
; %bb.12739:                            ;   in Loop: Header=BB4_12002 Depth=3
	v_cmp_ne_u16_sdwa vcc, v0, s96 src0_sel:BYTE_0 src1_sel:DWORD
	v_bfrev_b32_e32 v1, 1
	s_and_saveexec_b64 s[30:31], vcc
	s_cbranch_execz .LBB4_12745
; %bb.12740:                            ;   in Loop: Header=BB4_12002 Depth=3
	v_and_b32_e32 v1, 0x7c0000, v10
	v_bfe_u32 v2, v10, 16, 2
	v_cmp_ne_u32_e32 vcc, s44, v1
                                        ; implicit-def: $vgpr1
	s_and_saveexec_b64 s[34:35], vcc
	s_xor_b64 s[34:35], exec, s[34:35]
	s_cbranch_execz .LBB4_12742
; %bb.12741:                            ;   in Loop: Header=BB4_12002 Depth=3
	v_ffbh_u32_e32 v1, v2
	v_min_u32_e32 v5, 32, v1
	v_subrev_u32_e32 v1, 29, v5
	v_lshlrev_b64 v[0:1], v1, v[0:1]
	v_bfe_u32 v3, v10, 18, 5
	v_and_b32_e32 v0, 3, v0
	v_cmp_eq_u32_e32 vcc, 0, v3
	v_sub_u32_e32 v1, 30, v5
	v_cndmask_b32_e32 v0, v2, v0, vcc
	v_lshlrev_b32_e32 v2, 8, v10
	v_cndmask_b32_e32 v1, v3, v1, vcc
	v_and_b32_e32 v2, 0x80000000, v2
	v_lshl_add_u32 v1, v1, 23, v2
	v_lshl_or_b32 v0, v0, 21, v1
	v_add_u32_e32 v1, 0x38000000, v0
                                        ; implicit-def: $vgpr2
                                        ; implicit-def: $vgpr0
.LBB4_12742:                            ;   in Loop: Header=BB4_12002 Depth=3
	s_andn2_saveexec_b64 s[34:35], s[34:35]
; %bb.12743:                            ;   in Loop: Header=BB4_12002 Depth=3
	v_mov_b32_e32 v1, -1
	v_cmp_gt_i16_sdwa vcc, sext(v0), v1 src0_sel:BYTE_0 src1_sel:DWORD
	v_mov_b32_e32 v0, 0xff800000
	v_mov_b32_e32 v1, 0x7f800000
	v_cndmask_b32_e32 v0, v0, v1, vcc
	v_cmp_eq_u32_e32 vcc, 0, v2
	v_mov_b32_e32 v1, 0x7f800001
	v_cndmask_b32_e32 v1, v1, v0, vcc
; %bb.12744:                            ;   in Loop: Header=BB4_12002 Depth=3
	s_or_b64 exec, exec, s[34:35]
.LBB4_12745:                            ;   in Loop: Header=BB4_12002 Depth=3
	s_or_b64 exec, exec, s[30:31]
.LBB4_12746:                            ;   in Loop: Header=BB4_12002 Depth=3
	s_or_b64 exec, exec, s[28:29]
	v_mul_f32_e32 v2, v12, v1
	v_and_b32_e32 v8, 0x7f800000, v2
	v_mov_b32_e32 v9, v17
	v_cmp_ne_u64_e32 vcc, s[76:77], v[8:9]
	v_and_b32_e32 v0, 0x7fffff, v2
	v_mov_b32_e32 v1, v17
                                        ; implicit-def: $vgpr26
	s_and_saveexec_b64 s[28:29], vcc
	s_xor_b64 s[30:31], exec, s[28:29]
	s_cbranch_execz .LBB4_12760
; %bb.12747:                            ;   in Loop: Header=BB4_12002 Depth=3
	v_and_b32_e32 v8, 0x7fffffff, v2
	v_mov_b32_e32 v9, v17
	v_cmp_gt_u64_e32 vcc, s[78:79], v[8:9]
	v_and_b32_sdwa v3, v2, s96 dst_sel:DWORD dst_unused:UNUSED_PAD src0_sel:BYTE_3 src1_sel:DWORD
                                        ; implicit-def: $vgpr26
	s_and_saveexec_b64 s[28:29], vcc
	s_xor_b64 s[34:35], exec, s[28:29]
	s_cbranch_execz .LBB4_12757
; %bb.12748:                            ;   in Loop: Header=BB4_12002 Depth=3
	v_mov_b32_e32 v26, 0
	v_cmp_ne_u32_e32 vcc, 0, v2
	s_and_saveexec_b64 s[36:37], vcc
	s_cbranch_execz .LBB4_12756
; %bb.12749:                            ;   in Loop: Header=BB4_12002 Depth=3
	v_bfe_u32 v8, v2, 23, 8
	v_cmp_gt_u32_e64 s[28:29], s46, v8
	v_sub_u32_e32 v2, 0x71, v8
	v_cmp_eq_u32_e32 vcc, 0, v8
	v_cndmask_b32_e64 v2, 0, v2, s[28:29]
	v_mov_b32_e32 v6, 0x70
	v_cndmask_b32_e32 v9, v2, v6, vcc
	v_add_u32_e32 v2, 21, v9
	v_or_b32_e32 v5, 0x800000, v0
	v_lshlrev_b64 v[13:14], v2, -1
	v_cndmask_b32_e32 v0, v5, v0, vcc
	v_add_u32_e32 v2, 20, v9
	v_bfi_b32 v13, v13, 0, v0
	v_lshlrev_b64 v[15:16], v2, 1
	v_lshrrev_b64 v[0:1], v9, v[0:1]
	v_bfi_b32 v14, v14, 0, 0
	v_cmp_eq_u64_e64 s[28:29], v[13:14], v[15:16]
	v_mov_b32_e32 v2, v1
	v_mov_b32_e32 v1, v0
	s_and_saveexec_b64 s[38:39], s[28:29]
; %bb.12750:                            ;   in Loop: Header=BB4_12002 Depth=3
	v_bfe_u32 v1, v0, 21, 1
	v_add_co_u32_e64 v1, s[28:29], v0, v1
	v_add_co_u32_e64 v1, s[28:29], -1, v1
; %bb.12751:                            ;   in Loop: Header=BB4_12002 Depth=3
	s_or_b64 exec, exec, s[38:39]
	v_add_u32_e32 v2, 0xffffff81, v8
	v_mov_b32_e32 v5, 0xffffff82
	v_cndmask_b32_e32 v2, v2, v5, vcc
	v_lshrrev_b32_e32 v5, 23, v0
	v_add3_u32 v9, v9, v2, v5
	v_add_u32_e32 v8, 14, v9
	v_and_b32_e32 v1, 0x1fffff, v1
	v_add_u32_e32 v0, v1, v0
	v_mov_b32_e32 v1, v17
	v_cmp_ne_u32_e32 vcc, 0, v8
                                        ; implicit-def: $vgpr2
	s_and_saveexec_b64 s[28:29], vcc
	s_xor_b64 s[28:29], exec, s[28:29]
; %bb.12752:                            ;   in Loop: Header=BB4_12002 Depth=3
	v_cmp_lt_u64_e32 vcc, s[88:89], v[0:1]
	v_add_u32_e32 v2, 15, v9
	v_cndmask_b32_e64 v5, 0, 1, vcc
	v_lshrrev_b64 v[0:1], v5, v[0:1]
	v_cndmask_b32_e32 v2, v8, v2, vcc
; %bb.12753:                            ;   in Loop: Header=BB4_12002 Depth=3
	s_andn2_saveexec_b64 s[28:29], s[28:29]
; %bb.12754:                            ;   in Loop: Header=BB4_12002 Depth=3
	v_bfe_u32 v2, v0, 23, 1
; %bb.12755:                            ;   in Loop: Header=BB4_12002 Depth=3
	s_or_b64 exec, exec, s[28:29]
	v_lshrrev_b64 v[0:1], 21, v[0:1]
	v_cmp_gt_i32_e32 vcc, 32, v2
	v_cndmask_b32_e32 v1, 0, v1, vcc
	v_cndmask_b32_e32 v0, 3, v0, vcc
	v_cmp_eq_u64_e64 s[28:29], 0, v[0:1]
	v_min_i32_e32 v1, 31, v2
	v_lshlrev_b32_e32 v1, 2, v1
	v_cmp_eq_u32_e32 vcc, 0, v2
	v_and_b32_e32 v1, 0xfc, v1
	v_and_or_b32 v0, v0, 3, v1
	s_and_b64 s[28:29], vcc, s[28:29]
	v_cndmask_b32_e64 v0, v0, 0, s[28:29]
	v_or_b32_e32 v26, v0, v3
.LBB4_12756:                            ;   in Loop: Header=BB4_12002 Depth=3
	s_or_b64 exec, exec, s[36:37]
                                        ; implicit-def: $vgpr3
.LBB4_12757:                            ;   in Loop: Header=BB4_12002 Depth=3
	s_andn2_saveexec_b64 s[28:29], s[34:35]
; %bb.12758:                            ;   in Loop: Header=BB4_12002 Depth=3
	v_or_b32_e32 v26, 0x7b, v3
; %bb.12759:                            ;   in Loop: Header=BB4_12002 Depth=3
	s_or_b64 exec, exec, s[28:29]
                                        ; implicit-def: $vgpr2
                                        ; implicit-def: $vgpr0_vgpr1
.LBB4_12760:                            ;   in Loop: Header=BB4_12002 Depth=3
	s_andn2_saveexec_b64 s[28:29], s[30:31]
	s_cbranch_execz .LBB4_12766
; %bb.12761:                            ;   in Loop: Header=BB4_12002 Depth=3
	v_cmp_ne_u64_e32 vcc, 0, v[0:1]
                                        ; implicit-def: $vgpr26
	s_and_saveexec_b64 s[30:31], vcc
	s_xor_b64 vcc, exec, s[30:31]
; %bb.12762:                            ;   in Loop: Header=BB4_12002 Depth=3
	v_or_b32_sdwa v26, v2, s47 dst_sel:DWORD dst_unused:UNUSED_PAD src0_sel:BYTE_3 src1_sel:DWORD
                                        ; implicit-def: $vgpr2
; %bb.12763:                            ;   in Loop: Header=BB4_12002 Depth=3
	s_andn2_saveexec_b64 s[30:31], vcc
; %bb.12764:                            ;   in Loop: Header=BB4_12002 Depth=3
	v_cmp_lt_i32_e32 vcc, -1, v2
	v_bfrev_b32_e32 v0, 0.5
	v_cndmask_b32_e32 v26, v0, v52, vcc
; %bb.12765:                            ;   in Loop: Header=BB4_12002 Depth=3
	s_or_b64 exec, exec, s[30:31]
.LBB4_12766:                            ;   in Loop: Header=BB4_12002 Depth=3
	s_or_b64 exec, exec, s[28:29]
	v_cmp_lt_u32_e32 vcc, s57, v10
	v_mov_b32_e32 v1, 0
	s_and_saveexec_b64 s[28:29], vcc
	s_cbranch_execz .LBB4_12774
; %bb.12767:                            ;   in Loop: Header=BB4_12002 Depth=3
	v_lshrrev_b32_e32 v0, 24, v10
	v_cmp_ne_u32_e32 vcc, s96, v0
	v_bfrev_b32_e32 v1, 1
	s_and_saveexec_b64 s[30:31], vcc
	s_cbranch_execz .LBB4_12773
; %bb.12768:                            ;   in Loop: Header=BB4_12002 Depth=3
	v_and_b32_e32 v1, 0x7c000000, v10
	v_bfe_u32 v2, v10, 24, 2
	v_cmp_ne_u32_e32 vcc, s45, v1
                                        ; implicit-def: $vgpr1
	s_and_saveexec_b64 s[34:35], vcc
	s_xor_b64 s[34:35], exec, s[34:35]
	s_cbranch_execz .LBB4_12770
; %bb.12769:                            ;   in Loop: Header=BB4_12002 Depth=3
	v_ffbh_u32_e32 v1, v2
	v_min_u32_e32 v5, 32, v1
	v_subrev_u32_e32 v1, 29, v5
	v_lshlrev_b64 v[0:1], v1, v[0:1]
	v_bfe_u32 v3, v10, 26, 5
	v_sub_u32_e32 v1, 30, v5
	v_and_b32_e32 v0, 3, v0
	v_cmp_eq_u32_e32 vcc, 0, v3
	v_cndmask_b32_e32 v1, v3, v1, vcc
	v_cndmask_b32_e32 v0, v2, v0, vcc
	v_and_b32_e32 v2, 0x80000000, v10
	v_lshl_add_u32 v1, v1, 23, v2
	v_lshl_or_b32 v0, v0, 21, v1
	v_add_u32_e32 v1, 0x38000000, v0
                                        ; implicit-def: $vgpr2
.LBB4_12770:                            ;   in Loop: Header=BB4_12002 Depth=3
	s_andn2_saveexec_b64 s[34:35], s[34:35]
; %bb.12771:                            ;   in Loop: Header=BB4_12002 Depth=3
	v_cmp_lt_i32_e32 vcc, -1, v10
	v_mov_b32_e32 v0, 0xff800000
	v_mov_b32_e32 v1, 0x7f800000
	v_cndmask_b32_e32 v0, v0, v1, vcc
	v_cmp_eq_u32_e32 vcc, 0, v2
	v_mov_b32_e32 v1, 0x7f800001
	v_cndmask_b32_e32 v1, v1, v0, vcc
; %bb.12772:                            ;   in Loop: Header=BB4_12002 Depth=3
	s_or_b64 exec, exec, s[34:35]
.LBB4_12773:                            ;   in Loop: Header=BB4_12002 Depth=3
	s_or_b64 exec, exec, s[30:31]
.LBB4_12774:                            ;   in Loop: Header=BB4_12002 Depth=3
	s_or_b64 exec, exec, s[28:29]
	v_mul_f32_e32 v2, v12, v1
	v_and_b32_e32 v8, 0x7f800000, v2
	v_mov_b32_e32 v9, v17
	v_cmp_ne_u64_e32 vcc, s[76:77], v[8:9]
	v_and_b32_e32 v0, 0x7fffff, v2
	v_mov_b32_e32 v1, v17
                                        ; implicit-def: $vgpr33
	s_and_saveexec_b64 s[28:29], vcc
	s_xor_b64 s[30:31], exec, s[28:29]
	s_cbranch_execz .LBB4_12788
; %bb.12775:                            ;   in Loop: Header=BB4_12002 Depth=3
	v_and_b32_e32 v8, 0x7fffffff, v2
	v_mov_b32_e32 v9, v17
	v_cmp_gt_u64_e32 vcc, s[78:79], v[8:9]
	v_and_b32_sdwa v3, v2, s96 dst_sel:DWORD dst_unused:UNUSED_PAD src0_sel:BYTE_3 src1_sel:DWORD
                                        ; implicit-def: $vgpr33
	s_and_saveexec_b64 s[28:29], vcc
	s_xor_b64 s[34:35], exec, s[28:29]
	s_cbranch_execz .LBB4_12785
; %bb.12776:                            ;   in Loop: Header=BB4_12002 Depth=3
	v_mov_b32_e32 v33, 0
	v_cmp_ne_u32_e32 vcc, 0, v2
	s_and_saveexec_b64 s[36:37], vcc
	s_cbranch_execz .LBB4_12784
; %bb.12777:                            ;   in Loop: Header=BB4_12002 Depth=3
	v_bfe_u32 v8, v2, 23, 8
	v_cmp_gt_u32_e64 s[28:29], s46, v8
	v_sub_u32_e32 v2, 0x71, v8
	v_cmp_eq_u32_e32 vcc, 0, v8
	v_cndmask_b32_e64 v2, 0, v2, s[28:29]
	v_mov_b32_e32 v6, 0x70
	v_cndmask_b32_e32 v9, v2, v6, vcc
	v_add_u32_e32 v2, 21, v9
	v_or_b32_e32 v5, 0x800000, v0
	v_lshlrev_b64 v[13:14], v2, -1
	v_cndmask_b32_e32 v0, v5, v0, vcc
	v_add_u32_e32 v2, 20, v9
	v_bfi_b32 v13, v13, 0, v0
	v_lshlrev_b64 v[15:16], v2, 1
	v_lshrrev_b64 v[0:1], v9, v[0:1]
	v_bfi_b32 v14, v14, 0, 0
	v_cmp_eq_u64_e64 s[28:29], v[13:14], v[15:16]
	v_mov_b32_e32 v2, v1
	v_mov_b32_e32 v1, v0
	s_and_saveexec_b64 s[38:39], s[28:29]
; %bb.12778:                            ;   in Loop: Header=BB4_12002 Depth=3
	v_bfe_u32 v1, v0, 21, 1
	v_add_co_u32_e64 v1, s[28:29], v0, v1
	v_add_co_u32_e64 v1, s[28:29], -1, v1
; %bb.12779:                            ;   in Loop: Header=BB4_12002 Depth=3
	s_or_b64 exec, exec, s[38:39]
	v_add_u32_e32 v2, 0xffffff81, v8
	v_mov_b32_e32 v5, 0xffffff82
	v_cndmask_b32_e32 v2, v2, v5, vcc
	v_lshrrev_b32_e32 v5, 23, v0
	v_add3_u32 v9, v9, v2, v5
	v_add_u32_e32 v8, 14, v9
	v_and_b32_e32 v1, 0x1fffff, v1
	v_add_u32_e32 v0, v1, v0
	v_mov_b32_e32 v1, v17
	v_cmp_ne_u32_e32 vcc, 0, v8
                                        ; implicit-def: $vgpr2
	s_and_saveexec_b64 s[28:29], vcc
	s_xor_b64 s[28:29], exec, s[28:29]
; %bb.12780:                            ;   in Loop: Header=BB4_12002 Depth=3
	v_cmp_lt_u64_e32 vcc, s[88:89], v[0:1]
	v_add_u32_e32 v2, 15, v9
	v_cndmask_b32_e64 v5, 0, 1, vcc
	v_lshrrev_b64 v[0:1], v5, v[0:1]
	v_cndmask_b32_e32 v2, v8, v2, vcc
; %bb.12781:                            ;   in Loop: Header=BB4_12002 Depth=3
	s_andn2_saveexec_b64 s[28:29], s[28:29]
; %bb.12782:                            ;   in Loop: Header=BB4_12002 Depth=3
	v_bfe_u32 v2, v0, 23, 1
; %bb.12783:                            ;   in Loop: Header=BB4_12002 Depth=3
	s_or_b64 exec, exec, s[28:29]
	v_lshrrev_b64 v[0:1], 21, v[0:1]
	v_cmp_gt_i32_e32 vcc, 32, v2
	v_cndmask_b32_e32 v1, 0, v1, vcc
	v_cndmask_b32_e32 v0, 3, v0, vcc
	v_cmp_eq_u64_e64 s[28:29], 0, v[0:1]
	v_min_i32_e32 v1, 31, v2
	v_lshlrev_b32_e32 v1, 2, v1
	v_cmp_eq_u32_e32 vcc, 0, v2
	v_and_b32_e32 v1, 0xfc, v1
	v_and_or_b32 v0, v0, 3, v1
	s_and_b64 s[28:29], vcc, s[28:29]
	v_cndmask_b32_e64 v0, v0, 0, s[28:29]
	v_or_b32_e32 v33, v0, v3
.LBB4_12784:                            ;   in Loop: Header=BB4_12002 Depth=3
	s_or_b64 exec, exec, s[36:37]
                                        ; implicit-def: $vgpr3
.LBB4_12785:                            ;   in Loop: Header=BB4_12002 Depth=3
	s_andn2_saveexec_b64 s[28:29], s[34:35]
; %bb.12786:                            ;   in Loop: Header=BB4_12002 Depth=3
	v_or_b32_e32 v33, 0x7b, v3
; %bb.12787:                            ;   in Loop: Header=BB4_12002 Depth=3
	s_or_b64 exec, exec, s[28:29]
                                        ; implicit-def: $vgpr2
                                        ; implicit-def: $vgpr0_vgpr1
.LBB4_12788:                            ;   in Loop: Header=BB4_12002 Depth=3
	s_andn2_saveexec_b64 s[28:29], s[30:31]
	s_cbranch_execz .LBB4_12794
; %bb.12789:                            ;   in Loop: Header=BB4_12002 Depth=3
	v_cmp_ne_u64_e32 vcc, 0, v[0:1]
                                        ; implicit-def: $vgpr33
	s_and_saveexec_b64 s[30:31], vcc
	s_xor_b64 vcc, exec, s[30:31]
; %bb.12790:                            ;   in Loop: Header=BB4_12002 Depth=3
	v_or_b32_sdwa v33, v2, s47 dst_sel:DWORD dst_unused:UNUSED_PAD src0_sel:BYTE_3 src1_sel:DWORD
                                        ; implicit-def: $vgpr2
; %bb.12791:                            ;   in Loop: Header=BB4_12002 Depth=3
	s_andn2_saveexec_b64 s[30:31], vcc
; %bb.12792:                            ;   in Loop: Header=BB4_12002 Depth=3
	v_cmp_lt_i32_e32 vcc, -1, v2
	v_bfrev_b32_e32 v0, 0.5
	v_cndmask_b32_e32 v33, v0, v52, vcc
; %bb.12793:                            ;   in Loop: Header=BB4_12002 Depth=3
	s_or_b64 exec, exec, s[30:31]
.LBB4_12794:                            ;   in Loop: Header=BB4_12002 Depth=3
	s_or_b64 exec, exec, s[28:29]
	v_mov_b32_e32 v0, v11
	v_mov_b32_e32 v1, v17
	v_cmp_ne_u16_sdwa vcc, v11, v17 src0_sel:BYTE_0 src1_sel:DWORD
	v_mov_b32_e32 v2, 0
	s_and_saveexec_b64 s[28:29], vcc
	s_cbranch_execz .LBB4_12802
; %bb.12795:                            ;   in Loop: Header=BB4_12002 Depth=3
	v_cmp_ne_u16_sdwa vcc, v11, s96 src0_sel:BYTE_0 src1_sel:DWORD
	v_bfrev_b32_e32 v2, 1
	s_and_saveexec_b64 s[30:31], vcc
	s_cbranch_execz .LBB4_12801
; %bb.12796:                            ;   in Loop: Header=BB4_12002 Depth=3
	v_and_b32_e32 v2, 0x7c, v11
	v_and_b32_e32 v3, 3, v11
	v_cmp_ne_u32_e32 vcc, s85, v2
                                        ; implicit-def: $vgpr2
	s_and_saveexec_b64 s[34:35], vcc
	s_xor_b64 s[34:35], exec, s[34:35]
	s_cbranch_execz .LBB4_12798
; %bb.12797:                            ;   in Loop: Header=BB4_12002 Depth=3
	v_ffbh_u32_e32 v2, v3
	v_min_u32_e32 v6, 32, v2
	v_subrev_u32_e32 v2, 29, v6
	v_lshlrev_b64 v[1:2], v2, v[0:1]
	v_bfe_u32 v5, v11, 2, 5
	v_and_b32_e32 v1, 3, v1
	v_cmp_eq_u32_e32 vcc, 0, v5
	v_sub_u32_e32 v2, 30, v6
	v_cndmask_b32_e32 v1, v3, v1, vcc
	v_lshlrev_b32_e32 v3, 24, v11
	v_cndmask_b32_e32 v2, v5, v2, vcc
	v_and_b32_e32 v3, 0x80000000, v3
	v_lshl_add_u32 v2, v2, 23, v3
	v_lshl_or_b32 v1, v1, 21, v2
	v_add_u32_e32 v2, 0x38000000, v1
                                        ; implicit-def: $vgpr3
.LBB4_12798:                            ;   in Loop: Header=BB4_12002 Depth=3
	s_andn2_saveexec_b64 s[34:35], s[34:35]
; %bb.12799:                            ;   in Loop: Header=BB4_12002 Depth=3
	v_mov_b32_e32 v1, -1
	v_cmp_gt_i16_sdwa vcc, sext(v11), v1 src0_sel:BYTE_0 src1_sel:DWORD
	v_mov_b32_e32 v1, 0xff800000
	v_mov_b32_e32 v2, 0x7f800000
	v_cndmask_b32_e32 v1, v1, v2, vcc
	v_cmp_eq_u32_e32 vcc, 0, v3
	v_mov_b32_e32 v2, 0x7f800001
	v_cndmask_b32_e32 v2, v2, v1, vcc
; %bb.12800:                            ;   in Loop: Header=BB4_12002 Depth=3
	s_or_b64 exec, exec, s[34:35]
.LBB4_12801:                            ;   in Loop: Header=BB4_12002 Depth=3
	s_or_b64 exec, exec, s[30:31]
.LBB4_12802:                            ;   in Loop: Header=BB4_12002 Depth=3
	s_or_b64 exec, exec, s[28:29]
	v_mul_f32_e32 v3, v12, v2
	v_and_b32_e32 v8, 0x7f800000, v3
	v_mov_b32_e32 v9, v17
	v_cmp_ne_u64_e32 vcc, s[76:77], v[8:9]
	v_and_b32_e32 v1, 0x7fffff, v3
	v_mov_b32_e32 v2, v17
                                        ; implicit-def: $vgpr16
	s_and_saveexec_b64 s[28:29], vcc
	s_xor_b64 s[30:31], exec, s[28:29]
	s_cbranch_execz .LBB4_12816
; %bb.12803:                            ;   in Loop: Header=BB4_12002 Depth=3
	v_and_b32_e32 v8, 0x7fffffff, v3
	v_mov_b32_e32 v9, v17
	v_cmp_gt_u64_e32 vcc, s[78:79], v[8:9]
	v_and_b32_sdwa v8, v3, s96 dst_sel:DWORD dst_unused:UNUSED_PAD src0_sel:BYTE_3 src1_sel:DWORD
                                        ; implicit-def: $vgpr16
	s_and_saveexec_b64 s[28:29], vcc
	s_xor_b64 s[34:35], exec, s[28:29]
	s_cbranch_execz .LBB4_12813
; %bb.12804:                            ;   in Loop: Header=BB4_12002 Depth=3
	v_mov_b32_e32 v16, 0
	v_cmp_ne_u32_e32 vcc, 0, v3
	s_and_saveexec_b64 s[36:37], vcc
	s_cbranch_execz .LBB4_12812
; %bb.12805:                            ;   in Loop: Header=BB4_12002 Depth=3
	v_bfe_u32 v9, v3, 23, 8
	v_cmp_gt_u32_e64 s[28:29], s46, v9
	v_sub_u32_e32 v3, 0x71, v9
	v_cmp_eq_u32_e32 vcc, 0, v9
	v_cndmask_b32_e64 v3, 0, v3, s[28:29]
	v_mov_b32_e32 v6, 0x70
	v_cndmask_b32_e32 v13, v3, v6, vcc
	v_add_u32_e32 v3, 21, v13
	v_or_b32_e32 v5, 0x800000, v1
	v_lshlrev_b64 v[14:15], v3, -1
	v_cndmask_b32_e32 v1, v5, v1, vcc
	v_add_u32_e32 v3, 20, v13
	v_bfi_b32 v14, v14, 0, v1
	v_lshlrev_b64 v[59:60], v3, 1
	v_lshrrev_b64 v[1:2], v13, v[1:2]
	v_bfi_b32 v15, v15, 0, 0
	v_cmp_eq_u64_e64 s[28:29], v[14:15], v[59:60]
	v_mov_b32_e32 v3, v2
	v_mov_b32_e32 v2, v1
	s_and_saveexec_b64 s[38:39], s[28:29]
; %bb.12806:                            ;   in Loop: Header=BB4_12002 Depth=3
	v_bfe_u32 v2, v1, 21, 1
	v_add_co_u32_e64 v2, s[28:29], v1, v2
	v_add_co_u32_e64 v2, s[28:29], -1, v2
; %bb.12807:                            ;   in Loop: Header=BB4_12002 Depth=3
	s_or_b64 exec, exec, s[38:39]
	v_add_u32_e32 v3, 0xffffff81, v9
	v_mov_b32_e32 v5, 0xffffff82
	v_cndmask_b32_e32 v3, v3, v5, vcc
	v_lshrrev_b32_e32 v5, 23, v1
	v_add3_u32 v13, v13, v3, v5
	v_add_u32_e32 v9, 14, v13
	v_and_b32_e32 v2, 0x1fffff, v2
	v_add_u32_e32 v1, v2, v1
	v_mov_b32_e32 v2, v17
	v_cmp_ne_u32_e32 vcc, 0, v9
                                        ; implicit-def: $vgpr3
	s_and_saveexec_b64 s[28:29], vcc
	s_xor_b64 s[28:29], exec, s[28:29]
; %bb.12808:                            ;   in Loop: Header=BB4_12002 Depth=3
	v_cmp_lt_u64_e32 vcc, s[88:89], v[1:2]
	v_add_u32_e32 v3, 15, v13
	v_cndmask_b32_e64 v5, 0, 1, vcc
	v_lshrrev_b64 v[1:2], v5, v[1:2]
	v_cndmask_b32_e32 v3, v9, v3, vcc
; %bb.12809:                            ;   in Loop: Header=BB4_12002 Depth=3
	s_andn2_saveexec_b64 s[28:29], s[28:29]
; %bb.12810:                            ;   in Loop: Header=BB4_12002 Depth=3
	v_bfe_u32 v3, v1, 23, 1
; %bb.12811:                            ;   in Loop: Header=BB4_12002 Depth=3
	s_or_b64 exec, exec, s[28:29]
	v_lshrrev_b64 v[1:2], 21, v[1:2]
	v_cmp_gt_i32_e32 vcc, 32, v3
	v_cndmask_b32_e32 v2, 0, v2, vcc
	v_cndmask_b32_e32 v1, 3, v1, vcc
	v_cmp_eq_u64_e64 s[28:29], 0, v[1:2]
	v_min_i32_e32 v2, 31, v3
	v_lshlrev_b32_e32 v2, 2, v2
	v_cmp_eq_u32_e32 vcc, 0, v3
	v_and_b32_e32 v2, 0xfc, v2
	v_and_or_b32 v1, v1, 3, v2
	s_and_b64 s[28:29], vcc, s[28:29]
	v_cndmask_b32_e64 v1, v1, 0, s[28:29]
	v_or_b32_e32 v16, v1, v8
.LBB4_12812:                            ;   in Loop: Header=BB4_12002 Depth=3
	s_or_b64 exec, exec, s[36:37]
                                        ; implicit-def: $vgpr8
.LBB4_12813:                            ;   in Loop: Header=BB4_12002 Depth=3
	s_andn2_saveexec_b64 s[28:29], s[34:35]
; %bb.12814:                            ;   in Loop: Header=BB4_12002 Depth=3
	v_or_b32_e32 v16, 0x7b, v8
; %bb.12815:                            ;   in Loop: Header=BB4_12002 Depth=3
	s_or_b64 exec, exec, s[28:29]
                                        ; implicit-def: $vgpr3
                                        ; implicit-def: $vgpr1_vgpr2
.LBB4_12816:                            ;   in Loop: Header=BB4_12002 Depth=3
	s_andn2_saveexec_b64 s[28:29], s[30:31]
	s_cbranch_execz .LBB4_12822
; %bb.12817:                            ;   in Loop: Header=BB4_12002 Depth=3
	v_cmp_ne_u64_e32 vcc, 0, v[1:2]
                                        ; implicit-def: $vgpr16
	s_and_saveexec_b64 s[30:31], vcc
	s_xor_b64 vcc, exec, s[30:31]
; %bb.12818:                            ;   in Loop: Header=BB4_12002 Depth=3
	v_or_b32_sdwa v16, v3, s47 dst_sel:DWORD dst_unused:UNUSED_PAD src0_sel:BYTE_3 src1_sel:DWORD
                                        ; implicit-def: $vgpr3
; %bb.12819:                            ;   in Loop: Header=BB4_12002 Depth=3
	s_andn2_saveexec_b64 s[30:31], vcc
; %bb.12820:                            ;   in Loop: Header=BB4_12002 Depth=3
	v_cmp_lt_i32_e32 vcc, -1, v3
	v_bfrev_b32_e32 v1, 0.5
	v_cndmask_b32_e32 v16, v1, v52, vcc
; %bb.12821:                            ;   in Loop: Header=BB4_12002 Depth=3
	s_or_b64 exec, exec, s[30:31]
.LBB4_12822:                            ;   in Loop: Header=BB4_12002 Depth=3
	s_or_b64 exec, exec, s[28:29]
	v_lshrrev_b16_e32 v1, 8, v0
	v_cmp_ne_u16_e32 vcc, 0, v1
	v_mov_b32_e32 v2, 0
	s_and_saveexec_b64 s[28:29], vcc
	s_cbranch_execz .LBB4_12830
; %bb.12823:                            ;   in Loop: Header=BB4_12002 Depth=3
	v_cmp_ne_u16_e32 vcc, s96, v1
	v_bfrev_b32_e32 v2, 1
	s_and_saveexec_b64 s[30:31], vcc
	s_cbranch_execz .LBB4_12829
; %bb.12824:                            ;   in Loop: Header=BB4_12002 Depth=3
	v_and_b32_e32 v2, 0x7c, v1
	v_and_b32_e32 v3, 3, v1
	v_cmp_ne_u32_e32 vcc, s85, v2
                                        ; implicit-def: $vgpr2
	s_and_saveexec_b64 s[34:35], vcc
	s_xor_b64 s[34:35], exec, s[34:35]
	s_cbranch_execz .LBB4_12826
; %bb.12825:                            ;   in Loop: Header=BB4_12002 Depth=3
	v_ffbh_u32_e32 v6, v3
	v_min_u32_e32 v6, 32, v6
	v_mov_b32_e32 v2, v17
	v_subrev_u32_e32 v8, 29, v6
	v_bfe_u32 v5, v1, 2, 5
	v_lshlrev_b64 v[1:2], v8, v[1:2]
	v_sub_u32_e32 v2, 30, v6
	v_cmp_eq_u32_e32 vcc, 0, v5
	v_lshlrev_b32_e32 v0, 16, v0
	v_and_b32_e32 v1, 3, v1
	v_cndmask_b32_e32 v2, v5, v2, vcc
	v_and_b32_e32 v0, 0x80000000, v0
	v_cndmask_b32_e32 v1, v3, v1, vcc
	v_lshl_add_u32 v0, v2, 23, v0
	v_lshl_or_b32 v0, v1, 21, v0
	v_add_u32_e32 v2, 0x38000000, v0
                                        ; implicit-def: $vgpr3
                                        ; implicit-def: $vgpr0_vgpr1
.LBB4_12826:                            ;   in Loop: Header=BB4_12002 Depth=3
	s_andn2_saveexec_b64 s[34:35], s[34:35]
; %bb.12827:                            ;   in Loop: Header=BB4_12002 Depth=3
	v_cmp_lt_i16_e32 vcc, -1, v0
	v_mov_b32_e32 v0, 0xff800000
	v_mov_b32_e32 v1, 0x7f800000
	v_cndmask_b32_e32 v0, v0, v1, vcc
	v_cmp_eq_u32_e32 vcc, 0, v3
	v_mov_b32_e32 v1, 0x7f800001
	v_cndmask_b32_e32 v2, v1, v0, vcc
; %bb.12828:                            ;   in Loop: Header=BB4_12002 Depth=3
	s_or_b64 exec, exec, s[34:35]
.LBB4_12829:                            ;   in Loop: Header=BB4_12002 Depth=3
	s_or_b64 exec, exec, s[30:31]
.LBB4_12830:                            ;   in Loop: Header=BB4_12002 Depth=3
	s_or_b64 exec, exec, s[28:29]
	v_mul_f32_e32 v2, v12, v2
	v_and_b32_e32 v8, 0x7f800000, v2
	v_mov_b32_e32 v9, v17
	v_cmp_ne_u64_e32 vcc, s[76:77], v[8:9]
	v_and_b32_e32 v0, 0x7fffff, v2
	v_mov_b32_e32 v1, v17
                                        ; implicit-def: $vgpr20
	s_and_saveexec_b64 s[28:29], vcc
	s_xor_b64 s[30:31], exec, s[28:29]
	s_cbranch_execz .LBB4_12844
; %bb.12831:                            ;   in Loop: Header=BB4_12002 Depth=3
	v_and_b32_e32 v8, 0x7fffffff, v2
	v_mov_b32_e32 v9, v17
	v_cmp_gt_u64_e32 vcc, s[78:79], v[8:9]
	v_and_b32_sdwa v3, v2, s96 dst_sel:DWORD dst_unused:UNUSED_PAD src0_sel:BYTE_3 src1_sel:DWORD
                                        ; implicit-def: $vgpr20
	s_and_saveexec_b64 s[28:29], vcc
	s_xor_b64 s[34:35], exec, s[28:29]
	s_cbranch_execz .LBB4_12841
; %bb.12832:                            ;   in Loop: Header=BB4_12002 Depth=3
	v_mov_b32_e32 v20, 0
	v_cmp_ne_u32_e32 vcc, 0, v2
	s_and_saveexec_b64 s[36:37], vcc
	s_cbranch_execz .LBB4_12840
; %bb.12833:                            ;   in Loop: Header=BB4_12002 Depth=3
	v_bfe_u32 v8, v2, 23, 8
	v_cmp_gt_u32_e64 s[28:29], s46, v8
	v_sub_u32_e32 v2, 0x71, v8
	v_cmp_eq_u32_e32 vcc, 0, v8
	v_cndmask_b32_e64 v2, 0, v2, s[28:29]
	v_mov_b32_e32 v6, 0x70
	v_cndmask_b32_e32 v9, v2, v6, vcc
	v_add_u32_e32 v2, 21, v9
	v_or_b32_e32 v5, 0x800000, v0
	v_lshlrev_b64 v[13:14], v2, -1
	v_cndmask_b32_e32 v0, v5, v0, vcc
	v_add_u32_e32 v2, 20, v9
	v_bfi_b32 v13, v13, 0, v0
	v_lshlrev_b64 v[59:60], v2, 1
	v_lshrrev_b64 v[0:1], v9, v[0:1]
	v_bfi_b32 v14, v14, 0, 0
	v_cmp_eq_u64_e64 s[28:29], v[13:14], v[59:60]
	v_mov_b32_e32 v2, v1
	v_mov_b32_e32 v1, v0
	s_and_saveexec_b64 s[38:39], s[28:29]
; %bb.12834:                            ;   in Loop: Header=BB4_12002 Depth=3
	v_bfe_u32 v1, v0, 21, 1
	v_add_co_u32_e64 v1, s[28:29], v0, v1
	v_add_co_u32_e64 v1, s[28:29], -1, v1
; %bb.12835:                            ;   in Loop: Header=BB4_12002 Depth=3
	s_or_b64 exec, exec, s[38:39]
	v_add_u32_e32 v2, 0xffffff81, v8
	v_mov_b32_e32 v5, 0xffffff82
	v_cndmask_b32_e32 v2, v2, v5, vcc
	v_lshrrev_b32_e32 v5, 23, v0
	v_add3_u32 v9, v9, v2, v5
	v_add_u32_e32 v8, 14, v9
	v_and_b32_e32 v1, 0x1fffff, v1
	v_add_u32_e32 v0, v1, v0
	v_mov_b32_e32 v1, v17
	v_cmp_ne_u32_e32 vcc, 0, v8
                                        ; implicit-def: $vgpr2
	s_and_saveexec_b64 s[28:29], vcc
	s_xor_b64 s[28:29], exec, s[28:29]
; %bb.12836:                            ;   in Loop: Header=BB4_12002 Depth=3
	v_cmp_lt_u64_e32 vcc, s[88:89], v[0:1]
	v_add_u32_e32 v2, 15, v9
	v_cndmask_b32_e64 v5, 0, 1, vcc
	v_lshrrev_b64 v[0:1], v5, v[0:1]
	v_cndmask_b32_e32 v2, v8, v2, vcc
; %bb.12837:                            ;   in Loop: Header=BB4_12002 Depth=3
	s_andn2_saveexec_b64 s[28:29], s[28:29]
; %bb.12838:                            ;   in Loop: Header=BB4_12002 Depth=3
	v_bfe_u32 v2, v0, 23, 1
; %bb.12839:                            ;   in Loop: Header=BB4_12002 Depth=3
	s_or_b64 exec, exec, s[28:29]
	v_lshrrev_b64 v[0:1], 21, v[0:1]
	v_cmp_gt_i32_e32 vcc, 32, v2
	v_cndmask_b32_e32 v1, 0, v1, vcc
	v_cndmask_b32_e32 v0, 3, v0, vcc
	v_cmp_eq_u64_e64 s[28:29], 0, v[0:1]
	v_min_i32_e32 v1, 31, v2
	v_lshlrev_b32_e32 v1, 2, v1
	v_cmp_eq_u32_e32 vcc, 0, v2
	v_and_b32_e32 v1, 0xfc, v1
	v_and_or_b32 v0, v0, 3, v1
	s_and_b64 s[28:29], vcc, s[28:29]
	v_cndmask_b32_e64 v0, v0, 0, s[28:29]
	v_or_b32_e32 v20, v0, v3
.LBB4_12840:                            ;   in Loop: Header=BB4_12002 Depth=3
	s_or_b64 exec, exec, s[36:37]
                                        ; implicit-def: $vgpr3
.LBB4_12841:                            ;   in Loop: Header=BB4_12002 Depth=3
	s_andn2_saveexec_b64 s[28:29], s[34:35]
; %bb.12842:                            ;   in Loop: Header=BB4_12002 Depth=3
	v_or_b32_e32 v20, 0x7b, v3
; %bb.12843:                            ;   in Loop: Header=BB4_12002 Depth=3
	s_or_b64 exec, exec, s[28:29]
                                        ; implicit-def: $vgpr2
                                        ; implicit-def: $vgpr0_vgpr1
.LBB4_12844:                            ;   in Loop: Header=BB4_12002 Depth=3
	s_andn2_saveexec_b64 s[28:29], s[30:31]
	s_cbranch_execz .LBB4_12850
; %bb.12845:                            ;   in Loop: Header=BB4_12002 Depth=3
	v_cmp_ne_u64_e32 vcc, 0, v[0:1]
                                        ; implicit-def: $vgpr20
	s_and_saveexec_b64 s[30:31], vcc
	s_xor_b64 vcc, exec, s[30:31]
; %bb.12846:                            ;   in Loop: Header=BB4_12002 Depth=3
	v_or_b32_sdwa v20, v2, s47 dst_sel:DWORD dst_unused:UNUSED_PAD src0_sel:BYTE_3 src1_sel:DWORD
                                        ; implicit-def: $vgpr2
; %bb.12847:                            ;   in Loop: Header=BB4_12002 Depth=3
	s_andn2_saveexec_b64 s[30:31], vcc
; %bb.12848:                            ;   in Loop: Header=BB4_12002 Depth=3
	v_cmp_lt_i32_e32 vcc, -1, v2
	v_bfrev_b32_e32 v0, 0.5
	v_cndmask_b32_e32 v20, v0, v52, vcc
; %bb.12849:                            ;   in Loop: Header=BB4_12002 Depth=3
	s_or_b64 exec, exec, s[30:31]
.LBB4_12850:                            ;   in Loop: Header=BB4_12002 Depth=3
	s_or_b64 exec, exec, s[28:29]
	v_lshrrev_b32_e32 v0, 16, v11
	v_cmp_ne_u16_sdwa vcc, v0, v17 src0_sel:BYTE_0 src1_sel:DWORD
	v_mov_b32_e32 v1, 0
	s_and_saveexec_b64 s[28:29], vcc
	s_cbranch_execz .LBB4_12858
; %bb.12851:                            ;   in Loop: Header=BB4_12002 Depth=3
	v_cmp_ne_u16_sdwa vcc, v0, s96 src0_sel:BYTE_0 src1_sel:DWORD
	v_bfrev_b32_e32 v1, 1
	s_and_saveexec_b64 s[30:31], vcc
	s_cbranch_execz .LBB4_12857
; %bb.12852:                            ;   in Loop: Header=BB4_12002 Depth=3
	v_and_b32_e32 v1, 0x7c0000, v11
	v_bfe_u32 v2, v11, 16, 2
	v_cmp_ne_u32_e32 vcc, s44, v1
                                        ; implicit-def: $vgpr1
	s_and_saveexec_b64 s[34:35], vcc
	s_xor_b64 s[34:35], exec, s[34:35]
	s_cbranch_execz .LBB4_12854
; %bb.12853:                            ;   in Loop: Header=BB4_12002 Depth=3
	v_ffbh_u32_e32 v1, v2
	v_min_u32_e32 v5, 32, v1
	v_subrev_u32_e32 v1, 29, v5
	v_lshlrev_b64 v[0:1], v1, v[0:1]
	v_bfe_u32 v3, v11, 18, 5
	v_and_b32_e32 v0, 3, v0
	v_cmp_eq_u32_e32 vcc, 0, v3
	v_sub_u32_e32 v1, 30, v5
	v_cndmask_b32_e32 v0, v2, v0, vcc
	v_lshlrev_b32_e32 v2, 8, v11
	v_cndmask_b32_e32 v1, v3, v1, vcc
	v_and_b32_e32 v2, 0x80000000, v2
	v_lshl_add_u32 v1, v1, 23, v2
	v_lshl_or_b32 v0, v0, 21, v1
	v_add_u32_e32 v1, 0x38000000, v0
                                        ; implicit-def: $vgpr2
                                        ; implicit-def: $vgpr0
.LBB4_12854:                            ;   in Loop: Header=BB4_12002 Depth=3
	s_andn2_saveexec_b64 s[34:35], s[34:35]
; %bb.12855:                            ;   in Loop: Header=BB4_12002 Depth=3
	v_mov_b32_e32 v1, -1
	v_cmp_gt_i16_sdwa vcc, sext(v0), v1 src0_sel:BYTE_0 src1_sel:DWORD
	v_mov_b32_e32 v0, 0xff800000
	v_mov_b32_e32 v1, 0x7f800000
	v_cndmask_b32_e32 v0, v0, v1, vcc
	v_cmp_eq_u32_e32 vcc, 0, v2
	v_mov_b32_e32 v1, 0x7f800001
	v_cndmask_b32_e32 v1, v1, v0, vcc
; %bb.12856:                            ;   in Loop: Header=BB4_12002 Depth=3
	s_or_b64 exec, exec, s[34:35]
.LBB4_12857:                            ;   in Loop: Header=BB4_12002 Depth=3
	s_or_b64 exec, exec, s[30:31]
.LBB4_12858:                            ;   in Loop: Header=BB4_12002 Depth=3
	s_or_b64 exec, exec, s[28:29]
	v_mul_f32_e32 v2, v12, v1
	v_and_b32_e32 v8, 0x7f800000, v2
	v_mov_b32_e32 v9, v17
	v_cmp_ne_u64_e32 vcc, s[76:77], v[8:9]
	v_and_b32_e32 v0, 0x7fffff, v2
	v_mov_b32_e32 v1, v17
                                        ; implicit-def: $vgpr23
	s_and_saveexec_b64 s[28:29], vcc
	s_xor_b64 s[30:31], exec, s[28:29]
	s_cbranch_execz .LBB4_12872
; %bb.12859:                            ;   in Loop: Header=BB4_12002 Depth=3
	v_and_b32_e32 v8, 0x7fffffff, v2
	v_mov_b32_e32 v9, v17
	v_cmp_gt_u64_e32 vcc, s[78:79], v[8:9]
	v_and_b32_sdwa v3, v2, s96 dst_sel:DWORD dst_unused:UNUSED_PAD src0_sel:BYTE_3 src1_sel:DWORD
                                        ; implicit-def: $vgpr23
	s_and_saveexec_b64 s[28:29], vcc
	s_xor_b64 s[34:35], exec, s[28:29]
	s_cbranch_execz .LBB4_12869
; %bb.12860:                            ;   in Loop: Header=BB4_12002 Depth=3
	v_mov_b32_e32 v23, 0
	v_cmp_ne_u32_e32 vcc, 0, v2
	s_and_saveexec_b64 s[36:37], vcc
	s_cbranch_execz .LBB4_12868
; %bb.12861:                            ;   in Loop: Header=BB4_12002 Depth=3
	v_bfe_u32 v8, v2, 23, 8
	v_cmp_gt_u32_e64 s[28:29], s46, v8
	v_sub_u32_e32 v2, 0x71, v8
	v_cmp_eq_u32_e32 vcc, 0, v8
	v_cndmask_b32_e64 v2, 0, v2, s[28:29]
	v_mov_b32_e32 v6, 0x70
	v_cndmask_b32_e32 v9, v2, v6, vcc
	v_add_u32_e32 v2, 21, v9
	v_or_b32_e32 v5, 0x800000, v0
	v_lshlrev_b64 v[13:14], v2, -1
	v_cndmask_b32_e32 v0, v5, v0, vcc
	v_add_u32_e32 v2, 20, v9
	v_bfi_b32 v13, v13, 0, v0
	v_lshlrev_b64 v[59:60], v2, 1
	v_lshrrev_b64 v[0:1], v9, v[0:1]
	v_bfi_b32 v14, v14, 0, 0
	v_cmp_eq_u64_e64 s[28:29], v[13:14], v[59:60]
	v_mov_b32_e32 v2, v1
	v_mov_b32_e32 v1, v0
	s_and_saveexec_b64 s[38:39], s[28:29]
; %bb.12862:                            ;   in Loop: Header=BB4_12002 Depth=3
	v_bfe_u32 v1, v0, 21, 1
	v_add_co_u32_e64 v1, s[28:29], v0, v1
	v_add_co_u32_e64 v1, s[28:29], -1, v1
; %bb.12863:                            ;   in Loop: Header=BB4_12002 Depth=3
	s_or_b64 exec, exec, s[38:39]
	v_add_u32_e32 v2, 0xffffff81, v8
	v_mov_b32_e32 v5, 0xffffff82
	v_cndmask_b32_e32 v2, v2, v5, vcc
	v_lshrrev_b32_e32 v5, 23, v0
	v_add3_u32 v9, v9, v2, v5
	v_add_u32_e32 v8, 14, v9
	v_and_b32_e32 v1, 0x1fffff, v1
	v_add_u32_e32 v0, v1, v0
	v_mov_b32_e32 v1, v17
	v_cmp_ne_u32_e32 vcc, 0, v8
                                        ; implicit-def: $vgpr2
	s_and_saveexec_b64 s[28:29], vcc
	s_xor_b64 s[28:29], exec, s[28:29]
; %bb.12864:                            ;   in Loop: Header=BB4_12002 Depth=3
	v_cmp_lt_u64_e32 vcc, s[88:89], v[0:1]
	v_add_u32_e32 v2, 15, v9
	v_cndmask_b32_e64 v5, 0, 1, vcc
	v_lshrrev_b64 v[0:1], v5, v[0:1]
	v_cndmask_b32_e32 v2, v8, v2, vcc
; %bb.12865:                            ;   in Loop: Header=BB4_12002 Depth=3
	s_andn2_saveexec_b64 s[28:29], s[28:29]
; %bb.12866:                            ;   in Loop: Header=BB4_12002 Depth=3
	v_bfe_u32 v2, v0, 23, 1
; %bb.12867:                            ;   in Loop: Header=BB4_12002 Depth=3
	s_or_b64 exec, exec, s[28:29]
	v_lshrrev_b64 v[0:1], 21, v[0:1]
	v_cmp_gt_i32_e32 vcc, 32, v2
	v_cndmask_b32_e32 v1, 0, v1, vcc
	v_cndmask_b32_e32 v0, 3, v0, vcc
	v_cmp_eq_u64_e64 s[28:29], 0, v[0:1]
	v_min_i32_e32 v1, 31, v2
	v_lshlrev_b32_e32 v1, 2, v1
	v_cmp_eq_u32_e32 vcc, 0, v2
	v_and_b32_e32 v1, 0xfc, v1
	v_and_or_b32 v0, v0, 3, v1
	s_and_b64 s[28:29], vcc, s[28:29]
	v_cndmask_b32_e64 v0, v0, 0, s[28:29]
	v_or_b32_e32 v23, v0, v3
.LBB4_12868:                            ;   in Loop: Header=BB4_12002 Depth=3
	s_or_b64 exec, exec, s[36:37]
                                        ; implicit-def: $vgpr3
.LBB4_12869:                            ;   in Loop: Header=BB4_12002 Depth=3
	s_andn2_saveexec_b64 s[28:29], s[34:35]
; %bb.12870:                            ;   in Loop: Header=BB4_12002 Depth=3
	v_or_b32_e32 v23, 0x7b, v3
; %bb.12871:                            ;   in Loop: Header=BB4_12002 Depth=3
	s_or_b64 exec, exec, s[28:29]
                                        ; implicit-def: $vgpr2
                                        ; implicit-def: $vgpr0_vgpr1
.LBB4_12872:                            ;   in Loop: Header=BB4_12002 Depth=3
	s_andn2_saveexec_b64 s[28:29], s[30:31]
	s_cbranch_execz .LBB4_12878
; %bb.12873:                            ;   in Loop: Header=BB4_12002 Depth=3
	v_cmp_ne_u64_e32 vcc, 0, v[0:1]
                                        ; implicit-def: $vgpr23
	s_and_saveexec_b64 s[30:31], vcc
	s_xor_b64 vcc, exec, s[30:31]
; %bb.12874:                            ;   in Loop: Header=BB4_12002 Depth=3
	v_or_b32_sdwa v23, v2, s47 dst_sel:DWORD dst_unused:UNUSED_PAD src0_sel:BYTE_3 src1_sel:DWORD
                                        ; implicit-def: $vgpr2
; %bb.12875:                            ;   in Loop: Header=BB4_12002 Depth=3
	s_andn2_saveexec_b64 s[30:31], vcc
; %bb.12876:                            ;   in Loop: Header=BB4_12002 Depth=3
	v_cmp_lt_i32_e32 vcc, -1, v2
	v_bfrev_b32_e32 v0, 0.5
	v_cndmask_b32_e32 v23, v0, v52, vcc
; %bb.12877:                            ;   in Loop: Header=BB4_12002 Depth=3
	s_or_b64 exec, exec, s[30:31]
.LBB4_12878:                            ;   in Loop: Header=BB4_12002 Depth=3
	s_or_b64 exec, exec, s[28:29]
	v_cmp_lt_u64_e32 vcc, s[56:57], v[10:11]
	v_mov_b32_e32 v1, 0
	s_and_saveexec_b64 s[28:29], vcc
	s_cbranch_execz .LBB4_12886
; %bb.12879:                            ;   in Loop: Header=BB4_12002 Depth=3
	v_lshrrev_b32_e32 v0, 24, v11
	v_cmp_ne_u32_e32 vcc, s96, v0
	v_bfrev_b32_e32 v1, 1
	s_and_saveexec_b64 s[30:31], vcc
	s_cbranch_execz .LBB4_12885
; %bb.12880:                            ;   in Loop: Header=BB4_12002 Depth=3
	v_and_b32_e32 v1, 0x7c000000, v11
	v_bfe_u32 v2, v11, 24, 2
	v_cmp_ne_u32_e32 vcc, s45, v1
                                        ; implicit-def: $vgpr1
	s_and_saveexec_b64 s[34:35], vcc
	s_xor_b64 s[34:35], exec, s[34:35]
	s_cbranch_execz .LBB4_12882
; %bb.12881:                            ;   in Loop: Header=BB4_12002 Depth=3
	v_ffbh_u32_e32 v1, v2
	v_min_u32_e32 v5, 32, v1
	v_subrev_u32_e32 v1, 29, v5
	v_lshlrev_b64 v[0:1], v1, v[0:1]
	v_bfe_u32 v3, v11, 26, 5
	v_sub_u32_e32 v1, 30, v5
	v_and_b32_e32 v0, 3, v0
	v_cmp_eq_u32_e32 vcc, 0, v3
	v_cndmask_b32_e32 v1, v3, v1, vcc
	v_cndmask_b32_e32 v0, v2, v0, vcc
	v_and_b32_e32 v2, 0x80000000, v11
	v_lshl_add_u32 v1, v1, 23, v2
	v_lshl_or_b32 v0, v0, 21, v1
	v_add_u32_e32 v1, 0x38000000, v0
                                        ; implicit-def: $vgpr2
                                        ; implicit-def: $vgpr10_vgpr11
.LBB4_12882:                            ;   in Loop: Header=BB4_12002 Depth=3
	s_andn2_saveexec_b64 s[34:35], s[34:35]
; %bb.12883:                            ;   in Loop: Header=BB4_12002 Depth=3
	v_cmp_lt_i64_e32 vcc, -1, v[10:11]
	v_mov_b32_e32 v0, 0xff800000
	v_mov_b32_e32 v1, 0x7f800000
	v_cndmask_b32_e32 v0, v0, v1, vcc
	v_cmp_eq_u32_e32 vcc, 0, v2
	v_mov_b32_e32 v1, 0x7f800001
	v_cndmask_b32_e32 v1, v1, v0, vcc
; %bb.12884:                            ;   in Loop: Header=BB4_12002 Depth=3
	s_or_b64 exec, exec, s[34:35]
.LBB4_12885:                            ;   in Loop: Header=BB4_12002 Depth=3
	s_or_b64 exec, exec, s[30:31]
.LBB4_12886:                            ;   in Loop: Header=BB4_12002 Depth=3
	s_or_b64 exec, exec, s[28:29]
	v_mul_f32_e32 v2, v12, v1
	v_and_b32_e32 v8, 0x7f800000, v2
	v_mov_b32_e32 v9, v17
	v_cmp_ne_u64_e32 vcc, s[76:77], v[8:9]
	v_and_b32_e32 v0, 0x7fffff, v2
	v_mov_b32_e32 v1, v17
                                        ; implicit-def: $vgpr27
	s_and_saveexec_b64 s[28:29], vcc
	s_xor_b64 s[30:31], exec, s[28:29]
	s_cbranch_execz .LBB4_12900
; %bb.12887:                            ;   in Loop: Header=BB4_12002 Depth=3
	v_and_b32_e32 v8, 0x7fffffff, v2
	v_mov_b32_e32 v9, v17
	v_cmp_gt_u64_e32 vcc, s[78:79], v[8:9]
	v_and_b32_sdwa v3, v2, s96 dst_sel:DWORD dst_unused:UNUSED_PAD src0_sel:BYTE_3 src1_sel:DWORD
                                        ; implicit-def: $vgpr27
	s_and_saveexec_b64 s[28:29], vcc
	s_xor_b64 s[34:35], exec, s[28:29]
	s_cbranch_execz .LBB4_12897
; %bb.12888:                            ;   in Loop: Header=BB4_12002 Depth=3
	v_mov_b32_e32 v27, 0
	v_cmp_ne_u32_e32 vcc, 0, v2
	s_and_saveexec_b64 s[36:37], vcc
	s_cbranch_execz .LBB4_12896
; %bb.12889:                            ;   in Loop: Header=BB4_12002 Depth=3
	v_bfe_u32 v8, v2, 23, 8
	v_cmp_gt_u32_e64 s[28:29], s46, v8
	v_sub_u32_e32 v2, 0x71, v8
	v_cmp_eq_u32_e32 vcc, 0, v8
	v_cndmask_b32_e64 v2, 0, v2, s[28:29]
	v_mov_b32_e32 v6, 0x70
	v_cndmask_b32_e32 v9, v2, v6, vcc
	v_add_u32_e32 v2, 21, v9
	v_or_b32_e32 v5, 0x800000, v0
	v_lshlrev_b64 v[10:11], v2, -1
	v_cndmask_b32_e32 v0, v5, v0, vcc
	v_add_u32_e32 v2, 20, v9
	v_bfi_b32 v10, v10, 0, v0
	v_lshlrev_b64 v[12:13], v2, 1
	v_lshrrev_b64 v[0:1], v9, v[0:1]
	v_bfi_b32 v11, v11, 0, 0
	v_cmp_eq_u64_e64 s[28:29], v[10:11], v[12:13]
	v_mov_b32_e32 v2, v1
	v_mov_b32_e32 v1, v0
	s_and_saveexec_b64 s[38:39], s[28:29]
; %bb.12890:                            ;   in Loop: Header=BB4_12002 Depth=3
	v_bfe_u32 v1, v0, 21, 1
	v_add_co_u32_e64 v1, s[28:29], v0, v1
	v_add_co_u32_e64 v1, s[28:29], -1, v1
; %bb.12891:                            ;   in Loop: Header=BB4_12002 Depth=3
	s_or_b64 exec, exec, s[38:39]
	v_add_u32_e32 v2, 0xffffff81, v8
	v_mov_b32_e32 v5, 0xffffff82
	v_cndmask_b32_e32 v2, v2, v5, vcc
	v_lshrrev_b32_e32 v5, 23, v0
	v_add3_u32 v9, v9, v2, v5
	v_add_u32_e32 v8, 14, v9
	v_and_b32_e32 v1, 0x1fffff, v1
	v_add_u32_e32 v0, v1, v0
	v_mov_b32_e32 v1, v17
	v_cmp_ne_u32_e32 vcc, 0, v8
                                        ; implicit-def: $vgpr2
	s_and_saveexec_b64 s[28:29], vcc
	s_xor_b64 s[28:29], exec, s[28:29]
; %bb.12892:                            ;   in Loop: Header=BB4_12002 Depth=3
	v_cmp_lt_u64_e32 vcc, s[88:89], v[0:1]
	v_add_u32_e32 v2, 15, v9
	v_cndmask_b32_e64 v5, 0, 1, vcc
	v_lshrrev_b64 v[0:1], v5, v[0:1]
	v_cndmask_b32_e32 v2, v8, v2, vcc
; %bb.12893:                            ;   in Loop: Header=BB4_12002 Depth=3
	s_andn2_saveexec_b64 s[28:29], s[28:29]
; %bb.12894:                            ;   in Loop: Header=BB4_12002 Depth=3
	v_bfe_u32 v2, v0, 23, 1
; %bb.12895:                            ;   in Loop: Header=BB4_12002 Depth=3
	s_or_b64 exec, exec, s[28:29]
	v_lshrrev_b64 v[0:1], 21, v[0:1]
	v_cmp_gt_i32_e32 vcc, 32, v2
	v_cndmask_b32_e32 v1, 0, v1, vcc
	v_cndmask_b32_e32 v0, 3, v0, vcc
	v_cmp_eq_u64_e64 s[28:29], 0, v[0:1]
	v_min_i32_e32 v1, 31, v2
	v_lshlrev_b32_e32 v1, 2, v1
	v_cmp_eq_u32_e32 vcc, 0, v2
	v_and_b32_e32 v1, 0xfc, v1
	v_and_or_b32 v0, v0, 3, v1
	s_and_b64 s[28:29], vcc, s[28:29]
	v_cndmask_b32_e64 v0, v0, 0, s[28:29]
	v_or_b32_e32 v27, v0, v3
.LBB4_12896:                            ;   in Loop: Header=BB4_12002 Depth=3
	s_or_b64 exec, exec, s[36:37]
                                        ; implicit-def: $vgpr3
.LBB4_12897:                            ;   in Loop: Header=BB4_12002 Depth=3
	s_andn2_saveexec_b64 s[28:29], s[34:35]
; %bb.12898:                            ;   in Loop: Header=BB4_12002 Depth=3
	v_or_b32_e32 v27, 0x7b, v3
; %bb.12899:                            ;   in Loop: Header=BB4_12002 Depth=3
	s_or_b64 exec, exec, s[28:29]
                                        ; implicit-def: $vgpr2
                                        ; implicit-def: $vgpr0_vgpr1
.LBB4_12900:                            ;   in Loop: Header=BB4_12002 Depth=3
	s_andn2_saveexec_b64 s[28:29], s[30:31]
	s_cbranch_execz .LBB4_12906
; %bb.12901:                            ;   in Loop: Header=BB4_12002 Depth=3
	v_cmp_ne_u64_e32 vcc, 0, v[0:1]
                                        ; implicit-def: $vgpr27
	s_and_saveexec_b64 s[30:31], vcc
	s_xor_b64 vcc, exec, s[30:31]
; %bb.12902:                            ;   in Loop: Header=BB4_12002 Depth=3
	v_or_b32_sdwa v27, v2, s47 dst_sel:DWORD dst_unused:UNUSED_PAD src0_sel:BYTE_3 src1_sel:DWORD
                                        ; implicit-def: $vgpr2
; %bb.12903:                            ;   in Loop: Header=BB4_12002 Depth=3
	s_andn2_saveexec_b64 s[30:31], vcc
; %bb.12904:                            ;   in Loop: Header=BB4_12002 Depth=3
	v_cmp_lt_i32_e32 vcc, -1, v2
	v_bfrev_b32_e32 v0, 0.5
	v_cndmask_b32_e32 v27, v0, v52, vcc
; %bb.12905:                            ;   in Loop: Header=BB4_12002 Depth=3
	s_or_b64 exec, exec, s[30:31]
.LBB4_12906:                            ;   in Loop: Header=BB4_12002 Depth=3
	s_or_b64 exec, exec, s[28:29]
	global_load_dwordx4 v[12:15], v[44:45], off glc slc
	global_load_dwordx4 v[8:11], v[44:45], off offset:1024 glc slc
	v_lshl_or_b32 v18, v18, 8, v7
	v_lshlrev_b32_e32 v0, 16, v22
	v_lshlrev_b32_e32 v1, 24, v31
	v_or3_b32 v0, v0, v1, v18
	v_mov_b32_e32 v1, v17
	v_cmp_ne_u32_e32 vcc, 0, v7
	v_mov_b32_e32 v2, 0
	v_mov_b32_e32 v3, 0
	s_and_saveexec_b64 s[30:31], vcc
	s_cbranch_execz .LBB4_12914
; %bb.12907:                            ;   in Loop: Header=BB4_12002 Depth=3
	v_cmp_ne_u32_e32 vcc, s96, v7
	v_bfrev_b32_e32 v3, 1
	s_and_saveexec_b64 s[34:35], vcc
	s_cbranch_execz .LBB4_12913
; %bb.12908:                            ;   in Loop: Header=BB4_12002 Depth=3
	v_and_b32_e32 v3, 0x7c, v7
	v_and_b32_e32 v22, 3, v7
	v_cmp_ne_u32_e32 vcc, s85, v3
                                        ; implicit-def: $vgpr3
	s_and_saveexec_b64 s[28:29], vcc
	s_xor_b64 s[28:29], exec, s[28:29]
	s_cbranch_execz .LBB4_12910
; %bb.12909:                            ;   in Loop: Header=BB4_12002 Depth=3
	v_ffbh_u32_e32 v5, v22
	v_min_u32_e32 v5, 32, v5
	v_subrev_u32_e32 v6, 29, v5
	v_lshlrev_b64 v[59:60], v6, v[0:1]
	v_bfe_u32 v3, v7, 2, 5
	v_sub_u32_e32 v1, 30, v5
	v_and_b32_e32 v5, 3, v59
	v_cmp_eq_u32_e32 vcc, 0, v3
	v_cndmask_b32_e32 v1, v3, v1, vcc
	v_cndmask_b32_e32 v3, v22, v5, vcc
	v_lshlrev_b32_e32 v5, 24, v7
	v_and_b32_e32 v5, 0x80000000, v5
	v_lshl_add_u32 v1, v1, 23, v5
	v_lshl_or_b32 v1, v3, 21, v1
	v_add_u32_e32 v3, 0x38000000, v1
                                        ; implicit-def: $vgpr22
                                        ; implicit-def: $vgpr7
.LBB4_12910:                            ;   in Loop: Header=BB4_12002 Depth=3
	s_andn2_saveexec_b64 s[36:37], s[28:29]
; %bb.12911:                            ;   in Loop: Header=BB4_12002 Depth=3
	v_and_b32_e32 v1, 0x80, v7
	v_cmp_eq_u32_e64 s[28:29], 0, v1
	v_mov_b32_e32 v1, 0xff800000
	v_mov_b32_e32 v3, 0x7f800000
	v_cmp_eq_u32_e32 vcc, 0, v22
	v_cndmask_b32_e64 v1, v1, v3, s[28:29]
	v_mov_b32_e32 v3, 0x7f800001
	v_cndmask_b32_e32 v3, v3, v1, vcc
; %bb.12912:                            ;   in Loop: Header=BB4_12002 Depth=3
	s_or_b64 exec, exec, s[36:37]
.LBB4_12913:                            ;   in Loop: Header=BB4_12002 Depth=3
	s_or_b64 exec, exec, s[34:35]
.LBB4_12914:                            ;   in Loop: Header=BB4_12002 Depth=3
	s_or_b64 exec, exec, s[30:31]
	s_waitcnt vmcnt(1)
	v_cmp_ne_u16_sdwa vcc, v12, v17 src0_sel:BYTE_0 src1_sel:DWORD
	s_and_saveexec_b64 s[28:29], vcc
	s_cbranch_execz .LBB4_12922
; %bb.12915:                            ;   in Loop: Header=BB4_12002 Depth=3
	v_cmp_ne_u16_sdwa vcc, sext(v12), s97 src0_sel:BYTE_0 src1_sel:DWORD
	v_bfrev_b32_e32 v2, 1
	s_and_saveexec_b64 s[30:31], vcc
	s_cbranch_execz .LBB4_12921
; %bb.12916:                            ;   in Loop: Header=BB4_12002 Depth=3
	v_and_b32_e32 v2, 0x7c, v12
	v_and_b32_e32 v1, 3, v12
	v_cmp_ne_u32_e32 vcc, s85, v2
                                        ; implicit-def: $vgpr2
	s_and_saveexec_b64 s[34:35], vcc
	s_xor_b64 s[34:35], exec, s[34:35]
	s_cbranch_execz .LBB4_12918
; %bb.12917:                            ;   in Loop: Header=BB4_12002 Depth=3
	v_ffbh_u32_e32 v5, v1
	v_min_u32_e32 v5, 32, v5
	v_bfe_u32 v2, v12, 2, 5
	v_subrev_u32_e32 v6, 29, v5
	v_lshlrev_b64 v[59:60], v6, v[12:13]
	v_sub_u32_e32 v5, 30, v5
	v_cmp_eq_u32_e32 vcc, 0, v2
	v_cndmask_b32_e32 v2, v2, v5, vcc
	v_lshlrev_b32_e32 v5, 24, v12
	v_and_b32_e32 v6, 3, v59
	v_and_b32_e32 v5, 0x80000000, v5
	v_cndmask_b32_e32 v1, v1, v6, vcc
	v_lshl_add_u32 v2, v2, 23, v5
	v_lshl_or_b32 v1, v1, 21, v2
	v_add_u32_e32 v2, 0x38000000, v1
                                        ; implicit-def: $vgpr1
.LBB4_12918:                            ;   in Loop: Header=BB4_12002 Depth=3
	s_andn2_saveexec_b64 s[34:35], s[34:35]
; %bb.12919:                            ;   in Loop: Header=BB4_12002 Depth=3
	v_mov_b32_e32 v2, -1
	v_cmp_gt_i16_sdwa vcc, sext(v12), v2 src0_sel:BYTE_0 src1_sel:DWORD
	v_mov_b32_e32 v2, 0xff800000
	v_mov_b32_e32 v5, 0x7f800000
	v_cndmask_b32_e32 v2, v2, v5, vcc
	v_cmp_eq_u32_e32 vcc, 0, v1
	v_mov_b32_e32 v1, 0x7f800001
	v_cndmask_b32_e32 v2, v1, v2, vcc
; %bb.12920:                            ;   in Loop: Header=BB4_12002 Depth=3
	s_or_b64 exec, exec, s[34:35]
.LBB4_12921:                            ;   in Loop: Header=BB4_12002 Depth=3
	s_or_b64 exec, exec, s[30:31]
.LBB4_12922:                            ;   in Loop: Header=BB4_12002 Depth=3
	s_or_b64 exec, exec, s[28:29]
	v_add_f32_e32 v3, v3, v2
	v_and_b32_e32 v59, 0x7f800000, v3
	v_mov_b32_e32 v60, v17
	v_cmp_ne_u64_e32 vcc, s[76:77], v[59:60]
	v_and_b32_e32 v1, 0x7fffff, v3
	v_mov_b32_e32 v2, v17
                                        ; implicit-def: $vgpr7
	s_and_saveexec_b64 s[28:29], vcc
	s_xor_b64 s[30:31], exec, s[28:29]
	s_cbranch_execz .LBB4_12936
; %bb.12923:                            ;   in Loop: Header=BB4_12002 Depth=3
	v_and_b32_e32 v59, 0x7fffffff, v3
	v_mov_b32_e32 v60, v17
	v_cmp_gt_u64_e32 vcc, s[78:79], v[59:60]
	v_and_b32_sdwa v22, v3, s96 dst_sel:DWORD dst_unused:UNUSED_PAD src0_sel:BYTE_3 src1_sel:DWORD
                                        ; implicit-def: $vgpr7
	s_and_saveexec_b64 s[28:29], vcc
	s_xor_b64 s[34:35], exec, s[28:29]
	s_cbranch_execz .LBB4_12933
; %bb.12924:                            ;   in Loop: Header=BB4_12002 Depth=3
	v_mov_b32_e32 v7, 0
	v_cmp_ne_u32_e32 vcc, 0, v3
	s_and_saveexec_b64 s[36:37], vcc
	s_cbranch_execz .LBB4_12932
; %bb.12925:                            ;   in Loop: Header=BB4_12002 Depth=3
	v_bfe_u32 v7, v3, 23, 8
	v_cmp_gt_u32_e64 s[28:29], s46, v7
	v_sub_u32_e32 v3, 0x71, v7
	v_cmp_eq_u32_e32 vcc, 0, v7
	v_cndmask_b32_e64 v3, 0, v3, s[28:29]
	v_mov_b32_e32 v6, 0x70
	v_cndmask_b32_e32 v31, v3, v6, vcc
	v_add_u32_e32 v3, 21, v31
	v_or_b32_e32 v5, 0x800000, v1
	v_lshlrev_b64 v[59:60], v3, -1
	v_cndmask_b32_e32 v1, v5, v1, vcc
	v_add_u32_e32 v3, 20, v31
	v_bfi_b32 v59, v59, 0, v1
	v_lshlrev_b64 v[5:6], v3, 1
	v_lshrrev_b64 v[1:2], v31, v[1:2]
	v_bfi_b32 v60, v60, 0, 0
	v_cmp_eq_u64_e64 s[28:29], v[59:60], v[5:6]
	v_mov_b32_e32 v3, v2
	v_mov_b32_e32 v2, v1
	s_and_saveexec_b64 s[38:39], s[28:29]
; %bb.12926:                            ;   in Loop: Header=BB4_12002 Depth=3
	v_bfe_u32 v2, v1, 21, 1
	v_add_co_u32_e64 v2, s[28:29], v1, v2
	v_add_co_u32_e64 v2, s[28:29], -1, v2
; %bb.12927:                            ;   in Loop: Header=BB4_12002 Depth=3
	s_or_b64 exec, exec, s[38:39]
	v_add_u32_e32 v3, 0xffffff81, v7
	v_mov_b32_e32 v5, 0xffffff82
	v_cndmask_b32_e32 v3, v3, v5, vcc
	v_lshrrev_b32_e32 v5, 23, v1
	v_add3_u32 v31, v31, v3, v5
	v_add_u32_e32 v7, 14, v31
	v_and_b32_e32 v2, 0x1fffff, v2
	v_add_u32_e32 v1, v2, v1
	v_mov_b32_e32 v2, v17
	v_cmp_ne_u32_e32 vcc, 0, v7
                                        ; implicit-def: $vgpr3
	s_and_saveexec_b64 s[28:29], vcc
	s_xor_b64 s[28:29], exec, s[28:29]
; %bb.12928:                            ;   in Loop: Header=BB4_12002 Depth=3
	v_cmp_lt_u64_e32 vcc, s[88:89], v[1:2]
	v_add_u32_e32 v3, 15, v31
	v_cndmask_b32_e64 v5, 0, 1, vcc
	v_cndmask_b32_e32 v3, v7, v3, vcc
	v_lshrrev_b64 v[1:2], v5, v[1:2]
; %bb.12929:                            ;   in Loop: Header=BB4_12002 Depth=3
	s_andn2_saveexec_b64 s[28:29], s[28:29]
; %bb.12930:                            ;   in Loop: Header=BB4_12002 Depth=3
	v_bfe_u32 v3, v1, 23, 1
; %bb.12931:                            ;   in Loop: Header=BB4_12002 Depth=3
	s_or_b64 exec, exec, s[28:29]
	v_lshrrev_b64 v[1:2], 21, v[1:2]
	v_cmp_gt_i32_e32 vcc, 32, v3
	v_cndmask_b32_e32 v2, 0, v2, vcc
	v_cndmask_b32_e32 v1, 3, v1, vcc
	v_cmp_eq_u64_e64 s[28:29], 0, v[1:2]
	v_min_i32_e32 v2, 31, v3
	v_lshlrev_b32_e32 v2, 2, v2
	v_cmp_eq_u32_e32 vcc, 0, v3
	v_and_b32_e32 v2, 0xfc, v2
	v_and_or_b32 v1, v1, 3, v2
	s_and_b64 s[28:29], vcc, s[28:29]
	v_cndmask_b32_e64 v1, v1, 0, s[28:29]
	v_or_b32_e32 v7, v1, v22
.LBB4_12932:                            ;   in Loop: Header=BB4_12002 Depth=3
	s_or_b64 exec, exec, s[36:37]
                                        ; implicit-def: $vgpr22
.LBB4_12933:                            ;   in Loop: Header=BB4_12002 Depth=3
	s_andn2_saveexec_b64 s[28:29], s[34:35]
; %bb.12934:                            ;   in Loop: Header=BB4_12002 Depth=3
	v_or_b32_e32 v7, 0x7b, v22
; %bb.12935:                            ;   in Loop: Header=BB4_12002 Depth=3
	s_or_b64 exec, exec, s[28:29]
                                        ; implicit-def: $vgpr3
                                        ; implicit-def: $vgpr1_vgpr2
.LBB4_12936:                            ;   in Loop: Header=BB4_12002 Depth=3
	s_andn2_saveexec_b64 s[28:29], s[30:31]
	s_cbranch_execz .LBB4_12942
; %bb.12937:                            ;   in Loop: Header=BB4_12002 Depth=3
	v_cmp_ne_u64_e32 vcc, 0, v[1:2]
                                        ; implicit-def: $vgpr7
	s_and_saveexec_b64 s[30:31], vcc
	s_xor_b64 vcc, exec, s[30:31]
; %bb.12938:                            ;   in Loop: Header=BB4_12002 Depth=3
	v_or_b32_sdwa v7, v3, s47 dst_sel:DWORD dst_unused:UNUSED_PAD src0_sel:BYTE_3 src1_sel:DWORD
                                        ; implicit-def: $vgpr3
; %bb.12939:                            ;   in Loop: Header=BB4_12002 Depth=3
	s_andn2_saveexec_b64 s[30:31], vcc
; %bb.12940:                            ;   in Loop: Header=BB4_12002 Depth=3
	v_cmp_lt_i32_e32 vcc, -1, v3
	v_bfrev_b32_e32 v1, 0.5
	v_cndmask_b32_e32 v7, v1, v52, vcc
; %bb.12941:                            ;   in Loop: Header=BB4_12002 Depth=3
	s_or_b64 exec, exec, s[30:31]
.LBB4_12942:                            ;   in Loop: Header=BB4_12002 Depth=3
	s_or_b64 exec, exec, s[28:29]
	v_lshrrev_b16_e32 v1, 8, v18
	v_cmp_ne_u16_e32 vcc, 0, v1
	v_mov_b32_e32 v3, 0
	v_mov_b32_e32 v22, 0
	s_and_saveexec_b64 s[28:29], vcc
	s_cbranch_execz .LBB4_12950
; %bb.12943:                            ;   in Loop: Header=BB4_12002 Depth=3
	v_cmp_ne_u16_e32 vcc, s96, v1
	v_bfrev_b32_e32 v22, 1
	s_and_saveexec_b64 s[30:31], vcc
	s_cbranch_execz .LBB4_12949
; %bb.12944:                            ;   in Loop: Header=BB4_12002 Depth=3
	v_and_b32_e32 v2, 0x7c, v1
	v_and_b32_e32 v31, 3, v1
	v_cmp_ne_u32_e32 vcc, s85, v2
                                        ; implicit-def: $vgpr22
	s_and_saveexec_b64 s[34:35], vcc
	s_xor_b64 s[34:35], exec, s[34:35]
	s_cbranch_execz .LBB4_12946
; %bb.12945:                            ;   in Loop: Header=BB4_12002 Depth=3
	v_ffbh_u32_e32 v6, v31
	v_min_u32_e32 v6, 32, v6
	v_mov_b32_e32 v2, v17
	v_subrev_u32_e32 v22, 29, v6
	v_bfe_u32 v5, v1, 2, 5
	v_lshlrev_b64 v[1:2], v22, v[1:2]
	v_sub_u32_e32 v2, 30, v6
	v_cmp_eq_u32_e32 vcc, 0, v5
	v_cndmask_b32_e32 v2, v5, v2, vcc
	v_lshlrev_b32_e32 v5, 16, v18
	v_and_b32_e32 v1, 3, v1
	v_and_b32_e32 v5, 0x80000000, v5
	v_cndmask_b32_e32 v1, v31, v1, vcc
	v_lshl_add_u32 v2, v2, 23, v5
	v_lshl_or_b32 v1, v1, 21, v2
	v_add_u32_e32 v22, 0x38000000, v1
                                        ; implicit-def: $vgpr31
                                        ; implicit-def: $vgpr18
.LBB4_12946:                            ;   in Loop: Header=BB4_12002 Depth=3
	s_andn2_saveexec_b64 s[34:35], s[34:35]
; %bb.12947:                            ;   in Loop: Header=BB4_12002 Depth=3
	v_cmp_lt_i16_e32 vcc, -1, v18
	v_mov_b32_e32 v1, 0xff800000
	v_mov_b32_e32 v2, 0x7f800000
	v_cndmask_b32_e32 v1, v1, v2, vcc
	v_cmp_eq_u32_e32 vcc, 0, v31
	v_mov_b32_e32 v2, 0x7f800001
	v_cndmask_b32_e32 v22, v2, v1, vcc
; %bb.12948:                            ;   in Loop: Header=BB4_12002 Depth=3
	s_or_b64 exec, exec, s[34:35]
.LBB4_12949:                            ;   in Loop: Header=BB4_12002 Depth=3
	s_or_b64 exec, exec, s[30:31]
.LBB4_12950:                            ;   in Loop: Header=BB4_12002 Depth=3
	s_or_b64 exec, exec, s[28:29]
	v_lshrrev_b16_e32 v1, 8, v12
	v_cmp_ne_u16_e32 vcc, 0, v1
	s_and_saveexec_b64 s[28:29], vcc
	s_cbranch_execz .LBB4_12958
; %bb.12951:                            ;   in Loop: Header=BB4_12002 Depth=3
	v_cmp_ne_u16_e32 vcc, s96, v1
	v_bfrev_b32_e32 v3, 1
	s_and_saveexec_b64 s[30:31], vcc
	s_cbranch_execz .LBB4_12957
; %bb.12952:                            ;   in Loop: Header=BB4_12002 Depth=3
	v_and_b32_e32 v2, 0x7c, v1
	v_and_b32_e32 v18, 3, v1
	v_cmp_ne_u32_e32 vcc, s85, v2
                                        ; implicit-def: $vgpr3
	s_and_saveexec_b64 s[34:35], vcc
	s_xor_b64 s[34:35], exec, s[34:35]
	s_cbranch_execz .LBB4_12954
; %bb.12953:                            ;   in Loop: Header=BB4_12002 Depth=3
	v_ffbh_u32_e32 v5, v18
	v_min_u32_e32 v5, 32, v5
	v_mov_b32_e32 v2, v17
	v_subrev_u32_e32 v6, 29, v5
	v_bfe_u32 v3, v1, 2, 5
	v_lshlrev_b64 v[1:2], v6, v[1:2]
	v_sub_u32_e32 v2, 30, v5
	v_cmp_eq_u32_e32 vcc, 0, v3
	v_cndmask_b32_e32 v2, v3, v2, vcc
	v_lshlrev_b32_e32 v3, 16, v12
	v_and_b32_e32 v1, 3, v1
	v_and_b32_e32 v3, 0x80000000, v3
	v_cndmask_b32_e32 v1, v18, v1, vcc
	v_lshl_add_u32 v2, v2, 23, v3
	v_lshl_or_b32 v1, v1, 21, v2
	v_add_u32_e32 v3, 0x38000000, v1
                                        ; implicit-def: $vgpr18
.LBB4_12954:                            ;   in Loop: Header=BB4_12002 Depth=3
	s_andn2_saveexec_b64 s[34:35], s[34:35]
; %bb.12955:                            ;   in Loop: Header=BB4_12002 Depth=3
	v_cmp_lt_i16_e32 vcc, -1, v12
	v_mov_b32_e32 v1, 0xff800000
	v_mov_b32_e32 v2, 0x7f800000
	v_cndmask_b32_e32 v1, v1, v2, vcc
	v_cmp_eq_u32_e32 vcc, 0, v18
	v_mov_b32_e32 v2, 0x7f800001
	v_cndmask_b32_e32 v3, v2, v1, vcc
; %bb.12956:                            ;   in Loop: Header=BB4_12002 Depth=3
	s_or_b64 exec, exec, s[34:35]
.LBB4_12957:                            ;   in Loop: Header=BB4_12002 Depth=3
	s_or_b64 exec, exec, s[30:31]
.LBB4_12958:                            ;   in Loop: Header=BB4_12002 Depth=3
	s_or_b64 exec, exec, s[28:29]
	v_add_f32_e32 v3, v22, v3
	v_and_b32_e32 v5, 0x7f800000, v3
	v_mov_b32_e32 v6, v17
	v_cmp_ne_u64_e32 vcc, s[76:77], v[5:6]
	v_and_b32_e32 v1, 0x7fffff, v3
	v_mov_b32_e32 v2, v17
                                        ; implicit-def: $vgpr18
	s_and_saveexec_b64 s[28:29], vcc
	s_xor_b64 s[30:31], exec, s[28:29]
	s_cbranch_execz .LBB4_12972
; %bb.12959:                            ;   in Loop: Header=BB4_12002 Depth=3
	v_and_b32_e32 v5, 0x7fffffff, v3
	v_mov_b32_e32 v6, v17
	v_cmp_gt_u64_e32 vcc, s[78:79], v[5:6]
	v_and_b32_sdwa v22, v3, s96 dst_sel:DWORD dst_unused:UNUSED_PAD src0_sel:BYTE_3 src1_sel:DWORD
                                        ; implicit-def: $vgpr18
	s_and_saveexec_b64 s[28:29], vcc
	s_xor_b64 s[34:35], exec, s[28:29]
	s_cbranch_execz .LBB4_12969
; %bb.12960:                            ;   in Loop: Header=BB4_12002 Depth=3
	v_mov_b32_e32 v18, 0
	v_cmp_ne_u32_e32 vcc, 0, v3
	s_and_saveexec_b64 s[36:37], vcc
	s_cbranch_execz .LBB4_12968
; %bb.12961:                            ;   in Loop: Header=BB4_12002 Depth=3
	v_bfe_u32 v18, v3, 23, 8
	v_cmp_gt_u32_e64 s[28:29], s46, v18
	v_sub_u32_e32 v3, 0x71, v18
	v_cmp_eq_u32_e32 vcc, 0, v18
	v_cndmask_b32_e64 v3, 0, v3, s[28:29]
	v_mov_b32_e32 v6, 0x70
	v_cndmask_b32_e32 v31, v3, v6, vcc
	v_or_b32_e32 v5, 0x800000, v1
	v_add_u32_e32 v3, 21, v31
	v_cndmask_b32_e32 v1, v5, v1, vcc
	v_lshlrev_b64 v[5:6], v3, -1
	v_add_u32_e32 v3, 20, v31
	v_bfi_b32 v5, v5, 0, v1
	v_lshlrev_b64 v[59:60], v3, 1
	v_lshrrev_b64 v[1:2], v31, v[1:2]
	v_bfi_b32 v6, v6, 0, 0
	v_cmp_eq_u64_e64 s[28:29], v[5:6], v[59:60]
	v_mov_b32_e32 v3, v2
	v_mov_b32_e32 v2, v1
	s_and_saveexec_b64 s[38:39], s[28:29]
; %bb.12962:                            ;   in Loop: Header=BB4_12002 Depth=3
	v_bfe_u32 v2, v1, 21, 1
	v_add_co_u32_e64 v2, s[28:29], v1, v2
	v_add_co_u32_e64 v2, s[28:29], -1, v2
; %bb.12963:                            ;   in Loop: Header=BB4_12002 Depth=3
	s_or_b64 exec, exec, s[38:39]
	v_add_u32_e32 v3, 0xffffff81, v18
	v_mov_b32_e32 v5, 0xffffff82
	v_cndmask_b32_e32 v3, v3, v5, vcc
	v_lshrrev_b32_e32 v5, 23, v1
	v_add3_u32 v31, v31, v3, v5
	v_add_u32_e32 v18, 14, v31
	v_and_b32_e32 v2, 0x1fffff, v2
	v_add_u32_e32 v1, v2, v1
	v_mov_b32_e32 v2, v17
	v_cmp_ne_u32_e32 vcc, 0, v18
                                        ; implicit-def: $vgpr3
	s_and_saveexec_b64 s[28:29], vcc
	s_xor_b64 s[28:29], exec, s[28:29]
; %bb.12964:                            ;   in Loop: Header=BB4_12002 Depth=3
	v_cmp_lt_u64_e32 vcc, s[88:89], v[1:2]
	v_add_u32_e32 v3, 15, v31
	v_cndmask_b32_e64 v5, 0, 1, vcc
	v_cndmask_b32_e32 v3, v18, v3, vcc
	v_lshrrev_b64 v[1:2], v5, v[1:2]
; %bb.12965:                            ;   in Loop: Header=BB4_12002 Depth=3
	s_andn2_saveexec_b64 s[28:29], s[28:29]
; %bb.12966:                            ;   in Loop: Header=BB4_12002 Depth=3
	v_bfe_u32 v3, v1, 23, 1
; %bb.12967:                            ;   in Loop: Header=BB4_12002 Depth=3
	s_or_b64 exec, exec, s[28:29]
	v_lshrrev_b64 v[1:2], 21, v[1:2]
	v_cmp_gt_i32_e32 vcc, 32, v3
	v_cndmask_b32_e32 v2, 0, v2, vcc
	v_cndmask_b32_e32 v1, 3, v1, vcc
	v_cmp_eq_u64_e64 s[28:29], 0, v[1:2]
	v_min_i32_e32 v2, 31, v3
	v_lshlrev_b32_e32 v2, 2, v2
	v_cmp_eq_u32_e32 vcc, 0, v3
	v_and_b32_e32 v2, 0xfc, v2
	v_and_or_b32 v1, v1, 3, v2
	s_and_b64 s[28:29], vcc, s[28:29]
	v_cndmask_b32_e64 v1, v1, 0, s[28:29]
	v_or_b32_e32 v18, v1, v22
.LBB4_12968:                            ;   in Loop: Header=BB4_12002 Depth=3
	s_or_b64 exec, exec, s[36:37]
                                        ; implicit-def: $vgpr22
.LBB4_12969:                            ;   in Loop: Header=BB4_12002 Depth=3
	s_andn2_saveexec_b64 s[28:29], s[34:35]
; %bb.12970:                            ;   in Loop: Header=BB4_12002 Depth=3
	v_or_b32_e32 v18, 0x7b, v22
; %bb.12971:                            ;   in Loop: Header=BB4_12002 Depth=3
	s_or_b64 exec, exec, s[28:29]
                                        ; implicit-def: $vgpr3
                                        ; implicit-def: $vgpr1_vgpr2
.LBB4_12972:                            ;   in Loop: Header=BB4_12002 Depth=3
	s_andn2_saveexec_b64 s[28:29], s[30:31]
	s_cbranch_execz .LBB4_12978
; %bb.12973:                            ;   in Loop: Header=BB4_12002 Depth=3
	v_cmp_ne_u64_e32 vcc, 0, v[1:2]
                                        ; implicit-def: $vgpr18
	s_and_saveexec_b64 s[30:31], vcc
	s_xor_b64 vcc, exec, s[30:31]
; %bb.12974:                            ;   in Loop: Header=BB4_12002 Depth=3
	v_or_b32_sdwa v18, v3, s47 dst_sel:DWORD dst_unused:UNUSED_PAD src0_sel:BYTE_3 src1_sel:DWORD
                                        ; implicit-def: $vgpr3
; %bb.12975:                            ;   in Loop: Header=BB4_12002 Depth=3
	s_andn2_saveexec_b64 s[30:31], vcc
; %bb.12976:                            ;   in Loop: Header=BB4_12002 Depth=3
	v_cmp_lt_i32_e32 vcc, -1, v3
	v_bfrev_b32_e32 v1, 0.5
	v_cndmask_b32_e32 v18, v1, v52, vcc
; %bb.12977:                            ;   in Loop: Header=BB4_12002 Depth=3
	s_or_b64 exec, exec, s[30:31]
.LBB4_12978:                            ;   in Loop: Header=BB4_12002 Depth=3
	s_or_b64 exec, exec, s[28:29]
	v_and_b32_sdwa v22, v0, s87 dst_sel:DWORD dst_unused:UNUSED_PAD src0_sel:WORD_1 src1_sel:DWORD
	v_lshrrev_b32_e32 v1, 16, v0
	v_cmp_ne_u16_e32 vcc, 0, v22
	v_mov_b32_e32 v2, 0
	v_mov_b32_e32 v3, 0
	s_and_saveexec_b64 s[28:29], vcc
	s_cbranch_execz .LBB4_12986
; %bb.12979:                            ;   in Loop: Header=BB4_12002 Depth=3
	v_cmp_ne_u16_e32 vcc, s96, v22
	v_bfrev_b32_e32 v3, 1
	s_and_saveexec_b64 s[30:31], vcc
	s_cbranch_execz .LBB4_12985
; %bb.12980:                            ;   in Loop: Header=BB4_12002 Depth=3
	v_and_b32_e32 v3, 0x7c0000, v0
	v_bfe_u32 v22, v0, 16, 2
	v_cmp_ne_u32_e32 vcc, s44, v3
                                        ; implicit-def: $vgpr3
	s_and_saveexec_b64 s[34:35], vcc
	s_xor_b64 s[34:35], exec, s[34:35]
	s_cbranch_execz .LBB4_12982
; %bb.12981:                            ;   in Loop: Header=BB4_12002 Depth=3
	v_ffbh_u32_e32 v5, v22
	v_min_u32_e32 v28, 32, v5
	v_subrev_u32_e32 v5, 29, v28
	v_lshlrev_b64 v[5:6], v5, v[1:2]
	v_bfe_u32 v3, v0, 18, 5
	v_sub_u32_e32 v1, 30, v28
	v_and_b32_e32 v5, 3, v5
	v_cmp_eq_u32_e32 vcc, 0, v3
	v_cndmask_b32_e32 v1, v3, v1, vcc
	v_cndmask_b32_e32 v3, v22, v5, vcc
	v_lshlrev_b32_e32 v5, 8, v0
	v_and_b32_e32 v5, 0x80000000, v5
	v_lshl_add_u32 v1, v1, 23, v5
	v_lshl_or_b32 v1, v3, 21, v1
	v_add_u32_e32 v3, 0x38000000, v1
                                        ; implicit-def: $vgpr22
                                        ; implicit-def: $vgpr1
.LBB4_12982:                            ;   in Loop: Header=BB4_12002 Depth=3
	s_andn2_saveexec_b64 s[34:35], s[34:35]
; %bb.12983:                            ;   in Loop: Header=BB4_12002 Depth=3
	v_mov_b32_e32 v3, -1
	v_cmp_gt_i16_sdwa vcc, sext(v1), v3 src0_sel:BYTE_0 src1_sel:DWORD
	v_mov_b32_e32 v1, 0xff800000
	v_mov_b32_e32 v3, 0x7f800000
	v_cndmask_b32_e32 v1, v1, v3, vcc
	v_cmp_eq_u32_e32 vcc, 0, v22
	v_mov_b32_e32 v3, 0x7f800001
	v_cndmask_b32_e32 v3, v3, v1, vcc
; %bb.12984:                            ;   in Loop: Header=BB4_12002 Depth=3
	s_or_b64 exec, exec, s[34:35]
.LBB4_12985:                            ;   in Loop: Header=BB4_12002 Depth=3
	s_or_b64 exec, exec, s[30:31]
.LBB4_12986:                            ;   in Loop: Header=BB4_12002 Depth=3
	s_or_b64 exec, exec, s[28:29]
	v_lshrrev_b32_e32 v1, 16, v12
	v_cmp_ne_u16_sdwa vcc, v1, v17 src0_sel:BYTE_0 src1_sel:DWORD
	s_and_saveexec_b64 s[28:29], vcc
	s_cbranch_execz .LBB4_12994
; %bb.12987:                            ;   in Loop: Header=BB4_12002 Depth=3
	v_cmp_ne_u16_sdwa vcc, v1, s96 src0_sel:BYTE_0 src1_sel:DWORD
	v_bfrev_b32_e32 v2, 1
	s_and_saveexec_b64 s[30:31], vcc
	s_cbranch_execz .LBB4_12993
; %bb.12988:                            ;   in Loop: Header=BB4_12002 Depth=3
	v_and_b32_e32 v2, 0x7c0000, v12
	v_bfe_u32 v22, v12, 16, 2
	v_cmp_ne_u32_e32 vcc, s44, v2
                                        ; implicit-def: $vgpr2
	s_and_saveexec_b64 s[34:35], vcc
	s_xor_b64 s[34:35], exec, s[34:35]
	s_cbranch_execz .LBB4_12990
; %bb.12989:                            ;   in Loop: Header=BB4_12002 Depth=3
	v_ffbh_u32_e32 v2, v22
	v_min_u32_e32 v6, 32, v2
	v_subrev_u32_e32 v2, 29, v6
	v_bfe_u32 v5, v12, 18, 5
	v_lshlrev_b64 v[1:2], v2, v[1:2]
	v_sub_u32_e32 v2, 30, v6
	v_cmp_eq_u32_e32 vcc, 0, v5
	v_cndmask_b32_e32 v2, v5, v2, vcc
	v_lshlrev_b32_e32 v5, 8, v12
	v_and_b32_e32 v1, 3, v1
	v_and_b32_e32 v5, 0x80000000, v5
	v_cndmask_b32_e32 v1, v22, v1, vcc
	v_lshl_add_u32 v2, v2, 23, v5
	v_lshl_or_b32 v1, v1, 21, v2
	v_add_u32_e32 v2, 0x38000000, v1
                                        ; implicit-def: $vgpr22
                                        ; implicit-def: $vgpr1
.LBB4_12990:                            ;   in Loop: Header=BB4_12002 Depth=3
	s_andn2_saveexec_b64 s[34:35], s[34:35]
; %bb.12991:                            ;   in Loop: Header=BB4_12002 Depth=3
	v_mov_b32_e32 v2, -1
	v_cmp_gt_i16_sdwa vcc, sext(v1), v2 src0_sel:BYTE_0 src1_sel:DWORD
	v_mov_b32_e32 v1, 0xff800000
	v_mov_b32_e32 v2, 0x7f800000
	v_cndmask_b32_e32 v1, v1, v2, vcc
	v_cmp_eq_u32_e32 vcc, 0, v22
	v_mov_b32_e32 v2, 0x7f800001
	v_cndmask_b32_e32 v2, v2, v1, vcc
; %bb.12992:                            ;   in Loop: Header=BB4_12002 Depth=3
	s_or_b64 exec, exec, s[34:35]
.LBB4_12993:                            ;   in Loop: Header=BB4_12002 Depth=3
	s_or_b64 exec, exec, s[30:31]
.LBB4_12994:                            ;   in Loop: Header=BB4_12002 Depth=3
	s_or_b64 exec, exec, s[28:29]
	v_add_f32_e32 v3, v3, v2
	v_and_b32_e32 v5, 0x7f800000, v3
	v_mov_b32_e32 v6, v17
	v_cmp_ne_u64_e32 vcc, s[76:77], v[5:6]
	v_and_b32_e32 v1, 0x7fffff, v3
	v_mov_b32_e32 v2, v17
                                        ; implicit-def: $vgpr22
	s_and_saveexec_b64 s[28:29], vcc
	s_xor_b64 s[30:31], exec, s[28:29]
	s_cbranch_execz .LBB4_13008
; %bb.12995:                            ;   in Loop: Header=BB4_12002 Depth=3
	v_and_b32_e32 v5, 0x7fffffff, v3
	v_mov_b32_e32 v6, v17
	v_cmp_gt_u64_e32 vcc, s[78:79], v[5:6]
	v_and_b32_sdwa v31, v3, s96 dst_sel:DWORD dst_unused:UNUSED_PAD src0_sel:BYTE_3 src1_sel:DWORD
                                        ; implicit-def: $vgpr22
	s_and_saveexec_b64 s[28:29], vcc
	s_xor_b64 s[34:35], exec, s[28:29]
	s_cbranch_execz .LBB4_13005
; %bb.12996:                            ;   in Loop: Header=BB4_12002 Depth=3
	v_mov_b32_e32 v22, 0
	v_cmp_ne_u32_e32 vcc, 0, v3
	s_and_saveexec_b64 s[36:37], vcc
	s_cbranch_execz .LBB4_13004
; %bb.12997:                            ;   in Loop: Header=BB4_12002 Depth=3
	v_bfe_u32 v22, v3, 23, 8
	v_cmp_gt_u32_e64 s[28:29], s46, v22
	v_sub_u32_e32 v3, 0x71, v22
	v_cmp_eq_u32_e32 vcc, 0, v22
	v_cndmask_b32_e64 v3, 0, v3, s[28:29]
	v_mov_b32_e32 v6, 0x70
	v_cndmask_b32_e32 v59, v3, v6, vcc
	v_or_b32_e32 v5, 0x800000, v1
	v_add_u32_e32 v3, 21, v59
	v_cndmask_b32_e32 v1, v5, v1, vcc
	v_lshlrev_b64 v[5:6], v3, -1
	v_add_u32_e32 v3, 20, v59
	v_bfi_b32 v5, v5, 0, v1
	v_lshlrev_b64 v[60:61], v3, 1
	v_lshrrev_b64 v[1:2], v59, v[1:2]
	v_bfi_b32 v6, v6, 0, 0
	v_cmp_eq_u64_e64 s[28:29], v[5:6], v[60:61]
	v_mov_b32_e32 v3, v2
	v_mov_b32_e32 v2, v1
	s_and_saveexec_b64 s[38:39], s[28:29]
; %bb.12998:                            ;   in Loop: Header=BB4_12002 Depth=3
	v_bfe_u32 v2, v1, 21, 1
	v_add_co_u32_e64 v2, s[28:29], v1, v2
	v_add_co_u32_e64 v2, s[28:29], -1, v2
; %bb.12999:                            ;   in Loop: Header=BB4_12002 Depth=3
	s_or_b64 exec, exec, s[38:39]
	v_add_u32_e32 v3, 0xffffff81, v22
	v_mov_b32_e32 v5, 0xffffff82
	v_cndmask_b32_e32 v3, v3, v5, vcc
	v_lshrrev_b32_e32 v5, 23, v1
	v_add3_u32 v59, v59, v3, v5
	v_add_u32_e32 v22, 14, v59
	v_and_b32_e32 v2, 0x1fffff, v2
	v_add_u32_e32 v1, v2, v1
	v_mov_b32_e32 v2, v17
	v_cmp_ne_u32_e32 vcc, 0, v22
                                        ; implicit-def: $vgpr3
	s_and_saveexec_b64 s[28:29], vcc
	s_xor_b64 s[28:29], exec, s[28:29]
; %bb.13000:                            ;   in Loop: Header=BB4_12002 Depth=3
	v_cmp_lt_u64_e32 vcc, s[88:89], v[1:2]
	v_add_u32_e32 v3, 15, v59
	v_cndmask_b32_e64 v5, 0, 1, vcc
	v_cndmask_b32_e32 v3, v22, v3, vcc
	v_lshrrev_b64 v[1:2], v5, v[1:2]
; %bb.13001:                            ;   in Loop: Header=BB4_12002 Depth=3
	s_andn2_saveexec_b64 s[28:29], s[28:29]
; %bb.13002:                            ;   in Loop: Header=BB4_12002 Depth=3
	v_bfe_u32 v3, v1, 23, 1
; %bb.13003:                            ;   in Loop: Header=BB4_12002 Depth=3
	s_or_b64 exec, exec, s[28:29]
	v_lshrrev_b64 v[1:2], 21, v[1:2]
	v_cmp_gt_i32_e32 vcc, 32, v3
	v_cndmask_b32_e32 v2, 0, v2, vcc
	v_cndmask_b32_e32 v1, 3, v1, vcc
	v_cmp_eq_u64_e64 s[28:29], 0, v[1:2]
	v_min_i32_e32 v2, 31, v3
	v_lshlrev_b32_e32 v2, 2, v2
	v_cmp_eq_u32_e32 vcc, 0, v3
	v_and_b32_e32 v2, 0xfc, v2
	v_and_or_b32 v1, v1, 3, v2
	s_and_b64 s[28:29], vcc, s[28:29]
	v_cndmask_b32_e64 v1, v1, 0, s[28:29]
	v_or_b32_e32 v22, v1, v31
.LBB4_13004:                            ;   in Loop: Header=BB4_12002 Depth=3
	s_or_b64 exec, exec, s[36:37]
                                        ; implicit-def: $vgpr31
.LBB4_13005:                            ;   in Loop: Header=BB4_12002 Depth=3
	s_andn2_saveexec_b64 s[28:29], s[34:35]
; %bb.13006:                            ;   in Loop: Header=BB4_12002 Depth=3
	v_or_b32_e32 v22, 0x7b, v31
; %bb.13007:                            ;   in Loop: Header=BB4_12002 Depth=3
	s_or_b64 exec, exec, s[28:29]
                                        ; implicit-def: $vgpr3
                                        ; implicit-def: $vgpr1_vgpr2
.LBB4_13008:                            ;   in Loop: Header=BB4_12002 Depth=3
	s_andn2_saveexec_b64 s[28:29], s[30:31]
	s_cbranch_execz .LBB4_13014
; %bb.13009:                            ;   in Loop: Header=BB4_12002 Depth=3
	v_cmp_ne_u64_e32 vcc, 0, v[1:2]
                                        ; implicit-def: $vgpr22
	s_and_saveexec_b64 s[30:31], vcc
	s_xor_b64 vcc, exec, s[30:31]
; %bb.13010:                            ;   in Loop: Header=BB4_12002 Depth=3
	v_or_b32_sdwa v22, v3, s47 dst_sel:DWORD dst_unused:UNUSED_PAD src0_sel:BYTE_3 src1_sel:DWORD
                                        ; implicit-def: $vgpr3
; %bb.13011:                            ;   in Loop: Header=BB4_12002 Depth=3
	s_andn2_saveexec_b64 s[30:31], vcc
; %bb.13012:                            ;   in Loop: Header=BB4_12002 Depth=3
	v_cmp_lt_i32_e32 vcc, -1, v3
	v_bfrev_b32_e32 v1, 0.5
	v_cndmask_b32_e32 v22, v1, v52, vcc
; %bb.13013:                            ;   in Loop: Header=BB4_12002 Depth=3
	s_or_b64 exec, exec, s[30:31]
.LBB4_13014:                            ;   in Loop: Header=BB4_12002 Depth=3
	s_or_b64 exec, exec, s[28:29]
	v_cmp_lt_u32_e32 vcc, s57, v0
	v_mov_b32_e32 v2, 0
	v_mov_b32_e32 v3, 0
	s_and_saveexec_b64 s[28:29], vcc
	s_cbranch_execz .LBB4_13022
; %bb.13015:                            ;   in Loop: Header=BB4_12002 Depth=3
	v_lshrrev_b32_e32 v1, 24, v0
	v_cmp_ne_u32_e32 vcc, s96, v1
	v_bfrev_b32_e32 v3, 1
	s_and_saveexec_b64 s[30:31], vcc
	s_cbranch_execz .LBB4_13021
; %bb.13016:                            ;   in Loop: Header=BB4_12002 Depth=3
	v_and_b32_e32 v3, 0x7c000000, v0
	v_bfe_u32 v31, v0, 24, 2
	v_cmp_ne_u32_e32 vcc, s45, v3
                                        ; implicit-def: $vgpr3
	s_and_saveexec_b64 s[34:35], vcc
	s_xor_b64 s[34:35], exec, s[34:35]
	s_cbranch_execz .LBB4_13018
; %bb.13017:                            ;   in Loop: Header=BB4_12002 Depth=3
	v_ffbh_u32_e32 v5, v31
	v_min_u32_e32 v28, 32, v5
	v_subrev_u32_e32 v5, 29, v28
	v_bfe_u32 v3, v0, 26, 5
	v_lshlrev_b64 v[5:6], v5, v[1:2]
	v_sub_u32_e32 v1, 30, v28
	v_cmp_eq_u32_e32 vcc, 0, v3
	v_and_b32_e32 v5, 3, v5
	v_cndmask_b32_e32 v1, v3, v1, vcc
	v_and_b32_e32 v0, 0x80000000, v0
	v_cndmask_b32_e32 v3, v31, v5, vcc
	v_lshl_add_u32 v0, v1, 23, v0
	v_lshl_or_b32 v0, v3, 21, v0
	v_add_u32_e32 v3, 0x38000000, v0
                                        ; implicit-def: $vgpr31
                                        ; implicit-def: $vgpr0_vgpr1
.LBB4_13018:                            ;   in Loop: Header=BB4_12002 Depth=3
	s_andn2_saveexec_b64 s[34:35], s[34:35]
; %bb.13019:                            ;   in Loop: Header=BB4_12002 Depth=3
	v_cmp_lt_i32_e32 vcc, -1, v0
	v_mov_b32_e32 v0, 0xff800000
	v_mov_b32_e32 v1, 0x7f800000
	v_cndmask_b32_e32 v0, v0, v1, vcc
	v_cmp_eq_u32_e32 vcc, 0, v31
	v_mov_b32_e32 v1, 0x7f800001
	v_cndmask_b32_e32 v3, v1, v0, vcc
; %bb.13020:                            ;   in Loop: Header=BB4_12002 Depth=3
	s_or_b64 exec, exec, s[34:35]
.LBB4_13021:                            ;   in Loop: Header=BB4_12002 Depth=3
	s_or_b64 exec, exec, s[30:31]
.LBB4_13022:                            ;   in Loop: Header=BB4_12002 Depth=3
	s_or_b64 exec, exec, s[28:29]
	v_cmp_lt_u32_e32 vcc, s57, v12
	s_and_saveexec_b64 s[28:29], vcc
	s_cbranch_execz .LBB4_13030
; %bb.13023:                            ;   in Loop: Header=BB4_12002 Depth=3
	v_lshrrev_b32_e32 v0, 24, v12
	v_cmp_ne_u32_e32 vcc, s96, v0
	v_bfrev_b32_e32 v2, 1
	s_and_saveexec_b64 s[30:31], vcc
	s_cbranch_execz .LBB4_13029
; %bb.13024:                            ;   in Loop: Header=BB4_12002 Depth=3
	v_and_b32_e32 v2, 0x7c000000, v12
	v_bfe_u32 v1, v12, 24, 2
	v_cmp_ne_u32_e32 vcc, s45, v2
                                        ; implicit-def: $vgpr2
	s_and_saveexec_b64 s[34:35], vcc
	s_xor_b64 s[34:35], exec, s[34:35]
	s_cbranch_execz .LBB4_13026
; %bb.13025:                            ;   in Loop: Header=BB4_12002 Depth=3
	v_ffbh_u32_e32 v5, v1
	v_min_u32_e32 v28, 32, v5
	v_subrev_u32_e32 v5, 29, v28
	v_bfe_u32 v2, v12, 26, 5
	v_lshlrev_b64 v[5:6], v5, v[0:1]
	v_sub_u32_e32 v0, 30, v28
	v_cmp_eq_u32_e32 vcc, 0, v2
	v_and_b32_e32 v5, 3, v5
	v_cndmask_b32_e32 v0, v2, v0, vcc
	v_and_b32_e32 v2, 0x80000000, v12
	v_cndmask_b32_e32 v1, v1, v5, vcc
	v_lshl_add_u32 v0, v0, 23, v2
	v_lshl_or_b32 v0, v1, 21, v0
	v_add_u32_e32 v2, 0x38000000, v0
                                        ; implicit-def: $vgpr1
.LBB4_13026:                            ;   in Loop: Header=BB4_12002 Depth=3
	s_andn2_saveexec_b64 s[34:35], s[34:35]
; %bb.13027:                            ;   in Loop: Header=BB4_12002 Depth=3
	v_cmp_lt_i32_e32 vcc, -1, v12
	v_mov_b32_e32 v0, 0xff800000
	v_mov_b32_e32 v2, 0x7f800000
	v_cndmask_b32_e32 v0, v0, v2, vcc
	v_cmp_eq_u32_e32 vcc, 0, v1
	v_mov_b32_e32 v1, 0x7f800001
	v_cndmask_b32_e32 v2, v1, v0, vcc
; %bb.13028:                            ;   in Loop: Header=BB4_12002 Depth=3
	s_or_b64 exec, exec, s[34:35]
.LBB4_13029:                            ;   in Loop: Header=BB4_12002 Depth=3
	s_or_b64 exec, exec, s[30:31]
.LBB4_13030:                            ;   in Loop: Header=BB4_12002 Depth=3
	s_or_b64 exec, exec, s[28:29]
	v_add_f32_e32 v2, v3, v2
	v_and_b32_e32 v5, 0x7f800000, v2
	v_mov_b32_e32 v6, v17
	v_cmp_ne_u64_e32 vcc, s[76:77], v[5:6]
	v_and_b32_e32 v0, 0x7fffff, v2
	v_mov_b32_e32 v1, v17
                                        ; implicit-def: $vgpr31
	s_and_saveexec_b64 s[28:29], vcc
	s_xor_b64 s[30:31], exec, s[28:29]
	s_cbranch_execz .LBB4_13044
; %bb.13031:                            ;   in Loop: Header=BB4_12002 Depth=3
	v_and_b32_e32 v5, 0x7fffffff, v2
	v_mov_b32_e32 v6, v17
	v_cmp_gt_u64_e32 vcc, s[78:79], v[5:6]
	v_and_b32_sdwa v3, v2, s96 dst_sel:DWORD dst_unused:UNUSED_PAD src0_sel:BYTE_3 src1_sel:DWORD
                                        ; implicit-def: $vgpr31
	s_and_saveexec_b64 s[28:29], vcc
	s_xor_b64 s[34:35], exec, s[28:29]
	s_cbranch_execz .LBB4_13041
; %bb.13032:                            ;   in Loop: Header=BB4_12002 Depth=3
	v_mov_b32_e32 v31, 0
	v_cmp_ne_u32_e32 vcc, 0, v2
	s_and_saveexec_b64 s[36:37], vcc
	s_cbranch_execz .LBB4_13040
; %bb.13033:                            ;   in Loop: Header=BB4_12002 Depth=3
	v_bfe_u32 v31, v2, 23, 8
	v_cmp_gt_u32_e64 s[28:29], s46, v31
	v_sub_u32_e32 v2, 0x71, v31
	v_cmp_eq_u32_e32 vcc, 0, v31
	v_cndmask_b32_e64 v2, 0, v2, s[28:29]
	v_mov_b32_e32 v6, 0x70
	v_cndmask_b32_e32 v59, v2, v6, vcc
	v_or_b32_e32 v5, 0x800000, v0
	v_add_u32_e32 v2, 21, v59
	v_cndmask_b32_e32 v0, v5, v0, vcc
	v_lshlrev_b64 v[5:6], v2, -1
	v_add_u32_e32 v2, 20, v59
	v_bfi_b32 v5, v5, 0, v0
	v_lshlrev_b64 v[60:61], v2, 1
	v_lshrrev_b64 v[0:1], v59, v[0:1]
	v_bfi_b32 v6, v6, 0, 0
	v_cmp_eq_u64_e64 s[28:29], v[5:6], v[60:61]
	v_mov_b32_e32 v2, v1
	v_mov_b32_e32 v1, v0
	s_and_saveexec_b64 s[38:39], s[28:29]
; %bb.13034:                            ;   in Loop: Header=BB4_12002 Depth=3
	v_bfe_u32 v1, v0, 21, 1
	v_add_co_u32_e64 v1, s[28:29], v0, v1
	v_add_co_u32_e64 v1, s[28:29], -1, v1
; %bb.13035:                            ;   in Loop: Header=BB4_12002 Depth=3
	s_or_b64 exec, exec, s[38:39]
	v_add_u32_e32 v2, 0xffffff81, v31
	v_mov_b32_e32 v5, 0xffffff82
	v_cndmask_b32_e32 v2, v2, v5, vcc
	v_lshrrev_b32_e32 v5, 23, v0
	v_add3_u32 v59, v59, v2, v5
	v_add_u32_e32 v31, 14, v59
	v_and_b32_e32 v1, 0x1fffff, v1
	v_add_u32_e32 v0, v1, v0
	v_mov_b32_e32 v1, v17
	v_cmp_ne_u32_e32 vcc, 0, v31
                                        ; implicit-def: $vgpr2
	s_and_saveexec_b64 s[28:29], vcc
	s_xor_b64 s[28:29], exec, s[28:29]
; %bb.13036:                            ;   in Loop: Header=BB4_12002 Depth=3
	v_cmp_lt_u64_e32 vcc, s[88:89], v[0:1]
	v_add_u32_e32 v2, 15, v59
	v_cndmask_b32_e64 v5, 0, 1, vcc
	v_cndmask_b32_e32 v2, v31, v2, vcc
	v_lshrrev_b64 v[0:1], v5, v[0:1]
; %bb.13037:                            ;   in Loop: Header=BB4_12002 Depth=3
	s_andn2_saveexec_b64 s[28:29], s[28:29]
; %bb.13038:                            ;   in Loop: Header=BB4_12002 Depth=3
	v_bfe_u32 v2, v0, 23, 1
; %bb.13039:                            ;   in Loop: Header=BB4_12002 Depth=3
	s_or_b64 exec, exec, s[28:29]
	v_lshrrev_b64 v[0:1], 21, v[0:1]
	v_cmp_gt_i32_e32 vcc, 32, v2
	v_cndmask_b32_e32 v1, 0, v1, vcc
	v_cndmask_b32_e32 v0, 3, v0, vcc
	v_cmp_eq_u64_e64 s[28:29], 0, v[0:1]
	v_min_i32_e32 v1, 31, v2
	v_lshlrev_b32_e32 v1, 2, v1
	v_cmp_eq_u32_e32 vcc, 0, v2
	v_and_b32_e32 v1, 0xfc, v1
	v_and_or_b32 v0, v0, 3, v1
	s_and_b64 s[28:29], vcc, s[28:29]
	v_cndmask_b32_e64 v0, v0, 0, s[28:29]
	v_or_b32_e32 v31, v0, v3
.LBB4_13040:                            ;   in Loop: Header=BB4_12002 Depth=3
	s_or_b64 exec, exec, s[36:37]
                                        ; implicit-def: $vgpr3
.LBB4_13041:                            ;   in Loop: Header=BB4_12002 Depth=3
	s_andn2_saveexec_b64 s[28:29], s[34:35]
; %bb.13042:                            ;   in Loop: Header=BB4_12002 Depth=3
	v_or_b32_e32 v31, 0x7b, v3
; %bb.13043:                            ;   in Loop: Header=BB4_12002 Depth=3
	s_or_b64 exec, exec, s[28:29]
                                        ; implicit-def: $vgpr2
                                        ; implicit-def: $vgpr0_vgpr1
.LBB4_13044:                            ;   in Loop: Header=BB4_12002 Depth=3
	s_andn2_saveexec_b64 s[28:29], s[30:31]
	s_cbranch_execz .LBB4_13050
; %bb.13045:                            ;   in Loop: Header=BB4_12002 Depth=3
	v_cmp_ne_u64_e32 vcc, 0, v[0:1]
                                        ; implicit-def: $vgpr31
	s_and_saveexec_b64 s[30:31], vcc
	s_xor_b64 vcc, exec, s[30:31]
; %bb.13046:                            ;   in Loop: Header=BB4_12002 Depth=3
	v_or_b32_sdwa v31, v2, s47 dst_sel:DWORD dst_unused:UNUSED_PAD src0_sel:BYTE_3 src1_sel:DWORD
                                        ; implicit-def: $vgpr2
; %bb.13047:                            ;   in Loop: Header=BB4_12002 Depth=3
	s_andn2_saveexec_b64 s[30:31], vcc
; %bb.13048:                            ;   in Loop: Header=BB4_12002 Depth=3
	v_cmp_lt_i32_e32 vcc, -1, v2
	v_bfrev_b32_e32 v0, 0.5
	v_cndmask_b32_e32 v31, v0, v52, vcc
; %bb.13049:                            ;   in Loop: Header=BB4_12002 Depth=3
	s_or_b64 exec, exec, s[30:31]
.LBB4_13050:                            ;   in Loop: Header=BB4_12002 Depth=3
	s_or_b64 exec, exec, s[28:29]
	v_lshl_or_b32 v51, v51, 8, v36
	v_lshlrev_b32_e32 v0, 16, v40
	v_lshlrev_b32_e32 v1, 24, v58
	v_or3_b32 v0, v0, v1, v51
	v_mov_b32_e32 v1, v17
	v_cmp_ne_u32_e32 vcc, 0, v36
	v_mov_b32_e32 v2, 0
	v_mov_b32_e32 v3, 0
	s_and_saveexec_b64 s[30:31], vcc
	s_cbranch_execz .LBB4_13058
; %bb.13051:                            ;   in Loop: Header=BB4_12002 Depth=3
	v_cmp_ne_u32_e32 vcc, s96, v36
	v_bfrev_b32_e32 v3, 1
	s_and_saveexec_b64 s[34:35], vcc
	s_cbranch_execz .LBB4_13057
; %bb.13052:                            ;   in Loop: Header=BB4_12002 Depth=3
	v_and_b32_e32 v3, 0x7c, v36
	v_and_b32_e32 v40, 3, v36
	v_cmp_ne_u32_e32 vcc, s85, v3
                                        ; implicit-def: $vgpr3
	s_and_saveexec_b64 s[28:29], vcc
	s_xor_b64 s[28:29], exec, s[28:29]
	s_cbranch_execz .LBB4_13054
; %bb.13053:                            ;   in Loop: Header=BB4_12002 Depth=3
	v_ffbh_u32_e32 v5, v40
	v_min_u32_e32 v28, 32, v5
	v_subrev_u32_e32 v5, 29, v28
	v_lshlrev_b64 v[5:6], v5, v[0:1]
	v_bfe_u32 v3, v36, 2, 5
	v_sub_u32_e32 v1, 30, v28
	v_and_b32_e32 v5, 3, v5
	v_cmp_eq_u32_e32 vcc, 0, v3
	v_cndmask_b32_e32 v1, v3, v1, vcc
	v_cndmask_b32_e32 v3, v40, v5, vcc
	v_lshlrev_b32_e32 v5, 24, v36
	v_and_b32_e32 v5, 0x80000000, v5
	v_lshl_add_u32 v1, v1, 23, v5
	v_lshl_or_b32 v1, v3, 21, v1
	v_add_u32_e32 v3, 0x38000000, v1
                                        ; implicit-def: $vgpr40
                                        ; implicit-def: $vgpr36
.LBB4_13054:                            ;   in Loop: Header=BB4_12002 Depth=3
	s_andn2_saveexec_b64 s[36:37], s[28:29]
; %bb.13055:                            ;   in Loop: Header=BB4_12002 Depth=3
	v_and_b32_e32 v1, 0x80, v36
	v_cmp_eq_u32_e64 s[28:29], 0, v1
	v_mov_b32_e32 v1, 0xff800000
	v_mov_b32_e32 v3, 0x7f800000
	v_cmp_eq_u32_e32 vcc, 0, v40
	v_cndmask_b32_e64 v1, v1, v3, s[28:29]
	v_mov_b32_e32 v3, 0x7f800001
	v_cndmask_b32_e32 v3, v3, v1, vcc
; %bb.13056:                            ;   in Loop: Header=BB4_12002 Depth=3
	s_or_b64 exec, exec, s[36:37]
.LBB4_13057:                            ;   in Loop: Header=BB4_12002 Depth=3
	s_or_b64 exec, exec, s[34:35]
.LBB4_13058:                            ;   in Loop: Header=BB4_12002 Depth=3
	s_or_b64 exec, exec, s[30:31]
	v_cmp_ne_u16_sdwa vcc, v13, v17 src0_sel:BYTE_0 src1_sel:DWORD
	s_and_saveexec_b64 s[28:29], vcc
	s_cbranch_execz .LBB4_13066
; %bb.13059:                            ;   in Loop: Header=BB4_12002 Depth=3
	v_cmp_ne_u16_sdwa vcc, v13, s96 src0_sel:BYTE_0 src1_sel:DWORD
	v_bfrev_b32_e32 v2, 1
	s_and_saveexec_b64 s[30:31], vcc
	s_cbranch_execz .LBB4_13065
; %bb.13060:                            ;   in Loop: Header=BB4_12002 Depth=3
	v_and_b32_e32 v2, 0x7c, v13
	v_and_b32_e32 v1, 3, v13
	v_cmp_ne_u32_e32 vcc, s85, v2
                                        ; implicit-def: $vgpr2
	s_and_saveexec_b64 s[34:35], vcc
	s_xor_b64 s[34:35], exec, s[34:35]
	s_cbranch_execz .LBB4_13062
; %bb.13061:                            ;   in Loop: Header=BB4_12002 Depth=3
	v_ffbh_u32_e32 v28, v1
	v_min_u32_e32 v28, 32, v28
	v_mov_b32_e32 v5, v13
	v_mov_b32_e32 v6, v17
	v_subrev_u32_e32 v29, 29, v28
	v_lshlrev_b64 v[5:6], v29, v[5:6]
	v_bfe_u32 v2, v13, 2, 5
	v_and_b32_e32 v5, 3, v5
	v_cmp_eq_u32_e32 vcc, 0, v2
	v_sub_u32_e32 v6, 30, v28
	v_cndmask_b32_e32 v1, v1, v5, vcc
	v_lshlrev_b32_e32 v5, 24, v13
	v_cndmask_b32_e32 v2, v2, v6, vcc
	v_and_b32_e32 v5, 0x80000000, v5
	v_lshl_add_u32 v2, v2, 23, v5
	v_lshl_or_b32 v1, v1, 21, v2
	v_add_u32_e32 v2, 0x38000000, v1
                                        ; implicit-def: $vgpr1
.LBB4_13062:                            ;   in Loop: Header=BB4_12002 Depth=3
	s_andn2_saveexec_b64 s[34:35], s[34:35]
; %bb.13063:                            ;   in Loop: Header=BB4_12002 Depth=3
	v_mov_b32_e32 v2, -1
	v_cmp_gt_i16_sdwa vcc, sext(v13), v2 src0_sel:BYTE_0 src1_sel:DWORD
	v_mov_b32_e32 v2, 0xff800000
	v_mov_b32_e32 v5, 0x7f800000
	v_cndmask_b32_e32 v2, v2, v5, vcc
	v_cmp_eq_u32_e32 vcc, 0, v1
	v_mov_b32_e32 v1, 0x7f800001
	v_cndmask_b32_e32 v2, v1, v2, vcc
; %bb.13064:                            ;   in Loop: Header=BB4_12002 Depth=3
	s_or_b64 exec, exec, s[34:35]
.LBB4_13065:                            ;   in Loop: Header=BB4_12002 Depth=3
	s_or_b64 exec, exec, s[30:31]
.LBB4_13066:                            ;   in Loop: Header=BB4_12002 Depth=3
	s_or_b64 exec, exec, s[28:29]
	v_add_f32_e32 v3, v3, v2
	v_and_b32_e32 v5, 0x7f800000, v3
	v_mov_b32_e32 v6, v17
	v_cmp_ne_u64_e32 vcc, s[76:77], v[5:6]
	v_and_b32_e32 v1, 0x7fffff, v3
	v_mov_b32_e32 v2, v17
                                        ; implicit-def: $vgpr36
	s_and_saveexec_b64 s[28:29], vcc
	s_xor_b64 s[30:31], exec, s[28:29]
	s_cbranch_execz .LBB4_13080
; %bb.13067:                            ;   in Loop: Header=BB4_12002 Depth=3
	v_and_b32_e32 v5, 0x7fffffff, v3
	v_mov_b32_e32 v6, v17
	v_cmp_gt_u64_e32 vcc, s[78:79], v[5:6]
	v_and_b32_sdwa v40, v3, s96 dst_sel:DWORD dst_unused:UNUSED_PAD src0_sel:BYTE_3 src1_sel:DWORD
                                        ; implicit-def: $vgpr36
	s_and_saveexec_b64 s[28:29], vcc
	s_xor_b64 s[34:35], exec, s[28:29]
	s_cbranch_execz .LBB4_13077
; %bb.13068:                            ;   in Loop: Header=BB4_12002 Depth=3
	v_mov_b32_e32 v36, 0
	v_cmp_ne_u32_e32 vcc, 0, v3
	s_and_saveexec_b64 s[36:37], vcc
	s_cbranch_execz .LBB4_13076
; %bb.13069:                            ;   in Loop: Header=BB4_12002 Depth=3
	v_bfe_u32 v36, v3, 23, 8
	v_cmp_gt_u32_e64 s[28:29], s46, v36
	v_sub_u32_e32 v3, 0x71, v36
	v_cmp_eq_u32_e32 vcc, 0, v36
	v_cndmask_b32_e64 v3, 0, v3, s[28:29]
	v_mov_b32_e32 v6, 0x70
	v_cndmask_b32_e32 v58, v3, v6, vcc
	v_or_b32_e32 v5, 0x800000, v1
	v_add_u32_e32 v3, 21, v58
	v_cndmask_b32_e32 v1, v5, v1, vcc
	v_lshlrev_b64 v[5:6], v3, -1
	v_add_u32_e32 v3, 20, v58
	v_bfi_b32 v5, v5, 0, v1
	v_lshlrev_b64 v[59:60], v3, 1
	v_lshrrev_b64 v[1:2], v58, v[1:2]
	v_bfi_b32 v6, v6, 0, 0
	v_cmp_eq_u64_e64 s[28:29], v[5:6], v[59:60]
	v_mov_b32_e32 v3, v2
	v_mov_b32_e32 v2, v1
	s_and_saveexec_b64 s[38:39], s[28:29]
; %bb.13070:                            ;   in Loop: Header=BB4_12002 Depth=3
	v_bfe_u32 v2, v1, 21, 1
	v_add_co_u32_e64 v2, s[28:29], v1, v2
	v_add_co_u32_e64 v2, s[28:29], -1, v2
; %bb.13071:                            ;   in Loop: Header=BB4_12002 Depth=3
	s_or_b64 exec, exec, s[38:39]
	v_add_u32_e32 v3, 0xffffff81, v36
	v_mov_b32_e32 v5, 0xffffff82
	v_cndmask_b32_e32 v3, v3, v5, vcc
	v_lshrrev_b32_e32 v5, 23, v1
	v_add3_u32 v58, v58, v3, v5
	v_add_u32_e32 v36, 14, v58
	v_and_b32_e32 v2, 0x1fffff, v2
	v_add_u32_e32 v1, v2, v1
	v_mov_b32_e32 v2, v17
	v_cmp_ne_u32_e32 vcc, 0, v36
                                        ; implicit-def: $vgpr3
	s_and_saveexec_b64 s[28:29], vcc
	s_xor_b64 s[28:29], exec, s[28:29]
; %bb.13072:                            ;   in Loop: Header=BB4_12002 Depth=3
	v_cmp_lt_u64_e32 vcc, s[88:89], v[1:2]
	v_add_u32_e32 v3, 15, v58
	v_cndmask_b32_e64 v5, 0, 1, vcc
	v_cndmask_b32_e32 v3, v36, v3, vcc
	v_lshrrev_b64 v[1:2], v5, v[1:2]
; %bb.13073:                            ;   in Loop: Header=BB4_12002 Depth=3
	s_andn2_saveexec_b64 s[28:29], s[28:29]
; %bb.13074:                            ;   in Loop: Header=BB4_12002 Depth=3
	v_bfe_u32 v3, v1, 23, 1
; %bb.13075:                            ;   in Loop: Header=BB4_12002 Depth=3
	s_or_b64 exec, exec, s[28:29]
	v_lshrrev_b64 v[1:2], 21, v[1:2]
	v_cmp_gt_i32_e32 vcc, 32, v3
	v_cndmask_b32_e32 v2, 0, v2, vcc
	v_cndmask_b32_e32 v1, 3, v1, vcc
	v_cmp_eq_u64_e64 s[28:29], 0, v[1:2]
	v_min_i32_e32 v2, 31, v3
	v_lshlrev_b32_e32 v2, 2, v2
	v_cmp_eq_u32_e32 vcc, 0, v3
	v_and_b32_e32 v2, 0xfc, v2
	v_and_or_b32 v1, v1, 3, v2
	s_and_b64 s[28:29], vcc, s[28:29]
	v_cndmask_b32_e64 v1, v1, 0, s[28:29]
	v_or_b32_e32 v36, v1, v40
.LBB4_13076:                            ;   in Loop: Header=BB4_12002 Depth=3
	s_or_b64 exec, exec, s[36:37]
                                        ; implicit-def: $vgpr40
.LBB4_13077:                            ;   in Loop: Header=BB4_12002 Depth=3
	s_andn2_saveexec_b64 s[28:29], s[34:35]
; %bb.13078:                            ;   in Loop: Header=BB4_12002 Depth=3
	v_or_b32_e32 v36, 0x7b, v40
; %bb.13079:                            ;   in Loop: Header=BB4_12002 Depth=3
	s_or_b64 exec, exec, s[28:29]
                                        ; implicit-def: $vgpr3
                                        ; implicit-def: $vgpr1_vgpr2
.LBB4_13080:                            ;   in Loop: Header=BB4_12002 Depth=3
	s_andn2_saveexec_b64 s[28:29], s[30:31]
	s_cbranch_execz .LBB4_13086
; %bb.13081:                            ;   in Loop: Header=BB4_12002 Depth=3
	v_cmp_ne_u64_e32 vcc, 0, v[1:2]
                                        ; implicit-def: $vgpr36
	s_and_saveexec_b64 s[30:31], vcc
	s_xor_b64 vcc, exec, s[30:31]
; %bb.13082:                            ;   in Loop: Header=BB4_12002 Depth=3
	v_or_b32_sdwa v36, v3, s47 dst_sel:DWORD dst_unused:UNUSED_PAD src0_sel:BYTE_3 src1_sel:DWORD
                                        ; implicit-def: $vgpr3
; %bb.13083:                            ;   in Loop: Header=BB4_12002 Depth=3
	s_andn2_saveexec_b64 s[30:31], vcc
; %bb.13084:                            ;   in Loop: Header=BB4_12002 Depth=3
	v_cmp_lt_i32_e32 vcc, -1, v3
	v_bfrev_b32_e32 v1, 0.5
	v_cndmask_b32_e32 v36, v1, v52, vcc
; %bb.13085:                            ;   in Loop: Header=BB4_12002 Depth=3
	s_or_b64 exec, exec, s[30:31]
.LBB4_13086:                            ;   in Loop: Header=BB4_12002 Depth=3
	s_or_b64 exec, exec, s[28:29]
	v_lshrrev_b16_e32 v1, 8, v51
	v_cmp_ne_u16_e32 vcc, 0, v1
	v_mov_b32_e32 v3, 0
	v_mov_b32_e32 v40, 0
	s_and_saveexec_b64 s[28:29], vcc
	s_cbranch_execz .LBB4_13094
; %bb.13087:                            ;   in Loop: Header=BB4_12002 Depth=3
	v_cmp_ne_u16_e32 vcc, s96, v1
	v_bfrev_b32_e32 v40, 1
	s_and_saveexec_b64 s[30:31], vcc
	s_cbranch_execz .LBB4_13093
; %bb.13088:                            ;   in Loop: Header=BB4_12002 Depth=3
	v_and_b32_e32 v2, 0x7c, v1
	v_and_b32_e32 v58, 3, v1
	v_cmp_ne_u32_e32 vcc, s85, v2
                                        ; implicit-def: $vgpr40
	s_and_saveexec_b64 s[34:35], vcc
	s_xor_b64 s[34:35], exec, s[34:35]
	s_cbranch_execz .LBB4_13090
; %bb.13089:                            ;   in Loop: Header=BB4_12002 Depth=3
	v_ffbh_u32_e32 v6, v58
	v_min_u32_e32 v6, 32, v6
	v_mov_b32_e32 v2, v17
	v_subrev_u32_e32 v28, 29, v6
	v_bfe_u32 v5, v1, 2, 5
	v_lshlrev_b64 v[1:2], v28, v[1:2]
	v_sub_u32_e32 v2, 30, v6
	v_cmp_eq_u32_e32 vcc, 0, v5
	v_cndmask_b32_e32 v2, v5, v2, vcc
	v_lshlrev_b32_e32 v5, 16, v51
	v_and_b32_e32 v1, 3, v1
	v_and_b32_e32 v5, 0x80000000, v5
	v_cndmask_b32_e32 v1, v58, v1, vcc
	v_lshl_add_u32 v2, v2, 23, v5
	v_lshl_or_b32 v1, v1, 21, v2
	v_add_u32_e32 v40, 0x38000000, v1
                                        ; implicit-def: $vgpr58
                                        ; implicit-def: $vgpr51
.LBB4_13090:                            ;   in Loop: Header=BB4_12002 Depth=3
	s_andn2_saveexec_b64 s[34:35], s[34:35]
; %bb.13091:                            ;   in Loop: Header=BB4_12002 Depth=3
	v_cmp_lt_i16_e32 vcc, -1, v51
	v_mov_b32_e32 v1, 0xff800000
	v_mov_b32_e32 v2, 0x7f800000
	v_cndmask_b32_e32 v1, v1, v2, vcc
	v_cmp_eq_u32_e32 vcc, 0, v58
	v_mov_b32_e32 v2, 0x7f800001
	v_cndmask_b32_e32 v40, v2, v1, vcc
; %bb.13092:                            ;   in Loop: Header=BB4_12002 Depth=3
	s_or_b64 exec, exec, s[34:35]
.LBB4_13093:                            ;   in Loop: Header=BB4_12002 Depth=3
	s_or_b64 exec, exec, s[30:31]
.LBB4_13094:                            ;   in Loop: Header=BB4_12002 Depth=3
	s_or_b64 exec, exec, s[28:29]
	v_lshrrev_b16_e32 v1, 8, v13
	v_cmp_ne_u16_e32 vcc, 0, v1
	s_and_saveexec_b64 s[28:29], vcc
	s_cbranch_execz .LBB4_13102
; %bb.13095:                            ;   in Loop: Header=BB4_12002 Depth=3
	v_cmp_ne_u16_e32 vcc, s96, v1
	v_bfrev_b32_e32 v3, 1
	s_and_saveexec_b64 s[30:31], vcc
	s_cbranch_execz .LBB4_13101
; %bb.13096:                            ;   in Loop: Header=BB4_12002 Depth=3
	v_and_b32_e32 v2, 0x7c, v1
	v_and_b32_e32 v51, 3, v1
	v_cmp_ne_u32_e32 vcc, s85, v2
                                        ; implicit-def: $vgpr3
	s_and_saveexec_b64 s[34:35], vcc
	s_xor_b64 s[34:35], exec, s[34:35]
	s_cbranch_execz .LBB4_13098
; %bb.13097:                            ;   in Loop: Header=BB4_12002 Depth=3
	v_ffbh_u32_e32 v5, v51
	v_min_u32_e32 v5, 32, v5
	v_mov_b32_e32 v2, v17
	v_subrev_u32_e32 v6, 29, v5
	v_bfe_u32 v3, v1, 2, 5
	v_lshlrev_b64 v[1:2], v6, v[1:2]
	v_sub_u32_e32 v2, 30, v5
	v_cmp_eq_u32_e32 vcc, 0, v3
	v_cndmask_b32_e32 v2, v3, v2, vcc
	v_lshlrev_b32_e32 v3, 16, v13
	v_and_b32_e32 v1, 3, v1
	v_and_b32_e32 v3, 0x80000000, v3
	v_cndmask_b32_e32 v1, v51, v1, vcc
	v_lshl_add_u32 v2, v2, 23, v3
	v_lshl_or_b32 v1, v1, 21, v2
	v_add_u32_e32 v3, 0x38000000, v1
                                        ; implicit-def: $vgpr51
.LBB4_13098:                            ;   in Loop: Header=BB4_12002 Depth=3
	s_andn2_saveexec_b64 s[34:35], s[34:35]
; %bb.13099:                            ;   in Loop: Header=BB4_12002 Depth=3
	v_cmp_lt_i16_e32 vcc, -1, v13
	v_mov_b32_e32 v1, 0xff800000
	v_mov_b32_e32 v2, 0x7f800000
	v_cndmask_b32_e32 v1, v1, v2, vcc
	v_cmp_eq_u32_e32 vcc, 0, v51
	v_mov_b32_e32 v2, 0x7f800001
	v_cndmask_b32_e32 v3, v2, v1, vcc
; %bb.13100:                            ;   in Loop: Header=BB4_12002 Depth=3
	s_or_b64 exec, exec, s[34:35]
.LBB4_13101:                            ;   in Loop: Header=BB4_12002 Depth=3
	s_or_b64 exec, exec, s[30:31]
.LBB4_13102:                            ;   in Loop: Header=BB4_12002 Depth=3
	s_or_b64 exec, exec, s[28:29]
	v_add_f32_e32 v3, v40, v3
	v_and_b32_e32 v5, 0x7f800000, v3
	v_mov_b32_e32 v6, v17
	v_cmp_ne_u64_e32 vcc, s[76:77], v[5:6]
	v_and_b32_e32 v1, 0x7fffff, v3
	v_mov_b32_e32 v2, v17
                                        ; implicit-def: $vgpr51
	s_and_saveexec_b64 s[28:29], vcc
	s_xor_b64 s[30:31], exec, s[28:29]
	s_cbranch_execz .LBB4_13116
; %bb.13103:                            ;   in Loop: Header=BB4_12002 Depth=3
	v_and_b32_e32 v5, 0x7fffffff, v3
	v_mov_b32_e32 v6, v17
	v_cmp_gt_u64_e32 vcc, s[78:79], v[5:6]
	v_and_b32_sdwa v40, v3, s96 dst_sel:DWORD dst_unused:UNUSED_PAD src0_sel:BYTE_3 src1_sel:DWORD
                                        ; implicit-def: $vgpr51
	s_and_saveexec_b64 s[28:29], vcc
	s_xor_b64 s[34:35], exec, s[28:29]
	s_cbranch_execz .LBB4_13113
; %bb.13104:                            ;   in Loop: Header=BB4_12002 Depth=3
	v_mov_b32_e32 v51, 0
	v_cmp_ne_u32_e32 vcc, 0, v3
	s_and_saveexec_b64 s[36:37], vcc
	s_cbranch_execz .LBB4_13112
; %bb.13105:                            ;   in Loop: Header=BB4_12002 Depth=3
	v_bfe_u32 v51, v3, 23, 8
	v_cmp_gt_u32_e64 s[28:29], s46, v51
	v_sub_u32_e32 v3, 0x71, v51
	v_cmp_eq_u32_e32 vcc, 0, v51
	v_cndmask_b32_e64 v3, 0, v3, s[28:29]
	v_mov_b32_e32 v6, 0x70
	v_cndmask_b32_e32 v58, v3, v6, vcc
	v_or_b32_e32 v5, 0x800000, v1
	v_add_u32_e32 v3, 21, v58
	v_cndmask_b32_e32 v1, v5, v1, vcc
	v_lshlrev_b64 v[5:6], v3, -1
	v_add_u32_e32 v3, 20, v58
	v_bfi_b32 v5, v5, 0, v1
	v_lshlrev_b64 v[59:60], v3, 1
	v_lshrrev_b64 v[1:2], v58, v[1:2]
	v_bfi_b32 v6, v6, 0, 0
	v_cmp_eq_u64_e64 s[28:29], v[5:6], v[59:60]
	v_mov_b32_e32 v3, v2
	v_mov_b32_e32 v2, v1
	s_and_saveexec_b64 s[38:39], s[28:29]
; %bb.13106:                            ;   in Loop: Header=BB4_12002 Depth=3
	v_bfe_u32 v2, v1, 21, 1
	v_add_co_u32_e64 v2, s[28:29], v1, v2
	v_add_co_u32_e64 v2, s[28:29], -1, v2
; %bb.13107:                            ;   in Loop: Header=BB4_12002 Depth=3
	s_or_b64 exec, exec, s[38:39]
	v_add_u32_e32 v3, 0xffffff81, v51
	v_mov_b32_e32 v5, 0xffffff82
	v_cndmask_b32_e32 v3, v3, v5, vcc
	v_lshrrev_b32_e32 v5, 23, v1
	v_add3_u32 v58, v58, v3, v5
	v_add_u32_e32 v51, 14, v58
	v_and_b32_e32 v2, 0x1fffff, v2
	v_add_u32_e32 v1, v2, v1
	v_mov_b32_e32 v2, v17
	v_cmp_ne_u32_e32 vcc, 0, v51
                                        ; implicit-def: $vgpr3
	s_and_saveexec_b64 s[28:29], vcc
	s_xor_b64 s[28:29], exec, s[28:29]
; %bb.13108:                            ;   in Loop: Header=BB4_12002 Depth=3
	v_cmp_lt_u64_e32 vcc, s[88:89], v[1:2]
	v_add_u32_e32 v3, 15, v58
	v_cndmask_b32_e64 v5, 0, 1, vcc
	v_cndmask_b32_e32 v3, v51, v3, vcc
	v_lshrrev_b64 v[1:2], v5, v[1:2]
; %bb.13109:                            ;   in Loop: Header=BB4_12002 Depth=3
	s_andn2_saveexec_b64 s[28:29], s[28:29]
; %bb.13110:                            ;   in Loop: Header=BB4_12002 Depth=3
	v_bfe_u32 v3, v1, 23, 1
; %bb.13111:                            ;   in Loop: Header=BB4_12002 Depth=3
	s_or_b64 exec, exec, s[28:29]
	v_lshrrev_b64 v[1:2], 21, v[1:2]
	v_cmp_gt_i32_e32 vcc, 32, v3
	v_cndmask_b32_e32 v2, 0, v2, vcc
	v_cndmask_b32_e32 v1, 3, v1, vcc
	v_cmp_eq_u64_e64 s[28:29], 0, v[1:2]
	v_min_i32_e32 v2, 31, v3
	v_lshlrev_b32_e32 v2, 2, v2
	v_cmp_eq_u32_e32 vcc, 0, v3
	v_and_b32_e32 v2, 0xfc, v2
	v_and_or_b32 v1, v1, 3, v2
	s_and_b64 s[28:29], vcc, s[28:29]
	v_cndmask_b32_e64 v1, v1, 0, s[28:29]
	v_or_b32_e32 v51, v1, v40
.LBB4_13112:                            ;   in Loop: Header=BB4_12002 Depth=3
	s_or_b64 exec, exec, s[36:37]
                                        ; implicit-def: $vgpr40
.LBB4_13113:                            ;   in Loop: Header=BB4_12002 Depth=3
	s_andn2_saveexec_b64 s[28:29], s[34:35]
; %bb.13114:                            ;   in Loop: Header=BB4_12002 Depth=3
	v_or_b32_e32 v51, 0x7b, v40
; %bb.13115:                            ;   in Loop: Header=BB4_12002 Depth=3
	s_or_b64 exec, exec, s[28:29]
                                        ; implicit-def: $vgpr3
                                        ; implicit-def: $vgpr1_vgpr2
.LBB4_13116:                            ;   in Loop: Header=BB4_12002 Depth=3
	s_andn2_saveexec_b64 s[28:29], s[30:31]
	s_cbranch_execz .LBB4_13122
; %bb.13117:                            ;   in Loop: Header=BB4_12002 Depth=3
	v_cmp_ne_u64_e32 vcc, 0, v[1:2]
                                        ; implicit-def: $vgpr51
	s_and_saveexec_b64 s[30:31], vcc
	s_xor_b64 vcc, exec, s[30:31]
; %bb.13118:                            ;   in Loop: Header=BB4_12002 Depth=3
	v_or_b32_sdwa v51, v3, s47 dst_sel:DWORD dst_unused:UNUSED_PAD src0_sel:BYTE_3 src1_sel:DWORD
                                        ; implicit-def: $vgpr3
; %bb.13119:                            ;   in Loop: Header=BB4_12002 Depth=3
	s_andn2_saveexec_b64 s[30:31], vcc
; %bb.13120:                            ;   in Loop: Header=BB4_12002 Depth=3
	v_cmp_lt_i32_e32 vcc, -1, v3
	v_bfrev_b32_e32 v1, 0.5
	v_cndmask_b32_e32 v51, v1, v52, vcc
; %bb.13121:                            ;   in Loop: Header=BB4_12002 Depth=3
	s_or_b64 exec, exec, s[30:31]
.LBB4_13122:                            ;   in Loop: Header=BB4_12002 Depth=3
	s_or_b64 exec, exec, s[28:29]
	v_and_b32_sdwa v40, v0, s87 dst_sel:DWORD dst_unused:UNUSED_PAD src0_sel:WORD_1 src1_sel:DWORD
	v_lshrrev_b32_e32 v1, 16, v0
	v_cmp_ne_u16_e32 vcc, 0, v40
	v_mov_b32_e32 v2, 0
	v_mov_b32_e32 v3, 0
	s_and_saveexec_b64 s[28:29], vcc
	s_cbranch_execz .LBB4_13130
; %bb.13123:                            ;   in Loop: Header=BB4_12002 Depth=3
	v_cmp_ne_u16_e32 vcc, s96, v40
	v_bfrev_b32_e32 v3, 1
	s_and_saveexec_b64 s[30:31], vcc
	s_cbranch_execz .LBB4_13129
; %bb.13124:                            ;   in Loop: Header=BB4_12002 Depth=3
	v_and_b32_e32 v3, 0x7c0000, v0
	v_bfe_u32 v40, v0, 16, 2
	v_cmp_ne_u32_e32 vcc, s44, v3
                                        ; implicit-def: $vgpr3
	s_and_saveexec_b64 s[34:35], vcc
	s_xor_b64 s[34:35], exec, s[34:35]
	s_cbranch_execz .LBB4_13126
; %bb.13125:                            ;   in Loop: Header=BB4_12002 Depth=3
	v_ffbh_u32_e32 v5, v40
	v_min_u32_e32 v28, 32, v5
	v_subrev_u32_e32 v5, 29, v28
	v_lshlrev_b64 v[5:6], v5, v[1:2]
	v_bfe_u32 v3, v0, 18, 5
	v_sub_u32_e32 v1, 30, v28
	v_and_b32_e32 v5, 3, v5
	v_cmp_eq_u32_e32 vcc, 0, v3
	v_cndmask_b32_e32 v1, v3, v1, vcc
	v_cndmask_b32_e32 v3, v40, v5, vcc
	v_lshlrev_b32_e32 v5, 8, v0
	v_and_b32_e32 v5, 0x80000000, v5
	v_lshl_add_u32 v1, v1, 23, v5
	v_lshl_or_b32 v1, v3, 21, v1
	v_add_u32_e32 v3, 0x38000000, v1
                                        ; implicit-def: $vgpr40
                                        ; implicit-def: $vgpr1
.LBB4_13126:                            ;   in Loop: Header=BB4_12002 Depth=3
	s_andn2_saveexec_b64 s[34:35], s[34:35]
; %bb.13127:                            ;   in Loop: Header=BB4_12002 Depth=3
	v_mov_b32_e32 v3, -1
	v_cmp_gt_i16_sdwa vcc, sext(v1), v3 src0_sel:BYTE_0 src1_sel:DWORD
	v_mov_b32_e32 v1, 0xff800000
	v_mov_b32_e32 v3, 0x7f800000
	v_cndmask_b32_e32 v1, v1, v3, vcc
	v_cmp_eq_u32_e32 vcc, 0, v40
	v_mov_b32_e32 v3, 0x7f800001
	v_cndmask_b32_e32 v3, v3, v1, vcc
; %bb.13128:                            ;   in Loop: Header=BB4_12002 Depth=3
	s_or_b64 exec, exec, s[34:35]
.LBB4_13129:                            ;   in Loop: Header=BB4_12002 Depth=3
	s_or_b64 exec, exec, s[30:31]
.LBB4_13130:                            ;   in Loop: Header=BB4_12002 Depth=3
	s_or_b64 exec, exec, s[28:29]
	v_lshrrev_b32_e32 v1, 16, v13
	v_cmp_ne_u16_sdwa vcc, v1, v17 src0_sel:BYTE_0 src1_sel:DWORD
	s_and_saveexec_b64 s[28:29], vcc
	s_cbranch_execz .LBB4_13138
; %bb.13131:                            ;   in Loop: Header=BB4_12002 Depth=3
	v_cmp_ne_u16_sdwa vcc, v1, s96 src0_sel:BYTE_0 src1_sel:DWORD
	v_bfrev_b32_e32 v2, 1
	s_and_saveexec_b64 s[30:31], vcc
	s_cbranch_execz .LBB4_13137
; %bb.13132:                            ;   in Loop: Header=BB4_12002 Depth=3
	v_and_b32_e32 v2, 0x7c0000, v13
	v_bfe_u32 v40, v13, 16, 2
	v_cmp_ne_u32_e32 vcc, s44, v2
                                        ; implicit-def: $vgpr2
	s_and_saveexec_b64 s[34:35], vcc
	s_xor_b64 s[34:35], exec, s[34:35]
	s_cbranch_execz .LBB4_13134
; %bb.13133:                            ;   in Loop: Header=BB4_12002 Depth=3
	v_ffbh_u32_e32 v2, v40
	v_min_u32_e32 v6, 32, v2
	v_subrev_u32_e32 v2, 29, v6
	v_bfe_u32 v5, v13, 18, 5
	v_lshlrev_b64 v[1:2], v2, v[1:2]
	v_sub_u32_e32 v2, 30, v6
	v_cmp_eq_u32_e32 vcc, 0, v5
	v_cndmask_b32_e32 v2, v5, v2, vcc
	v_lshlrev_b32_e32 v5, 8, v13
	v_and_b32_e32 v1, 3, v1
	v_and_b32_e32 v5, 0x80000000, v5
	v_cndmask_b32_e32 v1, v40, v1, vcc
	v_lshl_add_u32 v2, v2, 23, v5
	v_lshl_or_b32 v1, v1, 21, v2
	v_add_u32_e32 v2, 0x38000000, v1
                                        ; implicit-def: $vgpr40
                                        ; implicit-def: $vgpr1
.LBB4_13134:                            ;   in Loop: Header=BB4_12002 Depth=3
	s_andn2_saveexec_b64 s[34:35], s[34:35]
; %bb.13135:                            ;   in Loop: Header=BB4_12002 Depth=3
	v_mov_b32_e32 v2, -1
	v_cmp_gt_i16_sdwa vcc, sext(v1), v2 src0_sel:BYTE_0 src1_sel:DWORD
	v_mov_b32_e32 v1, 0xff800000
	v_mov_b32_e32 v2, 0x7f800000
	v_cndmask_b32_e32 v1, v1, v2, vcc
	v_cmp_eq_u32_e32 vcc, 0, v40
	v_mov_b32_e32 v2, 0x7f800001
	v_cndmask_b32_e32 v2, v2, v1, vcc
; %bb.13136:                            ;   in Loop: Header=BB4_12002 Depth=3
	s_or_b64 exec, exec, s[34:35]
.LBB4_13137:                            ;   in Loop: Header=BB4_12002 Depth=3
	s_or_b64 exec, exec, s[30:31]
.LBB4_13138:                            ;   in Loop: Header=BB4_12002 Depth=3
	s_or_b64 exec, exec, s[28:29]
	v_add_f32_e32 v3, v3, v2
	v_and_b32_e32 v5, 0x7f800000, v3
	v_mov_b32_e32 v6, v17
	v_cmp_ne_u64_e32 vcc, s[76:77], v[5:6]
	v_and_b32_e32 v1, 0x7fffff, v3
	v_mov_b32_e32 v2, v17
                                        ; implicit-def: $vgpr40
	s_and_saveexec_b64 s[28:29], vcc
	s_xor_b64 s[30:31], exec, s[28:29]
	s_cbranch_execz .LBB4_13152
; %bb.13139:                            ;   in Loop: Header=BB4_12002 Depth=3
	v_and_b32_e32 v5, 0x7fffffff, v3
	v_mov_b32_e32 v6, v17
	v_cmp_gt_u64_e32 vcc, s[78:79], v[5:6]
	v_and_b32_sdwa v58, v3, s96 dst_sel:DWORD dst_unused:UNUSED_PAD src0_sel:BYTE_3 src1_sel:DWORD
                                        ; implicit-def: $vgpr40
	s_and_saveexec_b64 s[28:29], vcc
	s_xor_b64 s[34:35], exec, s[28:29]
	s_cbranch_execz .LBB4_13149
; %bb.13140:                            ;   in Loop: Header=BB4_12002 Depth=3
	v_mov_b32_e32 v40, 0
	v_cmp_ne_u32_e32 vcc, 0, v3
	s_and_saveexec_b64 s[36:37], vcc
	s_cbranch_execz .LBB4_13148
; %bb.13141:                            ;   in Loop: Header=BB4_12002 Depth=3
	v_bfe_u32 v40, v3, 23, 8
	v_cmp_gt_u32_e64 s[28:29], s46, v40
	v_sub_u32_e32 v3, 0x71, v40
	v_cmp_eq_u32_e32 vcc, 0, v40
	v_cndmask_b32_e64 v3, 0, v3, s[28:29]
	v_mov_b32_e32 v6, 0x70
	v_cndmask_b32_e32 v59, v3, v6, vcc
	v_or_b32_e32 v5, 0x800000, v1
	v_add_u32_e32 v3, 21, v59
	v_cndmask_b32_e32 v1, v5, v1, vcc
	v_lshlrev_b64 v[5:6], v3, -1
	v_add_u32_e32 v3, 20, v59
	v_bfi_b32 v5, v5, 0, v1
	v_lshlrev_b64 v[60:61], v3, 1
	v_lshrrev_b64 v[1:2], v59, v[1:2]
	v_bfi_b32 v6, v6, 0, 0
	v_cmp_eq_u64_e64 s[28:29], v[5:6], v[60:61]
	v_mov_b32_e32 v3, v2
	v_mov_b32_e32 v2, v1
	s_and_saveexec_b64 s[38:39], s[28:29]
; %bb.13142:                            ;   in Loop: Header=BB4_12002 Depth=3
	v_bfe_u32 v2, v1, 21, 1
	v_add_co_u32_e64 v2, s[28:29], v1, v2
	v_add_co_u32_e64 v2, s[28:29], -1, v2
; %bb.13143:                            ;   in Loop: Header=BB4_12002 Depth=3
	s_or_b64 exec, exec, s[38:39]
	v_add_u32_e32 v3, 0xffffff81, v40
	v_mov_b32_e32 v5, 0xffffff82
	v_cndmask_b32_e32 v3, v3, v5, vcc
	v_lshrrev_b32_e32 v5, 23, v1
	v_add3_u32 v59, v59, v3, v5
	v_add_u32_e32 v40, 14, v59
	v_and_b32_e32 v2, 0x1fffff, v2
	v_add_u32_e32 v1, v2, v1
	v_mov_b32_e32 v2, v17
	v_cmp_ne_u32_e32 vcc, 0, v40
                                        ; implicit-def: $vgpr3
	s_and_saveexec_b64 s[28:29], vcc
	s_xor_b64 s[28:29], exec, s[28:29]
; %bb.13144:                            ;   in Loop: Header=BB4_12002 Depth=3
	v_cmp_lt_u64_e32 vcc, s[88:89], v[1:2]
	v_add_u32_e32 v3, 15, v59
	v_cndmask_b32_e64 v5, 0, 1, vcc
	v_cndmask_b32_e32 v3, v40, v3, vcc
	v_lshrrev_b64 v[1:2], v5, v[1:2]
; %bb.13145:                            ;   in Loop: Header=BB4_12002 Depth=3
	s_andn2_saveexec_b64 s[28:29], s[28:29]
; %bb.13146:                            ;   in Loop: Header=BB4_12002 Depth=3
	v_bfe_u32 v3, v1, 23, 1
; %bb.13147:                            ;   in Loop: Header=BB4_12002 Depth=3
	s_or_b64 exec, exec, s[28:29]
	v_lshrrev_b64 v[1:2], 21, v[1:2]
	v_cmp_gt_i32_e32 vcc, 32, v3
	v_cndmask_b32_e32 v2, 0, v2, vcc
	v_cndmask_b32_e32 v1, 3, v1, vcc
	v_cmp_eq_u64_e64 s[28:29], 0, v[1:2]
	v_min_i32_e32 v2, 31, v3
	v_lshlrev_b32_e32 v2, 2, v2
	v_cmp_eq_u32_e32 vcc, 0, v3
	v_and_b32_e32 v2, 0xfc, v2
	v_and_or_b32 v1, v1, 3, v2
	s_and_b64 s[28:29], vcc, s[28:29]
	v_cndmask_b32_e64 v1, v1, 0, s[28:29]
	v_or_b32_e32 v40, v1, v58
.LBB4_13148:                            ;   in Loop: Header=BB4_12002 Depth=3
	s_or_b64 exec, exec, s[36:37]
                                        ; implicit-def: $vgpr58
.LBB4_13149:                            ;   in Loop: Header=BB4_12002 Depth=3
	s_andn2_saveexec_b64 s[28:29], s[34:35]
; %bb.13150:                            ;   in Loop: Header=BB4_12002 Depth=3
	v_or_b32_e32 v40, 0x7b, v58
; %bb.13151:                            ;   in Loop: Header=BB4_12002 Depth=3
	s_or_b64 exec, exec, s[28:29]
                                        ; implicit-def: $vgpr3
                                        ; implicit-def: $vgpr1_vgpr2
.LBB4_13152:                            ;   in Loop: Header=BB4_12002 Depth=3
	s_andn2_saveexec_b64 s[28:29], s[30:31]
	s_cbranch_execz .LBB4_13158
; %bb.13153:                            ;   in Loop: Header=BB4_12002 Depth=3
	v_cmp_ne_u64_e32 vcc, 0, v[1:2]
                                        ; implicit-def: $vgpr40
	s_and_saveexec_b64 s[30:31], vcc
	s_xor_b64 vcc, exec, s[30:31]
; %bb.13154:                            ;   in Loop: Header=BB4_12002 Depth=3
	v_or_b32_sdwa v40, v3, s47 dst_sel:DWORD dst_unused:UNUSED_PAD src0_sel:BYTE_3 src1_sel:DWORD
                                        ; implicit-def: $vgpr3
; %bb.13155:                            ;   in Loop: Header=BB4_12002 Depth=3
	s_andn2_saveexec_b64 s[30:31], vcc
; %bb.13156:                            ;   in Loop: Header=BB4_12002 Depth=3
	v_cmp_lt_i32_e32 vcc, -1, v3
	v_bfrev_b32_e32 v1, 0.5
	v_cndmask_b32_e32 v40, v1, v52, vcc
; %bb.13157:                            ;   in Loop: Header=BB4_12002 Depth=3
	s_or_b64 exec, exec, s[30:31]
.LBB4_13158:                            ;   in Loop: Header=BB4_12002 Depth=3
	s_or_b64 exec, exec, s[28:29]
	v_cmp_lt_u32_e32 vcc, s57, v0
	v_mov_b32_e32 v2, 0
	v_mov_b32_e32 v3, 0
	s_and_saveexec_b64 s[28:29], vcc
	s_cbranch_execz .LBB4_13166
; %bb.13159:                            ;   in Loop: Header=BB4_12002 Depth=3
	v_lshrrev_b32_e32 v1, 24, v0
	v_cmp_ne_u32_e32 vcc, s96, v1
	v_bfrev_b32_e32 v3, 1
	s_and_saveexec_b64 s[30:31], vcc
	s_cbranch_execz .LBB4_13165
; %bb.13160:                            ;   in Loop: Header=BB4_12002 Depth=3
	v_and_b32_e32 v3, 0x7c000000, v0
	v_bfe_u32 v58, v0, 24, 2
	v_cmp_ne_u32_e32 vcc, s45, v3
                                        ; implicit-def: $vgpr3
	s_and_saveexec_b64 s[34:35], vcc
	s_xor_b64 s[34:35], exec, s[34:35]
	s_cbranch_execz .LBB4_13162
; %bb.13161:                            ;   in Loop: Header=BB4_12002 Depth=3
	v_ffbh_u32_e32 v5, v58
	v_min_u32_e32 v28, 32, v5
	v_subrev_u32_e32 v5, 29, v28
	v_bfe_u32 v3, v0, 26, 5
	v_lshlrev_b64 v[5:6], v5, v[1:2]
	v_sub_u32_e32 v1, 30, v28
	v_cmp_eq_u32_e32 vcc, 0, v3
	v_and_b32_e32 v5, 3, v5
	v_cndmask_b32_e32 v1, v3, v1, vcc
	v_and_b32_e32 v0, 0x80000000, v0
	v_cndmask_b32_e32 v3, v58, v5, vcc
	v_lshl_add_u32 v0, v1, 23, v0
	v_lshl_or_b32 v0, v3, 21, v0
	v_add_u32_e32 v3, 0x38000000, v0
                                        ; implicit-def: $vgpr58
                                        ; implicit-def: $vgpr0_vgpr1
.LBB4_13162:                            ;   in Loop: Header=BB4_12002 Depth=3
	s_andn2_saveexec_b64 s[34:35], s[34:35]
; %bb.13163:                            ;   in Loop: Header=BB4_12002 Depth=3
	v_cmp_lt_i32_e32 vcc, -1, v0
	v_mov_b32_e32 v0, 0xff800000
	v_mov_b32_e32 v1, 0x7f800000
	v_cndmask_b32_e32 v0, v0, v1, vcc
	v_cmp_eq_u32_e32 vcc, 0, v58
	v_mov_b32_e32 v1, 0x7f800001
	v_cndmask_b32_e32 v3, v1, v0, vcc
; %bb.13164:                            ;   in Loop: Header=BB4_12002 Depth=3
	s_or_b64 exec, exec, s[34:35]
.LBB4_13165:                            ;   in Loop: Header=BB4_12002 Depth=3
	s_or_b64 exec, exec, s[30:31]
.LBB4_13166:                            ;   in Loop: Header=BB4_12002 Depth=3
	s_or_b64 exec, exec, s[28:29]
	v_cmp_lt_u64_e32 vcc, s[56:57], v[12:13]
	s_and_saveexec_b64 s[28:29], vcc
	s_cbranch_execz .LBB4_13174
; %bb.13167:                            ;   in Loop: Header=BB4_12002 Depth=3
	v_lshrrev_b32_e32 v0, 24, v13
	v_cmp_ne_u32_e32 vcc, s96, v0
	v_bfrev_b32_e32 v2, 1
	s_and_saveexec_b64 s[30:31], vcc
	s_cbranch_execz .LBB4_13173
; %bb.13168:                            ;   in Loop: Header=BB4_12002 Depth=3
	v_and_b32_e32 v2, 0x7c000000, v13
	v_bfe_u32 v1, v13, 24, 2
	v_cmp_ne_u32_e32 vcc, s45, v2
                                        ; implicit-def: $vgpr2
	s_and_saveexec_b64 s[34:35], vcc
	s_xor_b64 s[34:35], exec, s[34:35]
	s_cbranch_execz .LBB4_13170
; %bb.13169:                            ;   in Loop: Header=BB4_12002 Depth=3
	v_ffbh_u32_e32 v5, v1
	v_min_u32_e32 v28, 32, v5
	v_subrev_u32_e32 v5, 29, v28
	v_bfe_u32 v2, v13, 26, 5
	v_lshlrev_b64 v[5:6], v5, v[0:1]
	v_sub_u32_e32 v0, 30, v28
	v_cmp_eq_u32_e32 vcc, 0, v2
	v_and_b32_e32 v5, 3, v5
	v_cndmask_b32_e32 v0, v2, v0, vcc
	v_and_b32_e32 v2, 0x80000000, v13
	v_cndmask_b32_e32 v1, v1, v5, vcc
	v_lshl_add_u32 v0, v0, 23, v2
	v_lshl_or_b32 v0, v1, 21, v0
	v_add_u32_e32 v2, 0x38000000, v0
                                        ; implicit-def: $vgpr1
.LBB4_13170:                            ;   in Loop: Header=BB4_12002 Depth=3
	s_andn2_saveexec_b64 s[34:35], s[34:35]
; %bb.13171:                            ;   in Loop: Header=BB4_12002 Depth=3
	v_cmp_lt_i64_e32 vcc, -1, v[12:13]
	v_mov_b32_e32 v0, 0xff800000
	v_mov_b32_e32 v2, 0x7f800000
	v_cndmask_b32_e32 v0, v0, v2, vcc
	v_cmp_eq_u32_e32 vcc, 0, v1
	v_mov_b32_e32 v1, 0x7f800001
	v_cndmask_b32_e32 v2, v1, v0, vcc
; %bb.13172:                            ;   in Loop: Header=BB4_12002 Depth=3
	s_or_b64 exec, exec, s[34:35]
.LBB4_13173:                            ;   in Loop: Header=BB4_12002 Depth=3
	s_or_b64 exec, exec, s[30:31]
.LBB4_13174:                            ;   in Loop: Header=BB4_12002 Depth=3
	s_or_b64 exec, exec, s[28:29]
	v_add_f32_e32 v2, v3, v2
	v_and_b32_e32 v5, 0x7f800000, v2
	v_mov_b32_e32 v6, v17
	v_cmp_ne_u64_e32 vcc, s[76:77], v[5:6]
	v_and_b32_e32 v0, 0x7fffff, v2
	v_mov_b32_e32 v1, v17
                                        ; implicit-def: $vgpr12
	s_and_saveexec_b64 s[28:29], vcc
	s_xor_b64 s[30:31], exec, s[28:29]
	s_cbranch_execz .LBB4_13188
; %bb.13175:                            ;   in Loop: Header=BB4_12002 Depth=3
	v_and_b32_e32 v5, 0x7fffffff, v2
	v_mov_b32_e32 v6, v17
	v_cmp_gt_u64_e32 vcc, s[78:79], v[5:6]
	v_and_b32_sdwa v3, v2, s96 dst_sel:DWORD dst_unused:UNUSED_PAD src0_sel:BYTE_3 src1_sel:DWORD
                                        ; implicit-def: $vgpr12
	s_and_saveexec_b64 s[28:29], vcc
	s_xor_b64 s[34:35], exec, s[28:29]
	s_cbranch_execz .LBB4_13185
; %bb.13176:                            ;   in Loop: Header=BB4_12002 Depth=3
	v_mov_b32_e32 v12, 0
	v_cmp_ne_u32_e32 vcc, 0, v2
	s_and_saveexec_b64 s[36:37], vcc
	s_cbranch_execz .LBB4_13184
; %bb.13177:                            ;   in Loop: Header=BB4_12002 Depth=3
	v_bfe_u32 v12, v2, 23, 8
	v_cmp_gt_u32_e64 s[28:29], s46, v12
	v_sub_u32_e32 v2, 0x71, v12
	v_cmp_eq_u32_e32 vcc, 0, v12
	v_cndmask_b32_e64 v2, 0, v2, s[28:29]
	v_mov_b32_e32 v6, 0x70
	v_cndmask_b32_e32 v13, v2, v6, vcc
	v_or_b32_e32 v5, 0x800000, v0
	v_add_u32_e32 v2, 21, v13
	v_cndmask_b32_e32 v0, v5, v0, vcc
	v_lshlrev_b64 v[5:6], v2, -1
	v_add_u32_e32 v2, 20, v13
	v_bfi_b32 v5, v5, 0, v0
	v_lshlrev_b64 v[58:59], v2, 1
	v_lshrrev_b64 v[0:1], v13, v[0:1]
	v_bfi_b32 v6, v6, 0, 0
	v_cmp_eq_u64_e64 s[28:29], v[5:6], v[58:59]
	v_mov_b32_e32 v2, v1
	v_mov_b32_e32 v1, v0
	s_and_saveexec_b64 s[38:39], s[28:29]
; %bb.13178:                            ;   in Loop: Header=BB4_12002 Depth=3
	v_bfe_u32 v1, v0, 21, 1
	v_add_co_u32_e64 v1, s[28:29], v0, v1
	v_add_co_u32_e64 v1, s[28:29], -1, v1
; %bb.13179:                            ;   in Loop: Header=BB4_12002 Depth=3
	s_or_b64 exec, exec, s[38:39]
	v_add_u32_e32 v2, 0xffffff81, v12
	v_mov_b32_e32 v5, 0xffffff82
	v_cndmask_b32_e32 v2, v2, v5, vcc
	v_lshrrev_b32_e32 v5, 23, v0
	v_add3_u32 v13, v13, v2, v5
	v_add_u32_e32 v12, 14, v13
	v_and_b32_e32 v1, 0x1fffff, v1
	v_add_u32_e32 v0, v1, v0
	v_mov_b32_e32 v1, v17
	v_cmp_ne_u32_e32 vcc, 0, v12
                                        ; implicit-def: $vgpr2
	s_and_saveexec_b64 s[28:29], vcc
	s_xor_b64 s[28:29], exec, s[28:29]
; %bb.13180:                            ;   in Loop: Header=BB4_12002 Depth=3
	v_cmp_lt_u64_e32 vcc, s[88:89], v[0:1]
	v_add_u32_e32 v2, 15, v13
	v_cndmask_b32_e64 v5, 0, 1, vcc
	v_cndmask_b32_e32 v2, v12, v2, vcc
	v_lshrrev_b64 v[0:1], v5, v[0:1]
; %bb.13181:                            ;   in Loop: Header=BB4_12002 Depth=3
	s_andn2_saveexec_b64 s[28:29], s[28:29]
; %bb.13182:                            ;   in Loop: Header=BB4_12002 Depth=3
	v_bfe_u32 v2, v0, 23, 1
; %bb.13183:                            ;   in Loop: Header=BB4_12002 Depth=3
	s_or_b64 exec, exec, s[28:29]
	v_lshrrev_b64 v[0:1], 21, v[0:1]
	v_cmp_gt_i32_e32 vcc, 32, v2
	v_cndmask_b32_e32 v1, 0, v1, vcc
	v_cndmask_b32_e32 v0, 3, v0, vcc
	v_cmp_eq_u64_e64 s[28:29], 0, v[0:1]
	v_min_i32_e32 v1, 31, v2
	v_lshlrev_b32_e32 v1, 2, v1
	v_cmp_eq_u32_e32 vcc, 0, v2
	v_and_b32_e32 v1, 0xfc, v1
	v_and_or_b32 v0, v0, 3, v1
	s_and_b64 s[28:29], vcc, s[28:29]
	v_cndmask_b32_e64 v0, v0, 0, s[28:29]
	v_or_b32_e32 v12, v0, v3
.LBB4_13184:                            ;   in Loop: Header=BB4_12002 Depth=3
	s_or_b64 exec, exec, s[36:37]
                                        ; implicit-def: $vgpr3
.LBB4_13185:                            ;   in Loop: Header=BB4_12002 Depth=3
	s_andn2_saveexec_b64 s[28:29], s[34:35]
; %bb.13186:                            ;   in Loop: Header=BB4_12002 Depth=3
	v_or_b32_e32 v12, 0x7b, v3
; %bb.13187:                            ;   in Loop: Header=BB4_12002 Depth=3
	s_or_b64 exec, exec, s[28:29]
                                        ; implicit-def: $vgpr2
                                        ; implicit-def: $vgpr0_vgpr1
.LBB4_13188:                            ;   in Loop: Header=BB4_12002 Depth=3
	s_andn2_saveexec_b64 s[28:29], s[30:31]
	s_cbranch_execz .LBB4_13194
; %bb.13189:                            ;   in Loop: Header=BB4_12002 Depth=3
	v_cmp_ne_u64_e32 vcc, 0, v[0:1]
                                        ; implicit-def: $vgpr12
	s_and_saveexec_b64 s[30:31], vcc
	s_xor_b64 vcc, exec, s[30:31]
; %bb.13190:                            ;   in Loop: Header=BB4_12002 Depth=3
	v_or_b32_sdwa v12, v2, s47 dst_sel:DWORD dst_unused:UNUSED_PAD src0_sel:BYTE_3 src1_sel:DWORD
                                        ; implicit-def: $vgpr2
; %bb.13191:                            ;   in Loop: Header=BB4_12002 Depth=3
	s_andn2_saveexec_b64 s[30:31], vcc
; %bb.13192:                            ;   in Loop: Header=BB4_12002 Depth=3
	v_cmp_lt_i32_e32 vcc, -1, v2
	v_bfrev_b32_e32 v0, 0.5
	v_cndmask_b32_e32 v12, v0, v52, vcc
; %bb.13193:                            ;   in Loop: Header=BB4_12002 Depth=3
	s_or_b64 exec, exec, s[30:31]
.LBB4_13194:                            ;   in Loop: Header=BB4_12002 Depth=3
	s_or_b64 exec, exec, s[28:29]
	v_lshl_or_b32 v55, v55, 8, v37
	v_lshlrev_b32_e32 v0, 16, v56
	v_lshlrev_b32_e32 v1, 24, v57
	v_or3_b32 v0, v0, v1, v55
	v_mov_b32_e32 v1, v17
	v_cmp_ne_u32_e32 vcc, 0, v37
	v_mov_b32_e32 v2, 0
	v_mov_b32_e32 v3, 0
	s_and_saveexec_b64 s[30:31], vcc
	s_cbranch_execz .LBB4_13202
; %bb.13195:                            ;   in Loop: Header=BB4_12002 Depth=3
	v_cmp_ne_u32_e32 vcc, s96, v37
	v_bfrev_b32_e32 v3, 1
	s_and_saveexec_b64 s[34:35], vcc
	s_cbranch_execz .LBB4_13201
; %bb.13196:                            ;   in Loop: Header=BB4_12002 Depth=3
	v_and_b32_e32 v3, 0x7c, v37
	v_and_b32_e32 v13, 3, v37
	v_cmp_ne_u32_e32 vcc, s85, v3
                                        ; implicit-def: $vgpr3
	s_and_saveexec_b64 s[28:29], vcc
	s_xor_b64 s[28:29], exec, s[28:29]
	s_cbranch_execz .LBB4_13198
; %bb.13197:                            ;   in Loop: Header=BB4_12002 Depth=3
	v_ffbh_u32_e32 v5, v13
	v_min_u32_e32 v28, 32, v5
	v_subrev_u32_e32 v5, 29, v28
	v_lshlrev_b64 v[5:6], v5, v[0:1]
	v_bfe_u32 v3, v37, 2, 5
	v_sub_u32_e32 v1, 30, v28
	v_and_b32_e32 v5, 3, v5
	v_cmp_eq_u32_e32 vcc, 0, v3
	v_cndmask_b32_e32 v1, v3, v1, vcc
	v_cndmask_b32_e32 v3, v13, v5, vcc
	v_lshlrev_b32_e32 v5, 24, v37
	v_and_b32_e32 v5, 0x80000000, v5
	v_lshl_add_u32 v1, v1, 23, v5
	v_lshl_or_b32 v1, v3, 21, v1
	v_add_u32_e32 v3, 0x38000000, v1
                                        ; implicit-def: $vgpr13
                                        ; implicit-def: $vgpr37
.LBB4_13198:                            ;   in Loop: Header=BB4_12002 Depth=3
	s_andn2_saveexec_b64 s[36:37], s[28:29]
; %bb.13199:                            ;   in Loop: Header=BB4_12002 Depth=3
	v_and_b32_e32 v1, 0x80, v37
	v_cmp_eq_u32_e64 s[28:29], 0, v1
	v_mov_b32_e32 v1, 0xff800000
	v_mov_b32_e32 v3, 0x7f800000
	v_cmp_eq_u32_e32 vcc, 0, v13
	v_cndmask_b32_e64 v1, v1, v3, s[28:29]
	v_mov_b32_e32 v3, 0x7f800001
	v_cndmask_b32_e32 v3, v3, v1, vcc
; %bb.13200:                            ;   in Loop: Header=BB4_12002 Depth=3
	s_or_b64 exec, exec, s[36:37]
.LBB4_13201:                            ;   in Loop: Header=BB4_12002 Depth=3
	s_or_b64 exec, exec, s[34:35]
.LBB4_13202:                            ;   in Loop: Header=BB4_12002 Depth=3
	s_or_b64 exec, exec, s[30:31]
	v_cmp_ne_u16_sdwa vcc, v14, v17 src0_sel:BYTE_0 src1_sel:DWORD
	s_and_saveexec_b64 s[28:29], vcc
	s_cbranch_execz .LBB4_13210
; %bb.13203:                            ;   in Loop: Header=BB4_12002 Depth=3
	v_cmp_ne_u16_sdwa vcc, sext(v14), s97 src0_sel:BYTE_0 src1_sel:DWORD
	v_bfrev_b32_e32 v2, 1
	s_and_saveexec_b64 s[30:31], vcc
	s_cbranch_execz .LBB4_13209
; %bb.13204:                            ;   in Loop: Header=BB4_12002 Depth=3
	v_and_b32_e32 v2, 0x7c, v14
	v_and_b32_e32 v1, 3, v14
	v_cmp_ne_u32_e32 vcc, s85, v2
                                        ; implicit-def: $vgpr2
	s_and_saveexec_b64 s[34:35], vcc
	s_xor_b64 s[34:35], exec, s[34:35]
	s_cbranch_execz .LBB4_13206
; %bb.13205:                            ;   in Loop: Header=BB4_12002 Depth=3
	v_ffbh_u32_e32 v5, v1
	v_min_u32_e32 v13, 32, v5
	v_subrev_u32_e32 v5, 29, v13
	v_lshlrev_b64 v[5:6], v5, v[14:15]
	v_bfe_u32 v2, v14, 2, 5
	v_and_b32_e32 v5, 3, v5
	v_cmp_eq_u32_e32 vcc, 0, v2
	v_sub_u32_e32 v6, 30, v13
	v_cndmask_b32_e32 v1, v1, v5, vcc
	v_lshlrev_b32_e32 v5, 24, v14
	v_cndmask_b32_e32 v2, v2, v6, vcc
	v_and_b32_e32 v5, 0x80000000, v5
	v_lshl_add_u32 v2, v2, 23, v5
	v_lshl_or_b32 v1, v1, 21, v2
	v_add_u32_e32 v2, 0x38000000, v1
                                        ; implicit-def: $vgpr1
.LBB4_13206:                            ;   in Loop: Header=BB4_12002 Depth=3
	s_andn2_saveexec_b64 s[34:35], s[34:35]
; %bb.13207:                            ;   in Loop: Header=BB4_12002 Depth=3
	v_mov_b32_e32 v2, -1
	v_cmp_gt_i16_sdwa vcc, sext(v14), v2 src0_sel:BYTE_0 src1_sel:DWORD
	v_mov_b32_e32 v2, 0xff800000
	v_mov_b32_e32 v5, 0x7f800000
	v_cndmask_b32_e32 v2, v2, v5, vcc
	v_cmp_eq_u32_e32 vcc, 0, v1
	v_mov_b32_e32 v1, 0x7f800001
	v_cndmask_b32_e32 v2, v1, v2, vcc
; %bb.13208:                            ;   in Loop: Header=BB4_12002 Depth=3
	s_or_b64 exec, exec, s[34:35]
.LBB4_13209:                            ;   in Loop: Header=BB4_12002 Depth=3
	s_or_b64 exec, exec, s[30:31]
.LBB4_13210:                            ;   in Loop: Header=BB4_12002 Depth=3
	s_or_b64 exec, exec, s[28:29]
	v_add_f32_e32 v3, v3, v2
	v_and_b32_e32 v5, 0x7f800000, v3
	v_mov_b32_e32 v6, v17
	v_cmp_ne_u64_e32 vcc, s[76:77], v[5:6]
	v_and_b32_e32 v1, 0x7fffff, v3
	v_mov_b32_e32 v2, v17
                                        ; implicit-def: $vgpr13
	s_and_saveexec_b64 s[28:29], vcc
	s_xor_b64 s[30:31], exec, s[28:29]
	s_cbranch_execz .LBB4_13224
; %bb.13211:                            ;   in Loop: Header=BB4_12002 Depth=3
	v_and_b32_e32 v5, 0x7fffffff, v3
	v_mov_b32_e32 v6, v17
	v_cmp_gt_u64_e32 vcc, s[78:79], v[5:6]
	v_and_b32_sdwa v37, v3, s96 dst_sel:DWORD dst_unused:UNUSED_PAD src0_sel:BYTE_3 src1_sel:DWORD
                                        ; implicit-def: $vgpr13
	s_and_saveexec_b64 s[28:29], vcc
	s_xor_b64 s[34:35], exec, s[28:29]
	s_cbranch_execz .LBB4_13221
; %bb.13212:                            ;   in Loop: Header=BB4_12002 Depth=3
	v_mov_b32_e32 v13, 0
	v_cmp_ne_u32_e32 vcc, 0, v3
	s_and_saveexec_b64 s[36:37], vcc
	s_cbranch_execz .LBB4_13220
; %bb.13213:                            ;   in Loop: Header=BB4_12002 Depth=3
	v_bfe_u32 v13, v3, 23, 8
	v_cmp_gt_u32_e64 s[28:29], s46, v13
	v_sub_u32_e32 v3, 0x71, v13
	v_cmp_eq_u32_e32 vcc, 0, v13
	v_cndmask_b32_e64 v3, 0, v3, s[28:29]
	v_mov_b32_e32 v6, 0x70
	v_cndmask_b32_e32 v56, v3, v6, vcc
	v_or_b32_e32 v5, 0x800000, v1
	v_add_u32_e32 v3, 21, v56
	v_cndmask_b32_e32 v1, v5, v1, vcc
	v_lshlrev_b64 v[5:6], v3, -1
	v_add_u32_e32 v3, 20, v56
	v_bfi_b32 v5, v5, 0, v1
	v_lshlrev_b64 v[57:58], v3, 1
	v_lshrrev_b64 v[1:2], v56, v[1:2]
	v_bfi_b32 v6, v6, 0, 0
	v_cmp_eq_u64_e64 s[28:29], v[5:6], v[57:58]
	v_mov_b32_e32 v3, v2
	v_mov_b32_e32 v2, v1
	s_and_saveexec_b64 s[38:39], s[28:29]
; %bb.13214:                            ;   in Loop: Header=BB4_12002 Depth=3
	v_bfe_u32 v2, v1, 21, 1
	v_add_co_u32_e64 v2, s[28:29], v1, v2
	v_add_co_u32_e64 v2, s[28:29], -1, v2
; %bb.13215:                            ;   in Loop: Header=BB4_12002 Depth=3
	s_or_b64 exec, exec, s[38:39]
	v_add_u32_e32 v3, 0xffffff81, v13
	v_mov_b32_e32 v5, 0xffffff82
	v_cndmask_b32_e32 v3, v3, v5, vcc
	v_lshrrev_b32_e32 v5, 23, v1
	v_add3_u32 v56, v56, v3, v5
	v_add_u32_e32 v13, 14, v56
	v_and_b32_e32 v2, 0x1fffff, v2
	v_add_u32_e32 v1, v2, v1
	v_mov_b32_e32 v2, v17
	v_cmp_ne_u32_e32 vcc, 0, v13
                                        ; implicit-def: $vgpr3
	s_and_saveexec_b64 s[28:29], vcc
	s_xor_b64 s[28:29], exec, s[28:29]
; %bb.13216:                            ;   in Loop: Header=BB4_12002 Depth=3
	v_cmp_lt_u64_e32 vcc, s[88:89], v[1:2]
	v_add_u32_e32 v3, 15, v56
	v_cndmask_b32_e64 v5, 0, 1, vcc
	v_cndmask_b32_e32 v3, v13, v3, vcc
	v_lshrrev_b64 v[1:2], v5, v[1:2]
; %bb.13217:                            ;   in Loop: Header=BB4_12002 Depth=3
	s_andn2_saveexec_b64 s[28:29], s[28:29]
; %bb.13218:                            ;   in Loop: Header=BB4_12002 Depth=3
	v_bfe_u32 v3, v1, 23, 1
; %bb.13219:                            ;   in Loop: Header=BB4_12002 Depth=3
	s_or_b64 exec, exec, s[28:29]
	v_lshrrev_b64 v[1:2], 21, v[1:2]
	v_cmp_gt_i32_e32 vcc, 32, v3
	v_cndmask_b32_e32 v2, 0, v2, vcc
	v_cndmask_b32_e32 v1, 3, v1, vcc
	v_cmp_eq_u64_e64 s[28:29], 0, v[1:2]
	v_min_i32_e32 v2, 31, v3
	v_lshlrev_b32_e32 v2, 2, v2
	v_cmp_eq_u32_e32 vcc, 0, v3
	v_and_b32_e32 v2, 0xfc, v2
	v_and_or_b32 v1, v1, 3, v2
	s_and_b64 s[28:29], vcc, s[28:29]
	v_cndmask_b32_e64 v1, v1, 0, s[28:29]
	v_or_b32_e32 v13, v1, v37
.LBB4_13220:                            ;   in Loop: Header=BB4_12002 Depth=3
	s_or_b64 exec, exec, s[36:37]
                                        ; implicit-def: $vgpr37
.LBB4_13221:                            ;   in Loop: Header=BB4_12002 Depth=3
	s_andn2_saveexec_b64 s[28:29], s[34:35]
; %bb.13222:                            ;   in Loop: Header=BB4_12002 Depth=3
	v_or_b32_e32 v13, 0x7b, v37
; %bb.13223:                            ;   in Loop: Header=BB4_12002 Depth=3
	s_or_b64 exec, exec, s[28:29]
                                        ; implicit-def: $vgpr3
                                        ; implicit-def: $vgpr1_vgpr2
.LBB4_13224:                            ;   in Loop: Header=BB4_12002 Depth=3
	s_andn2_saveexec_b64 s[28:29], s[30:31]
	s_cbranch_execz .LBB4_13230
; %bb.13225:                            ;   in Loop: Header=BB4_12002 Depth=3
	v_cmp_ne_u64_e32 vcc, 0, v[1:2]
                                        ; implicit-def: $vgpr13
	s_and_saveexec_b64 s[30:31], vcc
	s_xor_b64 vcc, exec, s[30:31]
; %bb.13226:                            ;   in Loop: Header=BB4_12002 Depth=3
	v_or_b32_sdwa v13, v3, s47 dst_sel:DWORD dst_unused:UNUSED_PAD src0_sel:BYTE_3 src1_sel:DWORD
                                        ; implicit-def: $vgpr3
; %bb.13227:                            ;   in Loop: Header=BB4_12002 Depth=3
	s_andn2_saveexec_b64 s[30:31], vcc
; %bb.13228:                            ;   in Loop: Header=BB4_12002 Depth=3
	v_cmp_lt_i32_e32 vcc, -1, v3
	v_bfrev_b32_e32 v1, 0.5
	v_cndmask_b32_e32 v13, v1, v52, vcc
; %bb.13229:                            ;   in Loop: Header=BB4_12002 Depth=3
	s_or_b64 exec, exec, s[30:31]
.LBB4_13230:                            ;   in Loop: Header=BB4_12002 Depth=3
	s_or_b64 exec, exec, s[28:29]
	v_lshrrev_b16_e32 v1, 8, v55
	v_cmp_ne_u16_e32 vcc, 0, v1
	v_mov_b32_e32 v3, 0
	v_mov_b32_e32 v37, 0
	s_and_saveexec_b64 s[28:29], vcc
	s_cbranch_execz .LBB4_13238
; %bb.13231:                            ;   in Loop: Header=BB4_12002 Depth=3
	v_cmp_ne_u16_e32 vcc, s96, v1
	v_bfrev_b32_e32 v37, 1
	s_and_saveexec_b64 s[30:31], vcc
	s_cbranch_execz .LBB4_13237
; %bb.13232:                            ;   in Loop: Header=BB4_12002 Depth=3
	v_and_b32_e32 v2, 0x7c, v1
	v_and_b32_e32 v56, 3, v1
	v_cmp_ne_u32_e32 vcc, s85, v2
                                        ; implicit-def: $vgpr37
	s_and_saveexec_b64 s[34:35], vcc
	s_xor_b64 s[34:35], exec, s[34:35]
	s_cbranch_execz .LBB4_13234
; %bb.13233:                            ;   in Loop: Header=BB4_12002 Depth=3
	v_ffbh_u32_e32 v6, v56
	v_min_u32_e32 v6, 32, v6
	v_mov_b32_e32 v2, v17
	v_subrev_u32_e32 v28, 29, v6
	v_bfe_u32 v5, v1, 2, 5
	v_lshlrev_b64 v[1:2], v28, v[1:2]
	v_sub_u32_e32 v2, 30, v6
	v_cmp_eq_u32_e32 vcc, 0, v5
	v_cndmask_b32_e32 v2, v5, v2, vcc
	v_lshlrev_b32_e32 v5, 16, v55
	v_and_b32_e32 v1, 3, v1
	v_and_b32_e32 v5, 0x80000000, v5
	v_cndmask_b32_e32 v1, v56, v1, vcc
	v_lshl_add_u32 v2, v2, 23, v5
	v_lshl_or_b32 v1, v1, 21, v2
	v_add_u32_e32 v37, 0x38000000, v1
                                        ; implicit-def: $vgpr56
                                        ; implicit-def: $vgpr55
.LBB4_13234:                            ;   in Loop: Header=BB4_12002 Depth=3
	s_andn2_saveexec_b64 s[34:35], s[34:35]
; %bb.13235:                            ;   in Loop: Header=BB4_12002 Depth=3
	v_cmp_lt_i16_e32 vcc, -1, v55
	v_mov_b32_e32 v1, 0xff800000
	v_mov_b32_e32 v2, 0x7f800000
	v_cndmask_b32_e32 v1, v1, v2, vcc
	v_cmp_eq_u32_e32 vcc, 0, v56
	v_mov_b32_e32 v2, 0x7f800001
	v_cndmask_b32_e32 v37, v2, v1, vcc
; %bb.13236:                            ;   in Loop: Header=BB4_12002 Depth=3
	s_or_b64 exec, exec, s[34:35]
.LBB4_13237:                            ;   in Loop: Header=BB4_12002 Depth=3
	s_or_b64 exec, exec, s[30:31]
.LBB4_13238:                            ;   in Loop: Header=BB4_12002 Depth=3
	s_or_b64 exec, exec, s[28:29]
	v_lshrrev_b16_e32 v1, 8, v14
	v_cmp_ne_u16_e32 vcc, 0, v1
	s_and_saveexec_b64 s[28:29], vcc
	s_cbranch_execz .LBB4_13246
; %bb.13239:                            ;   in Loop: Header=BB4_12002 Depth=3
	v_cmp_ne_u16_e32 vcc, s96, v1
	v_bfrev_b32_e32 v3, 1
	s_and_saveexec_b64 s[30:31], vcc
	s_cbranch_execz .LBB4_13245
; %bb.13240:                            ;   in Loop: Header=BB4_12002 Depth=3
	v_and_b32_e32 v2, 0x7c, v1
	v_and_b32_e32 v55, 3, v1
	v_cmp_ne_u32_e32 vcc, s85, v2
                                        ; implicit-def: $vgpr3
	s_and_saveexec_b64 s[34:35], vcc
	s_xor_b64 s[34:35], exec, s[34:35]
	s_cbranch_execz .LBB4_13242
; %bb.13241:                            ;   in Loop: Header=BB4_12002 Depth=3
	v_ffbh_u32_e32 v5, v55
	v_min_u32_e32 v5, 32, v5
	v_mov_b32_e32 v2, v17
	v_subrev_u32_e32 v6, 29, v5
	v_bfe_u32 v3, v1, 2, 5
	v_lshlrev_b64 v[1:2], v6, v[1:2]
	v_sub_u32_e32 v2, 30, v5
	v_cmp_eq_u32_e32 vcc, 0, v3
	v_cndmask_b32_e32 v2, v3, v2, vcc
	v_lshlrev_b32_e32 v3, 16, v14
	v_and_b32_e32 v1, 3, v1
	v_and_b32_e32 v3, 0x80000000, v3
	v_cndmask_b32_e32 v1, v55, v1, vcc
	v_lshl_add_u32 v2, v2, 23, v3
	v_lshl_or_b32 v1, v1, 21, v2
	v_add_u32_e32 v3, 0x38000000, v1
                                        ; implicit-def: $vgpr55
.LBB4_13242:                            ;   in Loop: Header=BB4_12002 Depth=3
	s_andn2_saveexec_b64 s[34:35], s[34:35]
; %bb.13243:                            ;   in Loop: Header=BB4_12002 Depth=3
	v_cmp_lt_i16_e32 vcc, -1, v14
	v_mov_b32_e32 v1, 0xff800000
	v_mov_b32_e32 v2, 0x7f800000
	v_cndmask_b32_e32 v1, v1, v2, vcc
	v_cmp_eq_u32_e32 vcc, 0, v55
	v_mov_b32_e32 v2, 0x7f800001
	v_cndmask_b32_e32 v3, v2, v1, vcc
; %bb.13244:                            ;   in Loop: Header=BB4_12002 Depth=3
	s_or_b64 exec, exec, s[34:35]
.LBB4_13245:                            ;   in Loop: Header=BB4_12002 Depth=3
	s_or_b64 exec, exec, s[30:31]
.LBB4_13246:                            ;   in Loop: Header=BB4_12002 Depth=3
	s_or_b64 exec, exec, s[28:29]
	v_add_f32_e32 v3, v37, v3
	v_and_b32_e32 v5, 0x7f800000, v3
	v_mov_b32_e32 v6, v17
	v_cmp_ne_u64_e32 vcc, s[76:77], v[5:6]
	v_and_b32_e32 v1, 0x7fffff, v3
	v_mov_b32_e32 v2, v17
                                        ; implicit-def: $vgpr37
	s_and_saveexec_b64 s[28:29], vcc
	s_xor_b64 s[30:31], exec, s[28:29]
	s_cbranch_execz .LBB4_13260
; %bb.13247:                            ;   in Loop: Header=BB4_12002 Depth=3
	v_and_b32_e32 v5, 0x7fffffff, v3
	v_mov_b32_e32 v6, v17
	v_cmp_gt_u64_e32 vcc, s[78:79], v[5:6]
	v_and_b32_sdwa v55, v3, s96 dst_sel:DWORD dst_unused:UNUSED_PAD src0_sel:BYTE_3 src1_sel:DWORD
                                        ; implicit-def: $vgpr37
	s_and_saveexec_b64 s[28:29], vcc
	s_xor_b64 s[34:35], exec, s[28:29]
	s_cbranch_execz .LBB4_13257
; %bb.13248:                            ;   in Loop: Header=BB4_12002 Depth=3
	v_mov_b32_e32 v37, 0
	v_cmp_ne_u32_e32 vcc, 0, v3
	s_and_saveexec_b64 s[36:37], vcc
	s_cbranch_execz .LBB4_13256
; %bb.13249:                            ;   in Loop: Header=BB4_12002 Depth=3
	v_bfe_u32 v37, v3, 23, 8
	v_cmp_gt_u32_e64 s[28:29], s46, v37
	v_sub_u32_e32 v3, 0x71, v37
	v_cmp_eq_u32_e32 vcc, 0, v37
	v_cndmask_b32_e64 v3, 0, v3, s[28:29]
	v_mov_b32_e32 v6, 0x70
	v_cndmask_b32_e32 v56, v3, v6, vcc
	v_or_b32_e32 v5, 0x800000, v1
	v_add_u32_e32 v3, 21, v56
	v_cndmask_b32_e32 v1, v5, v1, vcc
	v_lshlrev_b64 v[5:6], v3, -1
	v_add_u32_e32 v3, 20, v56
	v_bfi_b32 v5, v5, 0, v1
	v_lshlrev_b64 v[57:58], v3, 1
	v_lshrrev_b64 v[1:2], v56, v[1:2]
	v_bfi_b32 v6, v6, 0, 0
	v_cmp_eq_u64_e64 s[28:29], v[5:6], v[57:58]
	v_mov_b32_e32 v3, v2
	v_mov_b32_e32 v2, v1
	s_and_saveexec_b64 s[38:39], s[28:29]
; %bb.13250:                            ;   in Loop: Header=BB4_12002 Depth=3
	v_bfe_u32 v2, v1, 21, 1
	v_add_co_u32_e64 v2, s[28:29], v1, v2
	v_add_co_u32_e64 v2, s[28:29], -1, v2
; %bb.13251:                            ;   in Loop: Header=BB4_12002 Depth=3
	s_or_b64 exec, exec, s[38:39]
	v_add_u32_e32 v3, 0xffffff81, v37
	v_mov_b32_e32 v5, 0xffffff82
	v_cndmask_b32_e32 v3, v3, v5, vcc
	v_lshrrev_b32_e32 v5, 23, v1
	v_add3_u32 v56, v56, v3, v5
	v_add_u32_e32 v37, 14, v56
	v_and_b32_e32 v2, 0x1fffff, v2
	v_add_u32_e32 v1, v2, v1
	v_mov_b32_e32 v2, v17
	v_cmp_ne_u32_e32 vcc, 0, v37
                                        ; implicit-def: $vgpr3
	s_and_saveexec_b64 s[28:29], vcc
	s_xor_b64 s[28:29], exec, s[28:29]
; %bb.13252:                            ;   in Loop: Header=BB4_12002 Depth=3
	v_cmp_lt_u64_e32 vcc, s[88:89], v[1:2]
	v_add_u32_e32 v3, 15, v56
	v_cndmask_b32_e64 v5, 0, 1, vcc
	v_cndmask_b32_e32 v3, v37, v3, vcc
	v_lshrrev_b64 v[1:2], v5, v[1:2]
; %bb.13253:                            ;   in Loop: Header=BB4_12002 Depth=3
	s_andn2_saveexec_b64 s[28:29], s[28:29]
; %bb.13254:                            ;   in Loop: Header=BB4_12002 Depth=3
	v_bfe_u32 v3, v1, 23, 1
; %bb.13255:                            ;   in Loop: Header=BB4_12002 Depth=3
	s_or_b64 exec, exec, s[28:29]
	v_lshrrev_b64 v[1:2], 21, v[1:2]
	v_cmp_gt_i32_e32 vcc, 32, v3
	v_cndmask_b32_e32 v2, 0, v2, vcc
	v_cndmask_b32_e32 v1, 3, v1, vcc
	v_cmp_eq_u64_e64 s[28:29], 0, v[1:2]
	v_min_i32_e32 v2, 31, v3
	v_lshlrev_b32_e32 v2, 2, v2
	v_cmp_eq_u32_e32 vcc, 0, v3
	v_and_b32_e32 v2, 0xfc, v2
	v_and_or_b32 v1, v1, 3, v2
	s_and_b64 s[28:29], vcc, s[28:29]
	v_cndmask_b32_e64 v1, v1, 0, s[28:29]
	v_or_b32_e32 v37, v1, v55
.LBB4_13256:                            ;   in Loop: Header=BB4_12002 Depth=3
	s_or_b64 exec, exec, s[36:37]
                                        ; implicit-def: $vgpr55
.LBB4_13257:                            ;   in Loop: Header=BB4_12002 Depth=3
	s_andn2_saveexec_b64 s[28:29], s[34:35]
; %bb.13258:                            ;   in Loop: Header=BB4_12002 Depth=3
	v_or_b32_e32 v37, 0x7b, v55
; %bb.13259:                            ;   in Loop: Header=BB4_12002 Depth=3
	s_or_b64 exec, exec, s[28:29]
                                        ; implicit-def: $vgpr3
                                        ; implicit-def: $vgpr1_vgpr2
.LBB4_13260:                            ;   in Loop: Header=BB4_12002 Depth=3
	s_andn2_saveexec_b64 s[28:29], s[30:31]
	s_cbranch_execz .LBB4_13266
; %bb.13261:                            ;   in Loop: Header=BB4_12002 Depth=3
	v_cmp_ne_u64_e32 vcc, 0, v[1:2]
                                        ; implicit-def: $vgpr37
	s_and_saveexec_b64 s[30:31], vcc
	s_xor_b64 vcc, exec, s[30:31]
; %bb.13262:                            ;   in Loop: Header=BB4_12002 Depth=3
	v_or_b32_sdwa v37, v3, s47 dst_sel:DWORD dst_unused:UNUSED_PAD src0_sel:BYTE_3 src1_sel:DWORD
                                        ; implicit-def: $vgpr3
; %bb.13263:                            ;   in Loop: Header=BB4_12002 Depth=3
	s_andn2_saveexec_b64 s[30:31], vcc
; %bb.13264:                            ;   in Loop: Header=BB4_12002 Depth=3
	v_cmp_lt_i32_e32 vcc, -1, v3
	v_bfrev_b32_e32 v1, 0.5
	v_cndmask_b32_e32 v37, v1, v52, vcc
; %bb.13265:                            ;   in Loop: Header=BB4_12002 Depth=3
	s_or_b64 exec, exec, s[30:31]
.LBB4_13266:                            ;   in Loop: Header=BB4_12002 Depth=3
	s_or_b64 exec, exec, s[28:29]
	v_and_b32_sdwa v55, v0, s87 dst_sel:DWORD dst_unused:UNUSED_PAD src0_sel:WORD_1 src1_sel:DWORD
	v_lshrrev_b32_e32 v1, 16, v0
	v_cmp_ne_u16_e32 vcc, 0, v55
	v_mov_b32_e32 v2, 0
	v_mov_b32_e32 v3, 0
	s_and_saveexec_b64 s[28:29], vcc
	s_cbranch_execz .LBB4_13274
; %bb.13267:                            ;   in Loop: Header=BB4_12002 Depth=3
	v_cmp_ne_u16_e32 vcc, s96, v55
	v_bfrev_b32_e32 v3, 1
	s_and_saveexec_b64 s[30:31], vcc
	s_cbranch_execz .LBB4_13273
; %bb.13268:                            ;   in Loop: Header=BB4_12002 Depth=3
	v_and_b32_e32 v3, 0x7c0000, v0
	v_bfe_u32 v55, v0, 16, 2
	v_cmp_ne_u32_e32 vcc, s44, v3
                                        ; implicit-def: $vgpr3
	s_and_saveexec_b64 s[34:35], vcc
	s_xor_b64 s[34:35], exec, s[34:35]
	s_cbranch_execz .LBB4_13270
; %bb.13269:                            ;   in Loop: Header=BB4_12002 Depth=3
	v_ffbh_u32_e32 v5, v55
	v_min_u32_e32 v28, 32, v5
	v_subrev_u32_e32 v5, 29, v28
	v_lshlrev_b64 v[5:6], v5, v[1:2]
	v_bfe_u32 v3, v0, 18, 5
	v_sub_u32_e32 v1, 30, v28
	v_and_b32_e32 v5, 3, v5
	v_cmp_eq_u32_e32 vcc, 0, v3
	v_cndmask_b32_e32 v1, v3, v1, vcc
	v_cndmask_b32_e32 v3, v55, v5, vcc
	v_lshlrev_b32_e32 v5, 8, v0
	v_and_b32_e32 v5, 0x80000000, v5
	v_lshl_add_u32 v1, v1, 23, v5
	v_lshl_or_b32 v1, v3, 21, v1
	v_add_u32_e32 v3, 0x38000000, v1
                                        ; implicit-def: $vgpr55
                                        ; implicit-def: $vgpr1
.LBB4_13270:                            ;   in Loop: Header=BB4_12002 Depth=3
	s_andn2_saveexec_b64 s[34:35], s[34:35]
; %bb.13271:                            ;   in Loop: Header=BB4_12002 Depth=3
	v_mov_b32_e32 v3, -1
	v_cmp_gt_i16_sdwa vcc, sext(v1), v3 src0_sel:BYTE_0 src1_sel:DWORD
	v_mov_b32_e32 v1, 0xff800000
	v_mov_b32_e32 v3, 0x7f800000
	v_cndmask_b32_e32 v1, v1, v3, vcc
	v_cmp_eq_u32_e32 vcc, 0, v55
	v_mov_b32_e32 v3, 0x7f800001
	v_cndmask_b32_e32 v3, v3, v1, vcc
; %bb.13272:                            ;   in Loop: Header=BB4_12002 Depth=3
	s_or_b64 exec, exec, s[34:35]
.LBB4_13273:                            ;   in Loop: Header=BB4_12002 Depth=3
	s_or_b64 exec, exec, s[30:31]
.LBB4_13274:                            ;   in Loop: Header=BB4_12002 Depth=3
	s_or_b64 exec, exec, s[28:29]
	v_lshrrev_b32_e32 v1, 16, v14
	v_cmp_ne_u16_sdwa vcc, v1, v17 src0_sel:BYTE_0 src1_sel:DWORD
	s_and_saveexec_b64 s[28:29], vcc
	s_cbranch_execz .LBB4_13282
; %bb.13275:                            ;   in Loop: Header=BB4_12002 Depth=3
	v_cmp_ne_u16_sdwa vcc, v1, s96 src0_sel:BYTE_0 src1_sel:DWORD
	v_bfrev_b32_e32 v2, 1
	s_and_saveexec_b64 s[30:31], vcc
	s_cbranch_execz .LBB4_13281
; %bb.13276:                            ;   in Loop: Header=BB4_12002 Depth=3
	v_and_b32_e32 v2, 0x7c0000, v14
	v_bfe_u32 v55, v14, 16, 2
	v_cmp_ne_u32_e32 vcc, s44, v2
                                        ; implicit-def: $vgpr2
	s_and_saveexec_b64 s[34:35], vcc
	s_xor_b64 s[34:35], exec, s[34:35]
	s_cbranch_execz .LBB4_13278
; %bb.13277:                            ;   in Loop: Header=BB4_12002 Depth=3
	v_ffbh_u32_e32 v2, v55
	v_min_u32_e32 v6, 32, v2
	v_subrev_u32_e32 v2, 29, v6
	v_bfe_u32 v5, v14, 18, 5
	v_lshlrev_b64 v[1:2], v2, v[1:2]
	v_sub_u32_e32 v2, 30, v6
	v_cmp_eq_u32_e32 vcc, 0, v5
	v_cndmask_b32_e32 v2, v5, v2, vcc
	v_lshlrev_b32_e32 v5, 8, v14
	v_and_b32_e32 v1, 3, v1
	v_and_b32_e32 v5, 0x80000000, v5
	v_cndmask_b32_e32 v1, v55, v1, vcc
	v_lshl_add_u32 v2, v2, 23, v5
	v_lshl_or_b32 v1, v1, 21, v2
	v_add_u32_e32 v2, 0x38000000, v1
                                        ; implicit-def: $vgpr55
                                        ; implicit-def: $vgpr1
.LBB4_13278:                            ;   in Loop: Header=BB4_12002 Depth=3
	s_andn2_saveexec_b64 s[34:35], s[34:35]
; %bb.13279:                            ;   in Loop: Header=BB4_12002 Depth=3
	v_mov_b32_e32 v2, -1
	v_cmp_gt_i16_sdwa vcc, sext(v1), v2 src0_sel:BYTE_0 src1_sel:DWORD
	v_mov_b32_e32 v1, 0xff800000
	v_mov_b32_e32 v2, 0x7f800000
	v_cndmask_b32_e32 v1, v1, v2, vcc
	v_cmp_eq_u32_e32 vcc, 0, v55
	v_mov_b32_e32 v2, 0x7f800001
	v_cndmask_b32_e32 v2, v2, v1, vcc
; %bb.13280:                            ;   in Loop: Header=BB4_12002 Depth=3
	s_or_b64 exec, exec, s[34:35]
.LBB4_13281:                            ;   in Loop: Header=BB4_12002 Depth=3
	s_or_b64 exec, exec, s[30:31]
.LBB4_13282:                            ;   in Loop: Header=BB4_12002 Depth=3
	s_or_b64 exec, exec, s[28:29]
	v_add_f32_e32 v3, v3, v2
	v_and_b32_e32 v5, 0x7f800000, v3
	v_mov_b32_e32 v6, v17
	v_cmp_ne_u64_e32 vcc, s[76:77], v[5:6]
	v_and_b32_e32 v1, 0x7fffff, v3
	v_mov_b32_e32 v2, v17
                                        ; implicit-def: $vgpr55
	s_and_saveexec_b64 s[28:29], vcc
	s_xor_b64 s[30:31], exec, s[28:29]
	s_cbranch_execz .LBB4_13296
; %bb.13283:                            ;   in Loop: Header=BB4_12002 Depth=3
	v_and_b32_e32 v5, 0x7fffffff, v3
	v_mov_b32_e32 v6, v17
	v_cmp_gt_u64_e32 vcc, s[78:79], v[5:6]
	v_and_b32_sdwa v56, v3, s96 dst_sel:DWORD dst_unused:UNUSED_PAD src0_sel:BYTE_3 src1_sel:DWORD
                                        ; implicit-def: $vgpr55
	s_and_saveexec_b64 s[28:29], vcc
	s_xor_b64 s[34:35], exec, s[28:29]
	s_cbranch_execz .LBB4_13293
; %bb.13284:                            ;   in Loop: Header=BB4_12002 Depth=3
	v_mov_b32_e32 v55, 0
	v_cmp_ne_u32_e32 vcc, 0, v3
	s_and_saveexec_b64 s[36:37], vcc
	s_cbranch_execz .LBB4_13292
; %bb.13285:                            ;   in Loop: Header=BB4_12002 Depth=3
	v_bfe_u32 v55, v3, 23, 8
	v_cmp_gt_u32_e64 s[28:29], s46, v55
	v_sub_u32_e32 v3, 0x71, v55
	v_cmp_eq_u32_e32 vcc, 0, v55
	v_cndmask_b32_e64 v3, 0, v3, s[28:29]
	v_mov_b32_e32 v6, 0x70
	v_cndmask_b32_e32 v57, v3, v6, vcc
	v_or_b32_e32 v5, 0x800000, v1
	v_add_u32_e32 v3, 21, v57
	v_cndmask_b32_e32 v1, v5, v1, vcc
	v_lshlrev_b64 v[5:6], v3, -1
	v_add_u32_e32 v3, 20, v57
	v_bfi_b32 v5, v5, 0, v1
	v_lshlrev_b64 v[58:59], v3, 1
	v_lshrrev_b64 v[1:2], v57, v[1:2]
	v_bfi_b32 v6, v6, 0, 0
	v_cmp_eq_u64_e64 s[28:29], v[5:6], v[58:59]
	v_mov_b32_e32 v3, v2
	v_mov_b32_e32 v2, v1
	s_and_saveexec_b64 s[38:39], s[28:29]
; %bb.13286:                            ;   in Loop: Header=BB4_12002 Depth=3
	v_bfe_u32 v2, v1, 21, 1
	v_add_co_u32_e64 v2, s[28:29], v1, v2
	v_add_co_u32_e64 v2, s[28:29], -1, v2
; %bb.13287:                            ;   in Loop: Header=BB4_12002 Depth=3
	s_or_b64 exec, exec, s[38:39]
	v_add_u32_e32 v3, 0xffffff81, v55
	v_mov_b32_e32 v5, 0xffffff82
	v_cndmask_b32_e32 v3, v3, v5, vcc
	v_lshrrev_b32_e32 v5, 23, v1
	v_add3_u32 v57, v57, v3, v5
	v_add_u32_e32 v55, 14, v57
	v_and_b32_e32 v2, 0x1fffff, v2
	v_add_u32_e32 v1, v2, v1
	v_mov_b32_e32 v2, v17
	v_cmp_ne_u32_e32 vcc, 0, v55
                                        ; implicit-def: $vgpr3
	s_and_saveexec_b64 s[28:29], vcc
	s_xor_b64 s[28:29], exec, s[28:29]
; %bb.13288:                            ;   in Loop: Header=BB4_12002 Depth=3
	v_cmp_lt_u64_e32 vcc, s[88:89], v[1:2]
	v_add_u32_e32 v3, 15, v57
	v_cndmask_b32_e64 v5, 0, 1, vcc
	v_cndmask_b32_e32 v3, v55, v3, vcc
	v_lshrrev_b64 v[1:2], v5, v[1:2]
; %bb.13289:                            ;   in Loop: Header=BB4_12002 Depth=3
	s_andn2_saveexec_b64 s[28:29], s[28:29]
; %bb.13290:                            ;   in Loop: Header=BB4_12002 Depth=3
	v_bfe_u32 v3, v1, 23, 1
; %bb.13291:                            ;   in Loop: Header=BB4_12002 Depth=3
	s_or_b64 exec, exec, s[28:29]
	v_lshrrev_b64 v[1:2], 21, v[1:2]
	v_cmp_gt_i32_e32 vcc, 32, v3
	v_cndmask_b32_e32 v2, 0, v2, vcc
	v_cndmask_b32_e32 v1, 3, v1, vcc
	v_cmp_eq_u64_e64 s[28:29], 0, v[1:2]
	v_min_i32_e32 v2, 31, v3
	v_lshlrev_b32_e32 v2, 2, v2
	v_cmp_eq_u32_e32 vcc, 0, v3
	v_and_b32_e32 v2, 0xfc, v2
	v_and_or_b32 v1, v1, 3, v2
	s_and_b64 s[28:29], vcc, s[28:29]
	v_cndmask_b32_e64 v1, v1, 0, s[28:29]
	v_or_b32_e32 v55, v1, v56
.LBB4_13292:                            ;   in Loop: Header=BB4_12002 Depth=3
	s_or_b64 exec, exec, s[36:37]
                                        ; implicit-def: $vgpr56
.LBB4_13293:                            ;   in Loop: Header=BB4_12002 Depth=3
	s_andn2_saveexec_b64 s[28:29], s[34:35]
; %bb.13294:                            ;   in Loop: Header=BB4_12002 Depth=3
	v_or_b32_e32 v55, 0x7b, v56
; %bb.13295:                            ;   in Loop: Header=BB4_12002 Depth=3
	s_or_b64 exec, exec, s[28:29]
                                        ; implicit-def: $vgpr3
                                        ; implicit-def: $vgpr1_vgpr2
.LBB4_13296:                            ;   in Loop: Header=BB4_12002 Depth=3
	s_andn2_saveexec_b64 s[28:29], s[30:31]
	s_cbranch_execz .LBB4_13302
; %bb.13297:                            ;   in Loop: Header=BB4_12002 Depth=3
	v_cmp_ne_u64_e32 vcc, 0, v[1:2]
                                        ; implicit-def: $vgpr55
	s_and_saveexec_b64 s[30:31], vcc
	s_xor_b64 vcc, exec, s[30:31]
; %bb.13298:                            ;   in Loop: Header=BB4_12002 Depth=3
	v_or_b32_sdwa v55, v3, s47 dst_sel:DWORD dst_unused:UNUSED_PAD src0_sel:BYTE_3 src1_sel:DWORD
                                        ; implicit-def: $vgpr3
; %bb.13299:                            ;   in Loop: Header=BB4_12002 Depth=3
	s_andn2_saveexec_b64 s[30:31], vcc
; %bb.13300:                            ;   in Loop: Header=BB4_12002 Depth=3
	v_cmp_lt_i32_e32 vcc, -1, v3
	v_bfrev_b32_e32 v1, 0.5
	v_cndmask_b32_e32 v55, v1, v52, vcc
; %bb.13301:                            ;   in Loop: Header=BB4_12002 Depth=3
	s_or_b64 exec, exec, s[30:31]
.LBB4_13302:                            ;   in Loop: Header=BB4_12002 Depth=3
	s_or_b64 exec, exec, s[28:29]
	v_cmp_lt_u32_e32 vcc, s57, v0
	v_mov_b32_e32 v2, 0
	v_mov_b32_e32 v3, 0
	s_and_saveexec_b64 s[28:29], vcc
	s_cbranch_execz .LBB4_13310
; %bb.13303:                            ;   in Loop: Header=BB4_12002 Depth=3
	v_lshrrev_b32_e32 v1, 24, v0
	v_cmp_ne_u32_e32 vcc, s96, v1
	v_bfrev_b32_e32 v3, 1
	s_and_saveexec_b64 s[30:31], vcc
	s_cbranch_execz .LBB4_13309
; %bb.13304:                            ;   in Loop: Header=BB4_12002 Depth=3
	v_and_b32_e32 v3, 0x7c000000, v0
	v_bfe_u32 v56, v0, 24, 2
	v_cmp_ne_u32_e32 vcc, s45, v3
                                        ; implicit-def: $vgpr3
	s_and_saveexec_b64 s[34:35], vcc
	s_xor_b64 s[34:35], exec, s[34:35]
	s_cbranch_execz .LBB4_13306
; %bb.13305:                            ;   in Loop: Header=BB4_12002 Depth=3
	v_ffbh_u32_e32 v5, v56
	v_min_u32_e32 v28, 32, v5
	v_subrev_u32_e32 v5, 29, v28
	v_bfe_u32 v3, v0, 26, 5
	v_lshlrev_b64 v[5:6], v5, v[1:2]
	v_sub_u32_e32 v1, 30, v28
	v_cmp_eq_u32_e32 vcc, 0, v3
	v_and_b32_e32 v5, 3, v5
	v_cndmask_b32_e32 v1, v3, v1, vcc
	v_and_b32_e32 v0, 0x80000000, v0
	v_cndmask_b32_e32 v3, v56, v5, vcc
	v_lshl_add_u32 v0, v1, 23, v0
	v_lshl_or_b32 v0, v3, 21, v0
	v_add_u32_e32 v3, 0x38000000, v0
                                        ; implicit-def: $vgpr56
                                        ; implicit-def: $vgpr0_vgpr1
.LBB4_13306:                            ;   in Loop: Header=BB4_12002 Depth=3
	s_andn2_saveexec_b64 s[34:35], s[34:35]
; %bb.13307:                            ;   in Loop: Header=BB4_12002 Depth=3
	v_cmp_lt_i32_e32 vcc, -1, v0
	v_mov_b32_e32 v0, 0xff800000
	v_mov_b32_e32 v1, 0x7f800000
	v_cndmask_b32_e32 v0, v0, v1, vcc
	v_cmp_eq_u32_e32 vcc, 0, v56
	v_mov_b32_e32 v1, 0x7f800001
	v_cndmask_b32_e32 v3, v1, v0, vcc
; %bb.13308:                            ;   in Loop: Header=BB4_12002 Depth=3
	s_or_b64 exec, exec, s[34:35]
.LBB4_13309:                            ;   in Loop: Header=BB4_12002 Depth=3
	s_or_b64 exec, exec, s[30:31]
.LBB4_13310:                            ;   in Loop: Header=BB4_12002 Depth=3
	s_or_b64 exec, exec, s[28:29]
	v_cmp_lt_u32_e32 vcc, s57, v14
	s_and_saveexec_b64 s[28:29], vcc
	s_cbranch_execz .LBB4_13318
; %bb.13311:                            ;   in Loop: Header=BB4_12002 Depth=3
	v_lshrrev_b32_e32 v0, 24, v14
	v_cmp_ne_u32_e32 vcc, s96, v0
	v_bfrev_b32_e32 v2, 1
	s_and_saveexec_b64 s[30:31], vcc
	s_cbranch_execz .LBB4_13317
; %bb.13312:                            ;   in Loop: Header=BB4_12002 Depth=3
	v_and_b32_e32 v2, 0x7c000000, v14
	v_bfe_u32 v1, v14, 24, 2
	v_cmp_ne_u32_e32 vcc, s45, v2
                                        ; implicit-def: $vgpr2
	s_and_saveexec_b64 s[34:35], vcc
	s_xor_b64 s[34:35], exec, s[34:35]
	s_cbranch_execz .LBB4_13314
; %bb.13313:                            ;   in Loop: Header=BB4_12002 Depth=3
	v_ffbh_u32_e32 v5, v1
	v_min_u32_e32 v28, 32, v5
	v_subrev_u32_e32 v5, 29, v28
	v_bfe_u32 v2, v14, 26, 5
	v_lshlrev_b64 v[5:6], v5, v[0:1]
	v_sub_u32_e32 v0, 30, v28
	v_cmp_eq_u32_e32 vcc, 0, v2
	v_and_b32_e32 v5, 3, v5
	v_cndmask_b32_e32 v0, v2, v0, vcc
	v_and_b32_e32 v2, 0x80000000, v14
	v_cndmask_b32_e32 v1, v1, v5, vcc
	v_lshl_add_u32 v0, v0, 23, v2
	v_lshl_or_b32 v0, v1, 21, v0
	v_add_u32_e32 v2, 0x38000000, v0
                                        ; implicit-def: $vgpr1
.LBB4_13314:                            ;   in Loop: Header=BB4_12002 Depth=3
	s_andn2_saveexec_b64 s[34:35], s[34:35]
; %bb.13315:                            ;   in Loop: Header=BB4_12002 Depth=3
	v_cmp_lt_i32_e32 vcc, -1, v14
	v_mov_b32_e32 v0, 0xff800000
	v_mov_b32_e32 v2, 0x7f800000
	v_cndmask_b32_e32 v0, v0, v2, vcc
	v_cmp_eq_u32_e32 vcc, 0, v1
	v_mov_b32_e32 v1, 0x7f800001
	v_cndmask_b32_e32 v2, v1, v0, vcc
; %bb.13316:                            ;   in Loop: Header=BB4_12002 Depth=3
	s_or_b64 exec, exec, s[34:35]
.LBB4_13317:                            ;   in Loop: Header=BB4_12002 Depth=3
	s_or_b64 exec, exec, s[30:31]
.LBB4_13318:                            ;   in Loop: Header=BB4_12002 Depth=3
	s_or_b64 exec, exec, s[28:29]
	v_add_f32_e32 v2, v3, v2
	v_and_b32_e32 v5, 0x7f800000, v2
	v_mov_b32_e32 v6, v17
	v_cmp_ne_u64_e32 vcc, s[76:77], v[5:6]
	v_and_b32_e32 v0, 0x7fffff, v2
	v_mov_b32_e32 v1, v17
                                        ; implicit-def: $vgpr56
	s_and_saveexec_b64 s[28:29], vcc
	s_xor_b64 s[30:31], exec, s[28:29]
	s_cbranch_execz .LBB4_13332
; %bb.13319:                            ;   in Loop: Header=BB4_12002 Depth=3
	v_and_b32_e32 v5, 0x7fffffff, v2
	v_mov_b32_e32 v6, v17
	v_cmp_gt_u64_e32 vcc, s[78:79], v[5:6]
	v_and_b32_sdwa v3, v2, s96 dst_sel:DWORD dst_unused:UNUSED_PAD src0_sel:BYTE_3 src1_sel:DWORD
                                        ; implicit-def: $vgpr56
	s_and_saveexec_b64 s[28:29], vcc
	s_xor_b64 s[34:35], exec, s[28:29]
	s_cbranch_execz .LBB4_13329
; %bb.13320:                            ;   in Loop: Header=BB4_12002 Depth=3
	v_mov_b32_e32 v56, 0
	v_cmp_ne_u32_e32 vcc, 0, v2
	s_and_saveexec_b64 s[36:37], vcc
	s_cbranch_execz .LBB4_13328
; %bb.13321:                            ;   in Loop: Header=BB4_12002 Depth=3
	v_bfe_u32 v56, v2, 23, 8
	v_cmp_gt_u32_e64 s[28:29], s46, v56
	v_sub_u32_e32 v2, 0x71, v56
	v_cmp_eq_u32_e32 vcc, 0, v56
	v_cndmask_b32_e64 v2, 0, v2, s[28:29]
	v_mov_b32_e32 v6, 0x70
	v_cndmask_b32_e32 v57, v2, v6, vcc
	v_or_b32_e32 v5, 0x800000, v0
	v_add_u32_e32 v2, 21, v57
	v_cndmask_b32_e32 v0, v5, v0, vcc
	v_lshlrev_b64 v[5:6], v2, -1
	v_add_u32_e32 v2, 20, v57
	v_bfi_b32 v5, v5, 0, v0
	v_lshlrev_b64 v[58:59], v2, 1
	v_lshrrev_b64 v[0:1], v57, v[0:1]
	v_bfi_b32 v6, v6, 0, 0
	v_cmp_eq_u64_e64 s[28:29], v[5:6], v[58:59]
	v_mov_b32_e32 v2, v1
	v_mov_b32_e32 v1, v0
	s_and_saveexec_b64 s[38:39], s[28:29]
; %bb.13322:                            ;   in Loop: Header=BB4_12002 Depth=3
	v_bfe_u32 v1, v0, 21, 1
	v_add_co_u32_e64 v1, s[28:29], v0, v1
	v_add_co_u32_e64 v1, s[28:29], -1, v1
; %bb.13323:                            ;   in Loop: Header=BB4_12002 Depth=3
	s_or_b64 exec, exec, s[38:39]
	v_add_u32_e32 v2, 0xffffff81, v56
	v_mov_b32_e32 v5, 0xffffff82
	v_cndmask_b32_e32 v2, v2, v5, vcc
	v_lshrrev_b32_e32 v5, 23, v0
	v_add3_u32 v57, v57, v2, v5
	v_add_u32_e32 v56, 14, v57
	v_and_b32_e32 v1, 0x1fffff, v1
	v_add_u32_e32 v0, v1, v0
	v_mov_b32_e32 v1, v17
	v_cmp_ne_u32_e32 vcc, 0, v56
                                        ; implicit-def: $vgpr2
	s_and_saveexec_b64 s[28:29], vcc
	s_xor_b64 s[28:29], exec, s[28:29]
; %bb.13324:                            ;   in Loop: Header=BB4_12002 Depth=3
	v_cmp_lt_u64_e32 vcc, s[88:89], v[0:1]
	v_add_u32_e32 v2, 15, v57
	v_cndmask_b32_e64 v5, 0, 1, vcc
	v_cndmask_b32_e32 v2, v56, v2, vcc
	v_lshrrev_b64 v[0:1], v5, v[0:1]
; %bb.13325:                            ;   in Loop: Header=BB4_12002 Depth=3
	s_andn2_saveexec_b64 s[28:29], s[28:29]
; %bb.13326:                            ;   in Loop: Header=BB4_12002 Depth=3
	v_bfe_u32 v2, v0, 23, 1
; %bb.13327:                            ;   in Loop: Header=BB4_12002 Depth=3
	s_or_b64 exec, exec, s[28:29]
	v_lshrrev_b64 v[0:1], 21, v[0:1]
	v_cmp_gt_i32_e32 vcc, 32, v2
	v_cndmask_b32_e32 v1, 0, v1, vcc
	v_cndmask_b32_e32 v0, 3, v0, vcc
	v_cmp_eq_u64_e64 s[28:29], 0, v[0:1]
	v_min_i32_e32 v1, 31, v2
	v_lshlrev_b32_e32 v1, 2, v1
	v_cmp_eq_u32_e32 vcc, 0, v2
	v_and_b32_e32 v1, 0xfc, v1
	v_and_or_b32 v0, v0, 3, v1
	s_and_b64 s[28:29], vcc, s[28:29]
	v_cndmask_b32_e64 v0, v0, 0, s[28:29]
	v_or_b32_e32 v56, v0, v3
.LBB4_13328:                            ;   in Loop: Header=BB4_12002 Depth=3
	s_or_b64 exec, exec, s[36:37]
                                        ; implicit-def: $vgpr3
.LBB4_13329:                            ;   in Loop: Header=BB4_12002 Depth=3
	s_andn2_saveexec_b64 s[28:29], s[34:35]
; %bb.13330:                            ;   in Loop: Header=BB4_12002 Depth=3
	v_or_b32_e32 v56, 0x7b, v3
; %bb.13331:                            ;   in Loop: Header=BB4_12002 Depth=3
	s_or_b64 exec, exec, s[28:29]
                                        ; implicit-def: $vgpr2
                                        ; implicit-def: $vgpr0_vgpr1
.LBB4_13332:                            ;   in Loop: Header=BB4_12002 Depth=3
	s_andn2_saveexec_b64 s[28:29], s[30:31]
	s_cbranch_execz .LBB4_13338
; %bb.13333:                            ;   in Loop: Header=BB4_12002 Depth=3
	v_cmp_ne_u64_e32 vcc, 0, v[0:1]
                                        ; implicit-def: $vgpr56
	s_and_saveexec_b64 s[30:31], vcc
	s_xor_b64 vcc, exec, s[30:31]
; %bb.13334:                            ;   in Loop: Header=BB4_12002 Depth=3
	v_or_b32_sdwa v56, v2, s47 dst_sel:DWORD dst_unused:UNUSED_PAD src0_sel:BYTE_3 src1_sel:DWORD
                                        ; implicit-def: $vgpr2
; %bb.13335:                            ;   in Loop: Header=BB4_12002 Depth=3
	s_andn2_saveexec_b64 s[30:31], vcc
; %bb.13336:                            ;   in Loop: Header=BB4_12002 Depth=3
	v_cmp_lt_i32_e32 vcc, -1, v2
	v_bfrev_b32_e32 v0, 0.5
	v_cndmask_b32_e32 v56, v0, v52, vcc
; %bb.13337:                            ;   in Loop: Header=BB4_12002 Depth=3
	s_or_b64 exec, exec, s[30:31]
.LBB4_13338:                            ;   in Loop: Header=BB4_12002 Depth=3
	s_or_b64 exec, exec, s[28:29]
	v_lshlrev_b32_e32 v0, 24, v41
	v_lshlrev_b32_e32 v1, 16, v54
	v_lshl_or_b32 v50, v50, 8, v32
	v_or3_b32 v0, v1, v0, v50
	v_mov_b32_e32 v1, v17
	v_cmp_ne_u32_e32 vcc, 0, v32
	v_mov_b32_e32 v2, 0
	v_mov_b32_e32 v3, 0
	s_and_saveexec_b64 s[30:31], vcc
	s_cbranch_execz .LBB4_13346
; %bb.13339:                            ;   in Loop: Header=BB4_12002 Depth=3
	v_cmp_ne_u32_e32 vcc, s96, v32
	v_bfrev_b32_e32 v3, 1
	s_and_saveexec_b64 s[34:35], vcc
	s_cbranch_execz .LBB4_13345
; %bb.13340:                            ;   in Loop: Header=BB4_12002 Depth=3
	v_and_b32_e32 v3, 0x7c, v32
	v_and_b32_e32 v54, 3, v32
	v_cmp_ne_u32_e32 vcc, s85, v3
                                        ; implicit-def: $vgpr3
	s_and_saveexec_b64 s[28:29], vcc
	s_xor_b64 s[28:29], exec, s[28:29]
	s_cbranch_execz .LBB4_13342
; %bb.13341:                            ;   in Loop: Header=BB4_12002 Depth=3
	v_ffbh_u32_e32 v5, v54
	v_min_u32_e32 v28, 32, v5
	v_subrev_u32_e32 v5, 29, v28
	v_lshlrev_b64 v[5:6], v5, v[0:1]
	v_bfe_u32 v3, v32, 2, 5
	v_sub_u32_e32 v1, 30, v28
	v_and_b32_e32 v5, 3, v5
	v_cmp_eq_u32_e32 vcc, 0, v3
	v_cndmask_b32_e32 v1, v3, v1, vcc
	v_cndmask_b32_e32 v3, v54, v5, vcc
	v_lshlrev_b32_e32 v5, 24, v32
	v_and_b32_e32 v5, 0x80000000, v5
	v_lshl_add_u32 v1, v1, 23, v5
	v_lshl_or_b32 v1, v3, 21, v1
	v_add_u32_e32 v3, 0x38000000, v1
                                        ; implicit-def: $vgpr54
                                        ; implicit-def: $vgpr32
.LBB4_13342:                            ;   in Loop: Header=BB4_12002 Depth=3
	s_andn2_saveexec_b64 s[36:37], s[28:29]
; %bb.13343:                            ;   in Loop: Header=BB4_12002 Depth=3
	v_and_b32_e32 v1, 0x80, v32
	v_cmp_eq_u32_e64 s[28:29], 0, v1
	v_mov_b32_e32 v1, 0xff800000
	v_mov_b32_e32 v3, 0x7f800000
	v_cmp_eq_u32_e32 vcc, 0, v54
	v_cndmask_b32_e64 v1, v1, v3, s[28:29]
	v_mov_b32_e32 v3, 0x7f800001
	v_cndmask_b32_e32 v3, v3, v1, vcc
; %bb.13344:                            ;   in Loop: Header=BB4_12002 Depth=3
	s_or_b64 exec, exec, s[36:37]
.LBB4_13345:                            ;   in Loop: Header=BB4_12002 Depth=3
	s_or_b64 exec, exec, s[34:35]
.LBB4_13346:                            ;   in Loop: Header=BB4_12002 Depth=3
	s_or_b64 exec, exec, s[30:31]
	v_cmp_ne_u16_sdwa vcc, v15, v17 src0_sel:BYTE_0 src1_sel:DWORD
	s_and_saveexec_b64 s[28:29], vcc
	s_cbranch_execz .LBB4_13354
; %bb.13347:                            ;   in Loop: Header=BB4_12002 Depth=3
	v_cmp_ne_u16_sdwa vcc, v15, s96 src0_sel:BYTE_0 src1_sel:DWORD
	v_bfrev_b32_e32 v2, 1
	s_and_saveexec_b64 s[30:31], vcc
	s_cbranch_execz .LBB4_13353
; %bb.13348:                            ;   in Loop: Header=BB4_12002 Depth=3
	v_and_b32_e32 v2, 0x7c, v15
	v_and_b32_e32 v1, 3, v15
	v_cmp_ne_u32_e32 vcc, s85, v2
                                        ; implicit-def: $vgpr2
	s_and_saveexec_b64 s[34:35], vcc
	s_xor_b64 s[34:35], exec, s[34:35]
	s_cbranch_execz .LBB4_13350
; %bb.13349:                            ;   in Loop: Header=BB4_12002 Depth=3
	v_ffbh_u32_e32 v28, v1
	v_min_u32_e32 v28, 32, v28
	v_mov_b32_e32 v5, v15
	v_mov_b32_e32 v6, v17
	v_subrev_u32_e32 v29, 29, v28
	v_lshlrev_b64 v[5:6], v29, v[5:6]
	v_bfe_u32 v2, v15, 2, 5
	v_and_b32_e32 v5, 3, v5
	v_cmp_eq_u32_e32 vcc, 0, v2
	v_sub_u32_e32 v6, 30, v28
	v_cndmask_b32_e32 v1, v1, v5, vcc
	v_lshlrev_b32_e32 v5, 24, v15
	v_cndmask_b32_e32 v2, v2, v6, vcc
	v_and_b32_e32 v5, 0x80000000, v5
	v_lshl_add_u32 v2, v2, 23, v5
	v_lshl_or_b32 v1, v1, 21, v2
	v_add_u32_e32 v2, 0x38000000, v1
                                        ; implicit-def: $vgpr1
.LBB4_13350:                            ;   in Loop: Header=BB4_12002 Depth=3
	s_andn2_saveexec_b64 s[34:35], s[34:35]
; %bb.13351:                            ;   in Loop: Header=BB4_12002 Depth=3
	v_mov_b32_e32 v2, -1
	v_cmp_gt_i16_sdwa vcc, sext(v15), v2 src0_sel:BYTE_0 src1_sel:DWORD
	v_mov_b32_e32 v2, 0xff800000
	v_mov_b32_e32 v5, 0x7f800000
	v_cndmask_b32_e32 v2, v2, v5, vcc
	v_cmp_eq_u32_e32 vcc, 0, v1
	v_mov_b32_e32 v1, 0x7f800001
	v_cndmask_b32_e32 v2, v1, v2, vcc
; %bb.13352:                            ;   in Loop: Header=BB4_12002 Depth=3
	s_or_b64 exec, exec, s[34:35]
.LBB4_13353:                            ;   in Loop: Header=BB4_12002 Depth=3
	s_or_b64 exec, exec, s[30:31]
.LBB4_13354:                            ;   in Loop: Header=BB4_12002 Depth=3
	s_or_b64 exec, exec, s[28:29]
	v_add_f32_e32 v3, v3, v2
	v_and_b32_e32 v5, 0x7f800000, v3
	v_mov_b32_e32 v6, v17
	v_cmp_ne_u64_e32 vcc, s[76:77], v[5:6]
	v_and_b32_e32 v1, 0x7fffff, v3
	v_mov_b32_e32 v2, v17
                                        ; implicit-def: $vgpr32
	s_and_saveexec_b64 s[28:29], vcc
	s_xor_b64 s[30:31], exec, s[28:29]
	s_cbranch_execz .LBB4_13368
; %bb.13355:                            ;   in Loop: Header=BB4_12002 Depth=3
	v_and_b32_e32 v5, 0x7fffffff, v3
	v_mov_b32_e32 v6, v17
	v_cmp_gt_u64_e32 vcc, s[78:79], v[5:6]
	v_and_b32_sdwa v54, v3, s96 dst_sel:DWORD dst_unused:UNUSED_PAD src0_sel:BYTE_3 src1_sel:DWORD
                                        ; implicit-def: $vgpr32
	s_and_saveexec_b64 s[28:29], vcc
	s_xor_b64 s[34:35], exec, s[28:29]
	s_cbranch_execz .LBB4_13365
; %bb.13356:                            ;   in Loop: Header=BB4_12002 Depth=3
	v_mov_b32_e32 v32, 0
	v_cmp_ne_u32_e32 vcc, 0, v3
	s_and_saveexec_b64 s[36:37], vcc
	s_cbranch_execz .LBB4_13364
; %bb.13357:                            ;   in Loop: Header=BB4_12002 Depth=3
	v_bfe_u32 v32, v3, 23, 8
	v_cmp_gt_u32_e64 s[28:29], s46, v32
	v_sub_u32_e32 v3, 0x71, v32
	v_cmp_eq_u32_e32 vcc, 0, v32
	v_cndmask_b32_e64 v3, 0, v3, s[28:29]
	v_mov_b32_e32 v6, 0x70
	v_cndmask_b32_e32 v41, v3, v6, vcc
	v_or_b32_e32 v5, 0x800000, v1
	v_add_u32_e32 v3, 21, v41
	v_cndmask_b32_e32 v1, v5, v1, vcc
	v_lshlrev_b64 v[5:6], v3, -1
	v_add_u32_e32 v3, 20, v41
	v_bfi_b32 v5, v5, 0, v1
	v_lshlrev_b64 v[57:58], v3, 1
	v_lshrrev_b64 v[1:2], v41, v[1:2]
	v_bfi_b32 v6, v6, 0, 0
	v_cmp_eq_u64_e64 s[28:29], v[5:6], v[57:58]
	v_mov_b32_e32 v3, v2
	v_mov_b32_e32 v2, v1
	s_and_saveexec_b64 s[38:39], s[28:29]
; %bb.13358:                            ;   in Loop: Header=BB4_12002 Depth=3
	v_bfe_u32 v2, v1, 21, 1
	v_add_co_u32_e64 v2, s[28:29], v1, v2
	v_add_co_u32_e64 v2, s[28:29], -1, v2
; %bb.13359:                            ;   in Loop: Header=BB4_12002 Depth=3
	s_or_b64 exec, exec, s[38:39]
	v_add_u32_e32 v3, 0xffffff81, v32
	v_mov_b32_e32 v5, 0xffffff82
	v_cndmask_b32_e32 v3, v3, v5, vcc
	v_lshrrev_b32_e32 v5, 23, v1
	v_add3_u32 v41, v41, v3, v5
	v_add_u32_e32 v32, 14, v41
	v_and_b32_e32 v2, 0x1fffff, v2
	v_add_u32_e32 v1, v2, v1
	v_mov_b32_e32 v2, v17
	v_cmp_ne_u32_e32 vcc, 0, v32
                                        ; implicit-def: $vgpr3
	s_and_saveexec_b64 s[28:29], vcc
	s_xor_b64 s[28:29], exec, s[28:29]
; %bb.13360:                            ;   in Loop: Header=BB4_12002 Depth=3
	v_cmp_lt_u64_e32 vcc, s[88:89], v[1:2]
	v_add_u32_e32 v3, 15, v41
	v_cndmask_b32_e64 v5, 0, 1, vcc
	v_cndmask_b32_e32 v3, v32, v3, vcc
	v_lshrrev_b64 v[1:2], v5, v[1:2]
; %bb.13361:                            ;   in Loop: Header=BB4_12002 Depth=3
	s_andn2_saveexec_b64 s[28:29], s[28:29]
; %bb.13362:                            ;   in Loop: Header=BB4_12002 Depth=3
	v_bfe_u32 v3, v1, 23, 1
; %bb.13363:                            ;   in Loop: Header=BB4_12002 Depth=3
	s_or_b64 exec, exec, s[28:29]
	v_lshrrev_b64 v[1:2], 21, v[1:2]
	v_cmp_gt_i32_e32 vcc, 32, v3
	v_cndmask_b32_e32 v2, 0, v2, vcc
	v_cndmask_b32_e32 v1, 3, v1, vcc
	v_cmp_eq_u64_e64 s[28:29], 0, v[1:2]
	v_min_i32_e32 v2, 31, v3
	v_lshlrev_b32_e32 v2, 2, v2
	v_cmp_eq_u32_e32 vcc, 0, v3
	v_and_b32_e32 v2, 0xfc, v2
	v_and_or_b32 v1, v1, 3, v2
	s_and_b64 s[28:29], vcc, s[28:29]
	v_cndmask_b32_e64 v1, v1, 0, s[28:29]
	v_or_b32_e32 v32, v1, v54
.LBB4_13364:                            ;   in Loop: Header=BB4_12002 Depth=3
	s_or_b64 exec, exec, s[36:37]
                                        ; implicit-def: $vgpr54
.LBB4_13365:                            ;   in Loop: Header=BB4_12002 Depth=3
	s_andn2_saveexec_b64 s[28:29], s[34:35]
; %bb.13366:                            ;   in Loop: Header=BB4_12002 Depth=3
	v_or_b32_e32 v32, 0x7b, v54
; %bb.13367:                            ;   in Loop: Header=BB4_12002 Depth=3
	s_or_b64 exec, exec, s[28:29]
                                        ; implicit-def: $vgpr3
                                        ; implicit-def: $vgpr1_vgpr2
.LBB4_13368:                            ;   in Loop: Header=BB4_12002 Depth=3
	s_andn2_saveexec_b64 s[28:29], s[30:31]
	s_cbranch_execz .LBB4_13374
; %bb.13369:                            ;   in Loop: Header=BB4_12002 Depth=3
	v_cmp_ne_u64_e32 vcc, 0, v[1:2]
                                        ; implicit-def: $vgpr32
	s_and_saveexec_b64 s[30:31], vcc
	s_xor_b64 vcc, exec, s[30:31]
; %bb.13370:                            ;   in Loop: Header=BB4_12002 Depth=3
	v_or_b32_sdwa v32, v3, s47 dst_sel:DWORD dst_unused:UNUSED_PAD src0_sel:BYTE_3 src1_sel:DWORD
                                        ; implicit-def: $vgpr3
; %bb.13371:                            ;   in Loop: Header=BB4_12002 Depth=3
	s_andn2_saveexec_b64 s[30:31], vcc
; %bb.13372:                            ;   in Loop: Header=BB4_12002 Depth=3
	v_cmp_lt_i32_e32 vcc, -1, v3
	v_bfrev_b32_e32 v1, 0.5
	v_cndmask_b32_e32 v32, v1, v52, vcc
; %bb.13373:                            ;   in Loop: Header=BB4_12002 Depth=3
	s_or_b64 exec, exec, s[30:31]
.LBB4_13374:                            ;   in Loop: Header=BB4_12002 Depth=3
	s_or_b64 exec, exec, s[28:29]
	v_lshrrev_b16_e32 v1, 8, v50
	v_cmp_ne_u16_e32 vcc, 0, v1
	v_mov_b32_e32 v3, 0
	v_mov_b32_e32 v54, 0
	s_and_saveexec_b64 s[28:29], vcc
	s_cbranch_execz .LBB4_13382
; %bb.13375:                            ;   in Loop: Header=BB4_12002 Depth=3
	v_cmp_ne_u16_e32 vcc, s96, v1
	v_bfrev_b32_e32 v54, 1
	s_and_saveexec_b64 s[30:31], vcc
	s_cbranch_execz .LBB4_13381
; %bb.13376:                            ;   in Loop: Header=BB4_12002 Depth=3
	v_and_b32_e32 v2, 0x7c, v1
	v_and_b32_e32 v41, 3, v1
	v_cmp_ne_u32_e32 vcc, s85, v2
                                        ; implicit-def: $vgpr54
	s_and_saveexec_b64 s[34:35], vcc
	s_xor_b64 s[34:35], exec, s[34:35]
	s_cbranch_execz .LBB4_13378
; %bb.13377:                            ;   in Loop: Header=BB4_12002 Depth=3
	v_ffbh_u32_e32 v6, v41
	v_min_u32_e32 v6, 32, v6
	v_mov_b32_e32 v2, v17
	v_subrev_u32_e32 v28, 29, v6
	v_bfe_u32 v5, v1, 2, 5
	v_lshlrev_b64 v[1:2], v28, v[1:2]
	v_sub_u32_e32 v2, 30, v6
	v_cmp_eq_u32_e32 vcc, 0, v5
	v_cndmask_b32_e32 v2, v5, v2, vcc
	v_lshlrev_b32_e32 v5, 16, v50
	v_and_b32_e32 v1, 3, v1
	v_and_b32_e32 v5, 0x80000000, v5
	v_cndmask_b32_e32 v1, v41, v1, vcc
	v_lshl_add_u32 v2, v2, 23, v5
	v_lshl_or_b32 v1, v1, 21, v2
	v_add_u32_e32 v54, 0x38000000, v1
                                        ; implicit-def: $vgpr41
                                        ; implicit-def: $vgpr50
.LBB4_13378:                            ;   in Loop: Header=BB4_12002 Depth=3
	s_andn2_saveexec_b64 s[34:35], s[34:35]
; %bb.13379:                            ;   in Loop: Header=BB4_12002 Depth=3
	v_cmp_lt_i16_e32 vcc, -1, v50
	v_mov_b32_e32 v1, 0xff800000
	v_mov_b32_e32 v2, 0x7f800000
	v_cndmask_b32_e32 v1, v1, v2, vcc
	v_cmp_eq_u32_e32 vcc, 0, v41
	v_mov_b32_e32 v2, 0x7f800001
	v_cndmask_b32_e32 v54, v2, v1, vcc
; %bb.13380:                            ;   in Loop: Header=BB4_12002 Depth=3
	s_or_b64 exec, exec, s[34:35]
.LBB4_13381:                            ;   in Loop: Header=BB4_12002 Depth=3
	s_or_b64 exec, exec, s[30:31]
.LBB4_13382:                            ;   in Loop: Header=BB4_12002 Depth=3
	s_or_b64 exec, exec, s[28:29]
	v_lshrrev_b16_e32 v1, 8, v15
	v_cmp_ne_u16_e32 vcc, 0, v1
	s_and_saveexec_b64 s[28:29], vcc
	s_cbranch_execz .LBB4_13390
; %bb.13383:                            ;   in Loop: Header=BB4_12002 Depth=3
	v_cmp_ne_u16_e32 vcc, s96, v1
	v_bfrev_b32_e32 v3, 1
	s_and_saveexec_b64 s[30:31], vcc
	s_cbranch_execz .LBB4_13389
; %bb.13384:                            ;   in Loop: Header=BB4_12002 Depth=3
	v_and_b32_e32 v2, 0x7c, v1
	v_and_b32_e32 v50, 3, v1
	v_cmp_ne_u32_e32 vcc, s85, v2
                                        ; implicit-def: $vgpr3
	s_and_saveexec_b64 s[34:35], vcc
	s_xor_b64 s[34:35], exec, s[34:35]
	s_cbranch_execz .LBB4_13386
; %bb.13385:                            ;   in Loop: Header=BB4_12002 Depth=3
	v_ffbh_u32_e32 v5, v50
	v_min_u32_e32 v5, 32, v5
	v_mov_b32_e32 v2, v17
	v_subrev_u32_e32 v6, 29, v5
	v_bfe_u32 v3, v1, 2, 5
	v_lshlrev_b64 v[1:2], v6, v[1:2]
	v_sub_u32_e32 v2, 30, v5
	v_cmp_eq_u32_e32 vcc, 0, v3
	v_cndmask_b32_e32 v2, v3, v2, vcc
	v_lshlrev_b32_e32 v3, 16, v15
	v_and_b32_e32 v1, 3, v1
	v_and_b32_e32 v3, 0x80000000, v3
	v_cndmask_b32_e32 v1, v50, v1, vcc
	v_lshl_add_u32 v2, v2, 23, v3
	v_lshl_or_b32 v1, v1, 21, v2
	v_add_u32_e32 v3, 0x38000000, v1
                                        ; implicit-def: $vgpr50
.LBB4_13386:                            ;   in Loop: Header=BB4_12002 Depth=3
	s_andn2_saveexec_b64 s[34:35], s[34:35]
; %bb.13387:                            ;   in Loop: Header=BB4_12002 Depth=3
	v_cmp_lt_i16_e32 vcc, -1, v15
	v_mov_b32_e32 v1, 0xff800000
	v_mov_b32_e32 v2, 0x7f800000
	v_cndmask_b32_e32 v1, v1, v2, vcc
	v_cmp_eq_u32_e32 vcc, 0, v50
	v_mov_b32_e32 v2, 0x7f800001
	v_cndmask_b32_e32 v3, v2, v1, vcc
; %bb.13388:                            ;   in Loop: Header=BB4_12002 Depth=3
	s_or_b64 exec, exec, s[34:35]
.LBB4_13389:                            ;   in Loop: Header=BB4_12002 Depth=3
	s_or_b64 exec, exec, s[30:31]
.LBB4_13390:                            ;   in Loop: Header=BB4_12002 Depth=3
	s_or_b64 exec, exec, s[28:29]
	v_add_f32_e32 v3, v54, v3
	v_and_b32_e32 v5, 0x7f800000, v3
	v_mov_b32_e32 v6, v17
	v_cmp_ne_u64_e32 vcc, s[76:77], v[5:6]
	v_and_b32_e32 v1, 0x7fffff, v3
	v_mov_b32_e32 v2, v17
                                        ; implicit-def: $vgpr50
	s_and_saveexec_b64 s[28:29], vcc
	s_xor_b64 s[30:31], exec, s[28:29]
	s_cbranch_execz .LBB4_13404
; %bb.13391:                            ;   in Loop: Header=BB4_12002 Depth=3
	v_and_b32_e32 v5, 0x7fffffff, v3
	v_mov_b32_e32 v6, v17
	v_cmp_gt_u64_e32 vcc, s[78:79], v[5:6]
	v_and_b32_sdwa v54, v3, s96 dst_sel:DWORD dst_unused:UNUSED_PAD src0_sel:BYTE_3 src1_sel:DWORD
                                        ; implicit-def: $vgpr50
	s_and_saveexec_b64 s[28:29], vcc
	s_xor_b64 s[34:35], exec, s[28:29]
	s_cbranch_execz .LBB4_13401
; %bb.13392:                            ;   in Loop: Header=BB4_12002 Depth=3
	v_mov_b32_e32 v50, 0
	v_cmp_ne_u32_e32 vcc, 0, v3
	s_and_saveexec_b64 s[36:37], vcc
	s_cbranch_execz .LBB4_13400
; %bb.13393:                            ;   in Loop: Header=BB4_12002 Depth=3
	v_bfe_u32 v50, v3, 23, 8
	v_cmp_gt_u32_e64 s[28:29], s46, v50
	v_sub_u32_e32 v3, 0x71, v50
	v_cmp_eq_u32_e32 vcc, 0, v50
	v_cndmask_b32_e64 v3, 0, v3, s[28:29]
	v_mov_b32_e32 v6, 0x70
	v_cndmask_b32_e32 v41, v3, v6, vcc
	v_or_b32_e32 v5, 0x800000, v1
	v_add_u32_e32 v3, 21, v41
	v_cndmask_b32_e32 v1, v5, v1, vcc
	v_lshlrev_b64 v[5:6], v3, -1
	v_add_u32_e32 v3, 20, v41
	v_bfi_b32 v5, v5, 0, v1
	v_lshlrev_b64 v[57:58], v3, 1
	v_lshrrev_b64 v[1:2], v41, v[1:2]
	v_bfi_b32 v6, v6, 0, 0
	v_cmp_eq_u64_e64 s[28:29], v[5:6], v[57:58]
	v_mov_b32_e32 v3, v2
	v_mov_b32_e32 v2, v1
	s_and_saveexec_b64 s[38:39], s[28:29]
; %bb.13394:                            ;   in Loop: Header=BB4_12002 Depth=3
	v_bfe_u32 v2, v1, 21, 1
	v_add_co_u32_e64 v2, s[28:29], v1, v2
	v_add_co_u32_e64 v2, s[28:29], -1, v2
; %bb.13395:                            ;   in Loop: Header=BB4_12002 Depth=3
	s_or_b64 exec, exec, s[38:39]
	v_add_u32_e32 v3, 0xffffff81, v50
	v_mov_b32_e32 v5, 0xffffff82
	v_cndmask_b32_e32 v3, v3, v5, vcc
	v_lshrrev_b32_e32 v5, 23, v1
	v_add3_u32 v41, v41, v3, v5
	v_add_u32_e32 v50, 14, v41
	v_and_b32_e32 v2, 0x1fffff, v2
	v_add_u32_e32 v1, v2, v1
	v_mov_b32_e32 v2, v17
	v_cmp_ne_u32_e32 vcc, 0, v50
                                        ; implicit-def: $vgpr3
	s_and_saveexec_b64 s[28:29], vcc
	s_xor_b64 s[28:29], exec, s[28:29]
; %bb.13396:                            ;   in Loop: Header=BB4_12002 Depth=3
	v_cmp_lt_u64_e32 vcc, s[88:89], v[1:2]
	v_add_u32_e32 v3, 15, v41
	v_cndmask_b32_e64 v5, 0, 1, vcc
	v_cndmask_b32_e32 v3, v50, v3, vcc
	v_lshrrev_b64 v[1:2], v5, v[1:2]
; %bb.13397:                            ;   in Loop: Header=BB4_12002 Depth=3
	s_andn2_saveexec_b64 s[28:29], s[28:29]
; %bb.13398:                            ;   in Loop: Header=BB4_12002 Depth=3
	v_bfe_u32 v3, v1, 23, 1
; %bb.13399:                            ;   in Loop: Header=BB4_12002 Depth=3
	s_or_b64 exec, exec, s[28:29]
	v_lshrrev_b64 v[1:2], 21, v[1:2]
	v_cmp_gt_i32_e32 vcc, 32, v3
	v_cndmask_b32_e32 v2, 0, v2, vcc
	v_cndmask_b32_e32 v1, 3, v1, vcc
	v_cmp_eq_u64_e64 s[28:29], 0, v[1:2]
	v_min_i32_e32 v2, 31, v3
	v_lshlrev_b32_e32 v2, 2, v2
	v_cmp_eq_u32_e32 vcc, 0, v3
	v_and_b32_e32 v2, 0xfc, v2
	v_and_or_b32 v1, v1, 3, v2
	s_and_b64 s[28:29], vcc, s[28:29]
	v_cndmask_b32_e64 v1, v1, 0, s[28:29]
	v_or_b32_e32 v50, v1, v54
.LBB4_13400:                            ;   in Loop: Header=BB4_12002 Depth=3
	s_or_b64 exec, exec, s[36:37]
                                        ; implicit-def: $vgpr54
.LBB4_13401:                            ;   in Loop: Header=BB4_12002 Depth=3
	s_andn2_saveexec_b64 s[28:29], s[34:35]
; %bb.13402:                            ;   in Loop: Header=BB4_12002 Depth=3
	v_or_b32_e32 v50, 0x7b, v54
; %bb.13403:                            ;   in Loop: Header=BB4_12002 Depth=3
	s_or_b64 exec, exec, s[28:29]
                                        ; implicit-def: $vgpr3
                                        ; implicit-def: $vgpr1_vgpr2
.LBB4_13404:                            ;   in Loop: Header=BB4_12002 Depth=3
	s_andn2_saveexec_b64 s[28:29], s[30:31]
	s_cbranch_execz .LBB4_13410
; %bb.13405:                            ;   in Loop: Header=BB4_12002 Depth=3
	v_cmp_ne_u64_e32 vcc, 0, v[1:2]
                                        ; implicit-def: $vgpr50
	s_and_saveexec_b64 s[30:31], vcc
	s_xor_b64 vcc, exec, s[30:31]
; %bb.13406:                            ;   in Loop: Header=BB4_12002 Depth=3
	v_or_b32_sdwa v50, v3, s47 dst_sel:DWORD dst_unused:UNUSED_PAD src0_sel:BYTE_3 src1_sel:DWORD
                                        ; implicit-def: $vgpr3
; %bb.13407:                            ;   in Loop: Header=BB4_12002 Depth=3
	s_andn2_saveexec_b64 s[30:31], vcc
; %bb.13408:                            ;   in Loop: Header=BB4_12002 Depth=3
	v_cmp_lt_i32_e32 vcc, -1, v3
	v_bfrev_b32_e32 v1, 0.5
	v_cndmask_b32_e32 v50, v1, v52, vcc
; %bb.13409:                            ;   in Loop: Header=BB4_12002 Depth=3
	s_or_b64 exec, exec, s[30:31]
.LBB4_13410:                            ;   in Loop: Header=BB4_12002 Depth=3
	s_or_b64 exec, exec, s[28:29]
	v_and_b32_sdwa v54, v0, s87 dst_sel:DWORD dst_unused:UNUSED_PAD src0_sel:WORD_1 src1_sel:DWORD
	v_lshrrev_b32_e32 v1, 16, v0
	v_cmp_ne_u16_e32 vcc, 0, v54
	v_mov_b32_e32 v2, 0
	v_mov_b32_e32 v3, 0
	s_and_saveexec_b64 s[28:29], vcc
	s_cbranch_execz .LBB4_13418
; %bb.13411:                            ;   in Loop: Header=BB4_12002 Depth=3
	v_cmp_ne_u16_e32 vcc, s96, v54
	v_bfrev_b32_e32 v3, 1
	s_and_saveexec_b64 s[30:31], vcc
	s_cbranch_execz .LBB4_13417
; %bb.13412:                            ;   in Loop: Header=BB4_12002 Depth=3
	v_and_b32_e32 v3, 0x7c0000, v0
	v_bfe_u32 v54, v0, 16, 2
	v_cmp_ne_u32_e32 vcc, s44, v3
                                        ; implicit-def: $vgpr3
	s_and_saveexec_b64 s[34:35], vcc
	s_xor_b64 s[34:35], exec, s[34:35]
	s_cbranch_execz .LBB4_13414
; %bb.13413:                            ;   in Loop: Header=BB4_12002 Depth=3
	v_ffbh_u32_e32 v5, v54
	v_min_u32_e32 v28, 32, v5
	v_subrev_u32_e32 v5, 29, v28
	v_lshlrev_b64 v[5:6], v5, v[1:2]
	v_bfe_u32 v3, v0, 18, 5
	v_sub_u32_e32 v1, 30, v28
	v_and_b32_e32 v5, 3, v5
	v_cmp_eq_u32_e32 vcc, 0, v3
	v_cndmask_b32_e32 v1, v3, v1, vcc
	v_cndmask_b32_e32 v3, v54, v5, vcc
	v_lshlrev_b32_e32 v5, 8, v0
	v_and_b32_e32 v5, 0x80000000, v5
	v_lshl_add_u32 v1, v1, 23, v5
	v_lshl_or_b32 v1, v3, 21, v1
	v_add_u32_e32 v3, 0x38000000, v1
                                        ; implicit-def: $vgpr54
                                        ; implicit-def: $vgpr1
.LBB4_13414:                            ;   in Loop: Header=BB4_12002 Depth=3
	s_andn2_saveexec_b64 s[34:35], s[34:35]
; %bb.13415:                            ;   in Loop: Header=BB4_12002 Depth=3
	v_mov_b32_e32 v3, -1
	v_cmp_gt_i16_sdwa vcc, sext(v1), v3 src0_sel:BYTE_0 src1_sel:DWORD
	v_mov_b32_e32 v1, 0xff800000
	v_mov_b32_e32 v3, 0x7f800000
	v_cndmask_b32_e32 v1, v1, v3, vcc
	v_cmp_eq_u32_e32 vcc, 0, v54
	v_mov_b32_e32 v3, 0x7f800001
	v_cndmask_b32_e32 v3, v3, v1, vcc
; %bb.13416:                            ;   in Loop: Header=BB4_12002 Depth=3
	s_or_b64 exec, exec, s[34:35]
.LBB4_13417:                            ;   in Loop: Header=BB4_12002 Depth=3
	s_or_b64 exec, exec, s[30:31]
.LBB4_13418:                            ;   in Loop: Header=BB4_12002 Depth=3
	s_or_b64 exec, exec, s[28:29]
	v_lshrrev_b32_e32 v1, 16, v15
	v_cmp_ne_u16_sdwa vcc, v1, v17 src0_sel:BYTE_0 src1_sel:DWORD
	s_and_saveexec_b64 s[28:29], vcc
	s_cbranch_execz .LBB4_13426
; %bb.13419:                            ;   in Loop: Header=BB4_12002 Depth=3
	v_cmp_ne_u16_sdwa vcc, v1, s96 src0_sel:BYTE_0 src1_sel:DWORD
	v_bfrev_b32_e32 v2, 1
	s_and_saveexec_b64 s[30:31], vcc
	s_cbranch_execz .LBB4_13425
; %bb.13420:                            ;   in Loop: Header=BB4_12002 Depth=3
	v_and_b32_e32 v2, 0x7c0000, v15
	v_bfe_u32 v54, v15, 16, 2
	v_cmp_ne_u32_e32 vcc, s44, v2
                                        ; implicit-def: $vgpr2
	s_and_saveexec_b64 s[34:35], vcc
	s_xor_b64 s[34:35], exec, s[34:35]
	s_cbranch_execz .LBB4_13422
; %bb.13421:                            ;   in Loop: Header=BB4_12002 Depth=3
	v_ffbh_u32_e32 v2, v54
	v_min_u32_e32 v6, 32, v2
	v_subrev_u32_e32 v2, 29, v6
	v_bfe_u32 v5, v15, 18, 5
	v_lshlrev_b64 v[1:2], v2, v[1:2]
	v_sub_u32_e32 v2, 30, v6
	v_cmp_eq_u32_e32 vcc, 0, v5
	v_cndmask_b32_e32 v2, v5, v2, vcc
	v_lshlrev_b32_e32 v5, 8, v15
	v_and_b32_e32 v1, 3, v1
	v_and_b32_e32 v5, 0x80000000, v5
	v_cndmask_b32_e32 v1, v54, v1, vcc
	v_lshl_add_u32 v2, v2, 23, v5
	v_lshl_or_b32 v1, v1, 21, v2
	v_add_u32_e32 v2, 0x38000000, v1
                                        ; implicit-def: $vgpr54
                                        ; implicit-def: $vgpr1
.LBB4_13422:                            ;   in Loop: Header=BB4_12002 Depth=3
	s_andn2_saveexec_b64 s[34:35], s[34:35]
; %bb.13423:                            ;   in Loop: Header=BB4_12002 Depth=3
	v_mov_b32_e32 v2, -1
	v_cmp_gt_i16_sdwa vcc, sext(v1), v2 src0_sel:BYTE_0 src1_sel:DWORD
	v_mov_b32_e32 v1, 0xff800000
	v_mov_b32_e32 v2, 0x7f800000
	v_cndmask_b32_e32 v1, v1, v2, vcc
	v_cmp_eq_u32_e32 vcc, 0, v54
	v_mov_b32_e32 v2, 0x7f800001
	v_cndmask_b32_e32 v2, v2, v1, vcc
; %bb.13424:                            ;   in Loop: Header=BB4_12002 Depth=3
	s_or_b64 exec, exec, s[34:35]
.LBB4_13425:                            ;   in Loop: Header=BB4_12002 Depth=3
	s_or_b64 exec, exec, s[30:31]
.LBB4_13426:                            ;   in Loop: Header=BB4_12002 Depth=3
	s_or_b64 exec, exec, s[28:29]
	v_add_f32_e32 v3, v3, v2
	v_and_b32_e32 v5, 0x7f800000, v3
	v_mov_b32_e32 v6, v17
	v_cmp_ne_u64_e32 vcc, s[76:77], v[5:6]
	v_and_b32_e32 v1, 0x7fffff, v3
	v_mov_b32_e32 v2, v17
                                        ; implicit-def: $vgpr54
	s_and_saveexec_b64 s[28:29], vcc
	s_xor_b64 s[30:31], exec, s[28:29]
	s_cbranch_execz .LBB4_13440
; %bb.13427:                            ;   in Loop: Header=BB4_12002 Depth=3
	v_and_b32_e32 v5, 0x7fffffff, v3
	v_mov_b32_e32 v6, v17
	v_cmp_gt_u64_e32 vcc, s[78:79], v[5:6]
	v_and_b32_sdwa v41, v3, s96 dst_sel:DWORD dst_unused:UNUSED_PAD src0_sel:BYTE_3 src1_sel:DWORD
                                        ; implicit-def: $vgpr54
	s_and_saveexec_b64 s[28:29], vcc
	s_xor_b64 s[34:35], exec, s[28:29]
	s_cbranch_execz .LBB4_13437
; %bb.13428:                            ;   in Loop: Header=BB4_12002 Depth=3
	v_mov_b32_e32 v54, 0
	v_cmp_ne_u32_e32 vcc, 0, v3
	s_and_saveexec_b64 s[36:37], vcc
	s_cbranch_execz .LBB4_13436
; %bb.13429:                            ;   in Loop: Header=BB4_12002 Depth=3
	v_bfe_u32 v54, v3, 23, 8
	v_cmp_gt_u32_e64 s[28:29], s46, v54
	v_sub_u32_e32 v3, 0x71, v54
	v_cmp_eq_u32_e32 vcc, 0, v54
	v_cndmask_b32_e64 v3, 0, v3, s[28:29]
	v_mov_b32_e32 v6, 0x70
	v_cndmask_b32_e32 v57, v3, v6, vcc
	v_or_b32_e32 v5, 0x800000, v1
	v_add_u32_e32 v3, 21, v57
	v_cndmask_b32_e32 v1, v5, v1, vcc
	v_lshlrev_b64 v[5:6], v3, -1
	v_add_u32_e32 v3, 20, v57
	v_bfi_b32 v5, v5, 0, v1
	v_lshlrev_b64 v[58:59], v3, 1
	v_lshrrev_b64 v[1:2], v57, v[1:2]
	v_bfi_b32 v6, v6, 0, 0
	v_cmp_eq_u64_e64 s[28:29], v[5:6], v[58:59]
	v_mov_b32_e32 v3, v2
	v_mov_b32_e32 v2, v1
	s_and_saveexec_b64 s[38:39], s[28:29]
; %bb.13430:                            ;   in Loop: Header=BB4_12002 Depth=3
	v_bfe_u32 v2, v1, 21, 1
	v_add_co_u32_e64 v2, s[28:29], v1, v2
	v_add_co_u32_e64 v2, s[28:29], -1, v2
; %bb.13431:                            ;   in Loop: Header=BB4_12002 Depth=3
	s_or_b64 exec, exec, s[38:39]
	v_add_u32_e32 v3, 0xffffff81, v54
	v_mov_b32_e32 v5, 0xffffff82
	v_cndmask_b32_e32 v3, v3, v5, vcc
	v_lshrrev_b32_e32 v5, 23, v1
	v_add3_u32 v57, v57, v3, v5
	v_add_u32_e32 v54, 14, v57
	v_and_b32_e32 v2, 0x1fffff, v2
	v_add_u32_e32 v1, v2, v1
	v_mov_b32_e32 v2, v17
	v_cmp_ne_u32_e32 vcc, 0, v54
                                        ; implicit-def: $vgpr3
	s_and_saveexec_b64 s[28:29], vcc
	s_xor_b64 s[28:29], exec, s[28:29]
; %bb.13432:                            ;   in Loop: Header=BB4_12002 Depth=3
	v_cmp_lt_u64_e32 vcc, s[88:89], v[1:2]
	v_add_u32_e32 v3, 15, v57
	v_cndmask_b32_e64 v5, 0, 1, vcc
	v_cndmask_b32_e32 v3, v54, v3, vcc
	v_lshrrev_b64 v[1:2], v5, v[1:2]
; %bb.13433:                            ;   in Loop: Header=BB4_12002 Depth=3
	s_andn2_saveexec_b64 s[28:29], s[28:29]
; %bb.13434:                            ;   in Loop: Header=BB4_12002 Depth=3
	v_bfe_u32 v3, v1, 23, 1
; %bb.13435:                            ;   in Loop: Header=BB4_12002 Depth=3
	s_or_b64 exec, exec, s[28:29]
	v_lshrrev_b64 v[1:2], 21, v[1:2]
	v_cmp_gt_i32_e32 vcc, 32, v3
	v_cndmask_b32_e32 v2, 0, v2, vcc
	v_cndmask_b32_e32 v1, 3, v1, vcc
	v_cmp_eq_u64_e64 s[28:29], 0, v[1:2]
	v_min_i32_e32 v2, 31, v3
	v_lshlrev_b32_e32 v2, 2, v2
	v_cmp_eq_u32_e32 vcc, 0, v3
	v_and_b32_e32 v2, 0xfc, v2
	v_and_or_b32 v1, v1, 3, v2
	s_and_b64 s[28:29], vcc, s[28:29]
	v_cndmask_b32_e64 v1, v1, 0, s[28:29]
	v_or_b32_e32 v54, v1, v41
.LBB4_13436:                            ;   in Loop: Header=BB4_12002 Depth=3
	s_or_b64 exec, exec, s[36:37]
                                        ; implicit-def: $vgpr41
.LBB4_13437:                            ;   in Loop: Header=BB4_12002 Depth=3
	s_andn2_saveexec_b64 s[28:29], s[34:35]
; %bb.13438:                            ;   in Loop: Header=BB4_12002 Depth=3
	v_or_b32_e32 v54, 0x7b, v41
; %bb.13439:                            ;   in Loop: Header=BB4_12002 Depth=3
	s_or_b64 exec, exec, s[28:29]
                                        ; implicit-def: $vgpr3
                                        ; implicit-def: $vgpr1_vgpr2
.LBB4_13440:                            ;   in Loop: Header=BB4_12002 Depth=3
	s_andn2_saveexec_b64 s[28:29], s[30:31]
	s_cbranch_execz .LBB4_13446
; %bb.13441:                            ;   in Loop: Header=BB4_12002 Depth=3
	v_cmp_ne_u64_e32 vcc, 0, v[1:2]
                                        ; implicit-def: $vgpr54
	s_and_saveexec_b64 s[30:31], vcc
	s_xor_b64 vcc, exec, s[30:31]
; %bb.13442:                            ;   in Loop: Header=BB4_12002 Depth=3
	v_or_b32_sdwa v54, v3, s47 dst_sel:DWORD dst_unused:UNUSED_PAD src0_sel:BYTE_3 src1_sel:DWORD
                                        ; implicit-def: $vgpr3
; %bb.13443:                            ;   in Loop: Header=BB4_12002 Depth=3
	s_andn2_saveexec_b64 s[30:31], vcc
; %bb.13444:                            ;   in Loop: Header=BB4_12002 Depth=3
	v_cmp_lt_i32_e32 vcc, -1, v3
	v_bfrev_b32_e32 v1, 0.5
	v_cndmask_b32_e32 v54, v1, v52, vcc
; %bb.13445:                            ;   in Loop: Header=BB4_12002 Depth=3
	s_or_b64 exec, exec, s[30:31]
.LBB4_13446:                            ;   in Loop: Header=BB4_12002 Depth=3
	s_or_b64 exec, exec, s[28:29]
	v_cmp_lt_u32_e32 vcc, s57, v0
	v_mov_b32_e32 v2, 0
	v_mov_b32_e32 v3, 0
	s_and_saveexec_b64 s[28:29], vcc
	s_cbranch_execz .LBB4_13454
; %bb.13447:                            ;   in Loop: Header=BB4_12002 Depth=3
	v_lshrrev_b32_e32 v1, 24, v0
	v_cmp_ne_u32_e32 vcc, s96, v1
	v_bfrev_b32_e32 v3, 1
	s_and_saveexec_b64 s[30:31], vcc
	s_cbranch_execz .LBB4_13453
; %bb.13448:                            ;   in Loop: Header=BB4_12002 Depth=3
	v_and_b32_e32 v3, 0x7c000000, v0
	v_bfe_u32 v41, v0, 24, 2
	v_cmp_ne_u32_e32 vcc, s45, v3
                                        ; implicit-def: $vgpr3
	s_and_saveexec_b64 s[34:35], vcc
	s_xor_b64 s[34:35], exec, s[34:35]
	s_cbranch_execz .LBB4_13450
; %bb.13449:                            ;   in Loop: Header=BB4_12002 Depth=3
	v_ffbh_u32_e32 v5, v41
	v_min_u32_e32 v28, 32, v5
	v_subrev_u32_e32 v5, 29, v28
	v_bfe_u32 v3, v0, 26, 5
	v_lshlrev_b64 v[5:6], v5, v[1:2]
	v_sub_u32_e32 v1, 30, v28
	v_cmp_eq_u32_e32 vcc, 0, v3
	v_and_b32_e32 v5, 3, v5
	v_cndmask_b32_e32 v1, v3, v1, vcc
	v_and_b32_e32 v0, 0x80000000, v0
	v_cndmask_b32_e32 v3, v41, v5, vcc
	v_lshl_add_u32 v0, v1, 23, v0
	v_lshl_or_b32 v0, v3, 21, v0
	v_add_u32_e32 v3, 0x38000000, v0
                                        ; implicit-def: $vgpr41
                                        ; implicit-def: $vgpr0_vgpr1
.LBB4_13450:                            ;   in Loop: Header=BB4_12002 Depth=3
	s_andn2_saveexec_b64 s[34:35], s[34:35]
; %bb.13451:                            ;   in Loop: Header=BB4_12002 Depth=3
	v_cmp_lt_i32_e32 vcc, -1, v0
	v_mov_b32_e32 v0, 0xff800000
	v_mov_b32_e32 v1, 0x7f800000
	v_cndmask_b32_e32 v0, v0, v1, vcc
	v_cmp_eq_u32_e32 vcc, 0, v41
	v_mov_b32_e32 v1, 0x7f800001
	v_cndmask_b32_e32 v3, v1, v0, vcc
; %bb.13452:                            ;   in Loop: Header=BB4_12002 Depth=3
	s_or_b64 exec, exec, s[34:35]
.LBB4_13453:                            ;   in Loop: Header=BB4_12002 Depth=3
	s_or_b64 exec, exec, s[30:31]
.LBB4_13454:                            ;   in Loop: Header=BB4_12002 Depth=3
	s_or_b64 exec, exec, s[28:29]
	v_cmp_lt_u64_e32 vcc, s[56:57], v[14:15]
	s_and_saveexec_b64 s[28:29], vcc
	s_cbranch_execz .LBB4_13462
; %bb.13455:                            ;   in Loop: Header=BB4_12002 Depth=3
	v_lshrrev_b32_e32 v0, 24, v15
	v_cmp_ne_u32_e32 vcc, s96, v0
	v_bfrev_b32_e32 v2, 1
	s_and_saveexec_b64 s[30:31], vcc
	s_cbranch_execz .LBB4_13461
; %bb.13456:                            ;   in Loop: Header=BB4_12002 Depth=3
	v_and_b32_e32 v2, 0x7c000000, v15
	v_bfe_u32 v1, v15, 24, 2
	v_cmp_ne_u32_e32 vcc, s45, v2
                                        ; implicit-def: $vgpr2
	s_and_saveexec_b64 s[34:35], vcc
	s_xor_b64 s[34:35], exec, s[34:35]
	s_cbranch_execz .LBB4_13458
; %bb.13457:                            ;   in Loop: Header=BB4_12002 Depth=3
	v_ffbh_u32_e32 v5, v1
	v_min_u32_e32 v14, 32, v5
	v_subrev_u32_e32 v5, 29, v14
	v_bfe_u32 v2, v15, 26, 5
	v_lshlrev_b64 v[5:6], v5, v[0:1]
	v_sub_u32_e32 v0, 30, v14
	v_cmp_eq_u32_e32 vcc, 0, v2
	v_and_b32_e32 v5, 3, v5
	v_cndmask_b32_e32 v0, v2, v0, vcc
	v_and_b32_e32 v2, 0x80000000, v15
	v_cndmask_b32_e32 v1, v1, v5, vcc
	v_lshl_add_u32 v0, v0, 23, v2
	v_lshl_or_b32 v0, v1, 21, v0
	v_add_u32_e32 v2, 0x38000000, v0
                                        ; implicit-def: $vgpr1
                                        ; implicit-def: $vgpr14_vgpr15
.LBB4_13458:                            ;   in Loop: Header=BB4_12002 Depth=3
	s_andn2_saveexec_b64 s[34:35], s[34:35]
; %bb.13459:                            ;   in Loop: Header=BB4_12002 Depth=3
	v_cmp_lt_i64_e32 vcc, -1, v[14:15]
	v_mov_b32_e32 v0, 0xff800000
	v_mov_b32_e32 v2, 0x7f800000
	v_cndmask_b32_e32 v0, v0, v2, vcc
	v_cmp_eq_u32_e32 vcc, 0, v1
	v_mov_b32_e32 v1, 0x7f800001
	v_cndmask_b32_e32 v2, v1, v0, vcc
; %bb.13460:                            ;   in Loop: Header=BB4_12002 Depth=3
	s_or_b64 exec, exec, s[34:35]
.LBB4_13461:                            ;   in Loop: Header=BB4_12002 Depth=3
	s_or_b64 exec, exec, s[30:31]
.LBB4_13462:                            ;   in Loop: Header=BB4_12002 Depth=3
	s_or_b64 exec, exec, s[28:29]
	v_add_f32_e32 v2, v3, v2
	v_and_b32_e32 v5, 0x7f800000, v2
	v_mov_b32_e32 v6, v17
	v_cmp_ne_u64_e32 vcc, s[76:77], v[5:6]
	v_and_b32_e32 v0, 0x7fffff, v2
	v_mov_b32_e32 v1, v17
                                        ; implicit-def: $vgpr14
	s_and_saveexec_b64 s[28:29], vcc
	s_xor_b64 s[30:31], exec, s[28:29]
	s_cbranch_execz .LBB4_13476
; %bb.13463:                            ;   in Loop: Header=BB4_12002 Depth=3
	v_and_b32_e32 v5, 0x7fffffff, v2
	v_mov_b32_e32 v6, v17
	v_cmp_gt_u64_e32 vcc, s[78:79], v[5:6]
	v_and_b32_sdwa v3, v2, s96 dst_sel:DWORD dst_unused:UNUSED_PAD src0_sel:BYTE_3 src1_sel:DWORD
                                        ; implicit-def: $vgpr14
	s_and_saveexec_b64 s[28:29], vcc
	s_xor_b64 s[34:35], exec, s[28:29]
	s_cbranch_execz .LBB4_13473
; %bb.13464:                            ;   in Loop: Header=BB4_12002 Depth=3
	v_mov_b32_e32 v14, 0
	v_cmp_ne_u32_e32 vcc, 0, v2
	s_and_saveexec_b64 s[36:37], vcc
	s_cbranch_execz .LBB4_13472
; %bb.13465:                            ;   in Loop: Header=BB4_12002 Depth=3
	v_bfe_u32 v14, v2, 23, 8
	v_cmp_gt_u32_e64 s[28:29], s46, v14
	v_sub_u32_e32 v2, 0x71, v14
	v_cmp_eq_u32_e32 vcc, 0, v14
	v_cndmask_b32_e64 v2, 0, v2, s[28:29]
	v_mov_b32_e32 v6, 0x70
	v_cndmask_b32_e32 v15, v2, v6, vcc
	v_or_b32_e32 v5, 0x800000, v0
	v_add_u32_e32 v2, 21, v15
	v_cndmask_b32_e32 v0, v5, v0, vcc
	v_lshlrev_b64 v[5:6], v2, -1
	v_add_u32_e32 v2, 20, v15
	v_bfi_b32 v5, v5, 0, v0
	v_lshlrev_b64 v[57:58], v2, 1
	v_lshrrev_b64 v[0:1], v15, v[0:1]
	v_bfi_b32 v6, v6, 0, 0
	v_cmp_eq_u64_e64 s[28:29], v[5:6], v[57:58]
	v_mov_b32_e32 v2, v1
	v_mov_b32_e32 v1, v0
	s_and_saveexec_b64 s[38:39], s[28:29]
; %bb.13466:                            ;   in Loop: Header=BB4_12002 Depth=3
	v_bfe_u32 v1, v0, 21, 1
	v_add_co_u32_e64 v1, s[28:29], v0, v1
	v_add_co_u32_e64 v1, s[28:29], -1, v1
; %bb.13467:                            ;   in Loop: Header=BB4_12002 Depth=3
	s_or_b64 exec, exec, s[38:39]
	v_add_u32_e32 v2, 0xffffff81, v14
	v_mov_b32_e32 v5, 0xffffff82
	v_cndmask_b32_e32 v2, v2, v5, vcc
	v_lshrrev_b32_e32 v5, 23, v0
	v_add3_u32 v15, v15, v2, v5
	v_add_u32_e32 v14, 14, v15
	v_and_b32_e32 v1, 0x1fffff, v1
	v_add_u32_e32 v0, v1, v0
	v_mov_b32_e32 v1, v17
	v_cmp_ne_u32_e32 vcc, 0, v14
                                        ; implicit-def: $vgpr2
	s_and_saveexec_b64 s[28:29], vcc
	s_xor_b64 s[28:29], exec, s[28:29]
; %bb.13468:                            ;   in Loop: Header=BB4_12002 Depth=3
	v_cmp_lt_u64_e32 vcc, s[88:89], v[0:1]
	v_add_u32_e32 v2, 15, v15
	v_cndmask_b32_e64 v5, 0, 1, vcc
	v_cndmask_b32_e32 v2, v14, v2, vcc
	v_lshrrev_b64 v[0:1], v5, v[0:1]
; %bb.13469:                            ;   in Loop: Header=BB4_12002 Depth=3
	s_andn2_saveexec_b64 s[28:29], s[28:29]
; %bb.13470:                            ;   in Loop: Header=BB4_12002 Depth=3
	v_bfe_u32 v2, v0, 23, 1
; %bb.13471:                            ;   in Loop: Header=BB4_12002 Depth=3
	s_or_b64 exec, exec, s[28:29]
	v_lshrrev_b64 v[0:1], 21, v[0:1]
	v_cmp_gt_i32_e32 vcc, 32, v2
	v_cndmask_b32_e32 v1, 0, v1, vcc
	v_cndmask_b32_e32 v0, 3, v0, vcc
	v_cmp_eq_u64_e64 s[28:29], 0, v[0:1]
	v_min_i32_e32 v1, 31, v2
	v_lshlrev_b32_e32 v1, 2, v1
	v_cmp_eq_u32_e32 vcc, 0, v2
	v_and_b32_e32 v1, 0xfc, v1
	v_and_or_b32 v0, v0, 3, v1
	s_and_b64 s[28:29], vcc, s[28:29]
	v_cndmask_b32_e64 v0, v0, 0, s[28:29]
	v_or_b32_e32 v14, v0, v3
.LBB4_13472:                            ;   in Loop: Header=BB4_12002 Depth=3
	s_or_b64 exec, exec, s[36:37]
                                        ; implicit-def: $vgpr3
.LBB4_13473:                            ;   in Loop: Header=BB4_12002 Depth=3
	s_andn2_saveexec_b64 s[28:29], s[34:35]
; %bb.13474:                            ;   in Loop: Header=BB4_12002 Depth=3
	v_or_b32_e32 v14, 0x7b, v3
; %bb.13475:                            ;   in Loop: Header=BB4_12002 Depth=3
	s_or_b64 exec, exec, s[28:29]
                                        ; implicit-def: $vgpr2
                                        ; implicit-def: $vgpr0_vgpr1
.LBB4_13476:                            ;   in Loop: Header=BB4_12002 Depth=3
	s_andn2_saveexec_b64 s[28:29], s[30:31]
	s_cbranch_execz .LBB4_13482
; %bb.13477:                            ;   in Loop: Header=BB4_12002 Depth=3
	v_cmp_ne_u64_e32 vcc, 0, v[0:1]
                                        ; implicit-def: $vgpr14
	s_and_saveexec_b64 s[30:31], vcc
	s_xor_b64 vcc, exec, s[30:31]
; %bb.13478:                            ;   in Loop: Header=BB4_12002 Depth=3
	v_or_b32_sdwa v14, v2, s47 dst_sel:DWORD dst_unused:UNUSED_PAD src0_sel:BYTE_3 src1_sel:DWORD
                                        ; implicit-def: $vgpr2
; %bb.13479:                            ;   in Loop: Header=BB4_12002 Depth=3
	s_andn2_saveexec_b64 s[30:31], vcc
; %bb.13480:                            ;   in Loop: Header=BB4_12002 Depth=3
	v_cmp_lt_i32_e32 vcc, -1, v2
	v_bfrev_b32_e32 v0, 0.5
	v_cndmask_b32_e32 v14, v0, v52, vcc
; %bb.13481:                            ;   in Loop: Header=BB4_12002 Depth=3
	s_or_b64 exec, exec, s[30:31]
.LBB4_13482:                            ;   in Loop: Header=BB4_12002 Depth=3
	s_or_b64 exec, exec, s[28:29]
	v_lshl_or_b32 v35, v35, 8, v25
	v_lshlrev_b32_e32 v0, 16, v39
	v_lshlrev_b32_e32 v1, 24, v53
	v_or3_b32 v0, v0, v1, v35
	v_mov_b32_e32 v1, v17
	v_cmp_ne_u32_e32 vcc, 0, v25
	v_mov_b32_e32 v2, 0
	v_mov_b32_e32 v3, 0
	s_and_saveexec_b64 s[30:31], vcc
	s_cbranch_execz .LBB4_13490
; %bb.13483:                            ;   in Loop: Header=BB4_12002 Depth=3
	v_cmp_ne_u32_e32 vcc, s96, v25
	v_bfrev_b32_e32 v3, 1
	s_and_saveexec_b64 s[34:35], vcc
	s_cbranch_execz .LBB4_13489
; %bb.13484:                            ;   in Loop: Header=BB4_12002 Depth=3
	v_and_b32_e32 v3, 0x7c, v25
	v_and_b32_e32 v15, 3, v25
	v_cmp_ne_u32_e32 vcc, s85, v3
                                        ; implicit-def: $vgpr3
	s_and_saveexec_b64 s[28:29], vcc
	s_xor_b64 s[28:29], exec, s[28:29]
	s_cbranch_execz .LBB4_13486
; %bb.13485:                            ;   in Loop: Header=BB4_12002 Depth=3
	v_ffbh_u32_e32 v5, v15
	v_min_u32_e32 v28, 32, v5
	v_subrev_u32_e32 v5, 29, v28
	v_lshlrev_b64 v[5:6], v5, v[0:1]
	v_bfe_u32 v3, v25, 2, 5
	v_sub_u32_e32 v1, 30, v28
	v_and_b32_e32 v5, 3, v5
	v_cmp_eq_u32_e32 vcc, 0, v3
	v_cndmask_b32_e32 v1, v3, v1, vcc
	v_cndmask_b32_e32 v3, v15, v5, vcc
	v_lshlrev_b32_e32 v5, 24, v25
	v_and_b32_e32 v5, 0x80000000, v5
	v_lshl_add_u32 v1, v1, 23, v5
	v_lshl_or_b32 v1, v3, 21, v1
	v_add_u32_e32 v3, 0x38000000, v1
                                        ; implicit-def: $vgpr15
                                        ; implicit-def: $vgpr25
.LBB4_13486:                            ;   in Loop: Header=BB4_12002 Depth=3
	s_andn2_saveexec_b64 s[36:37], s[28:29]
; %bb.13487:                            ;   in Loop: Header=BB4_12002 Depth=3
	v_and_b32_e32 v1, 0x80, v25
	v_cmp_eq_u32_e64 s[28:29], 0, v1
	v_mov_b32_e32 v1, 0xff800000
	v_mov_b32_e32 v3, 0x7f800000
	v_cmp_eq_u32_e32 vcc, 0, v15
	v_cndmask_b32_e64 v1, v1, v3, s[28:29]
	v_mov_b32_e32 v3, 0x7f800001
	v_cndmask_b32_e32 v3, v3, v1, vcc
; %bb.13488:                            ;   in Loop: Header=BB4_12002 Depth=3
	s_or_b64 exec, exec, s[36:37]
.LBB4_13489:                            ;   in Loop: Header=BB4_12002 Depth=3
	s_or_b64 exec, exec, s[34:35]
.LBB4_13490:                            ;   in Loop: Header=BB4_12002 Depth=3
	s_or_b64 exec, exec, s[30:31]
	s_waitcnt vmcnt(0)
	v_cmp_ne_u16_sdwa vcc, v8, v17 src0_sel:BYTE_0 src1_sel:DWORD
	s_and_saveexec_b64 s[28:29], vcc
	s_cbranch_execz .LBB4_13498
; %bb.13491:                            ;   in Loop: Header=BB4_12002 Depth=3
	v_cmp_ne_u16_sdwa vcc, sext(v8), s97 src0_sel:BYTE_0 src1_sel:DWORD
	v_bfrev_b32_e32 v2, 1
	s_and_saveexec_b64 s[30:31], vcc
	s_cbranch_execz .LBB4_13497
; %bb.13492:                            ;   in Loop: Header=BB4_12002 Depth=3
	v_and_b32_e32 v2, 0x7c, v8
	v_and_b32_e32 v1, 3, v8
	v_cmp_ne_u32_e32 vcc, s85, v2
                                        ; implicit-def: $vgpr2
	s_and_saveexec_b64 s[34:35], vcc
	s_xor_b64 s[34:35], exec, s[34:35]
	s_cbranch_execz .LBB4_13494
; %bb.13493:                            ;   in Loop: Header=BB4_12002 Depth=3
	v_ffbh_u32_e32 v5, v1
	v_min_u32_e32 v15, 32, v5
	v_subrev_u32_e32 v5, 29, v15
	v_lshlrev_b64 v[5:6], v5, v[8:9]
	v_bfe_u32 v2, v8, 2, 5
	v_and_b32_e32 v5, 3, v5
	v_cmp_eq_u32_e32 vcc, 0, v2
	v_sub_u32_e32 v6, 30, v15
	v_cndmask_b32_e32 v1, v1, v5, vcc
	v_lshlrev_b32_e32 v5, 24, v8
	v_cndmask_b32_e32 v2, v2, v6, vcc
	v_and_b32_e32 v5, 0x80000000, v5
	v_lshl_add_u32 v2, v2, 23, v5
	v_lshl_or_b32 v1, v1, 21, v2
	v_add_u32_e32 v2, 0x38000000, v1
                                        ; implicit-def: $vgpr1
.LBB4_13494:                            ;   in Loop: Header=BB4_12002 Depth=3
	s_andn2_saveexec_b64 s[34:35], s[34:35]
; %bb.13495:                            ;   in Loop: Header=BB4_12002 Depth=3
	v_mov_b32_e32 v2, -1
	v_cmp_gt_i16_sdwa vcc, sext(v8), v2 src0_sel:BYTE_0 src1_sel:DWORD
	v_mov_b32_e32 v2, 0xff800000
	v_mov_b32_e32 v5, 0x7f800000
	v_cndmask_b32_e32 v2, v2, v5, vcc
	v_cmp_eq_u32_e32 vcc, 0, v1
	v_mov_b32_e32 v1, 0x7f800001
	v_cndmask_b32_e32 v2, v1, v2, vcc
; %bb.13496:                            ;   in Loop: Header=BB4_12002 Depth=3
	s_or_b64 exec, exec, s[34:35]
.LBB4_13497:                            ;   in Loop: Header=BB4_12002 Depth=3
	s_or_b64 exec, exec, s[30:31]
.LBB4_13498:                            ;   in Loop: Header=BB4_12002 Depth=3
	s_or_b64 exec, exec, s[28:29]
	v_add_f32_e32 v3, v3, v2
	v_and_b32_e32 v5, 0x7f800000, v3
	v_mov_b32_e32 v6, v17
	v_cmp_ne_u64_e32 vcc, s[76:77], v[5:6]
	v_and_b32_e32 v1, 0x7fffff, v3
	v_mov_b32_e32 v2, v17
                                        ; implicit-def: $vgpr15
	s_and_saveexec_b64 s[28:29], vcc
	s_xor_b64 s[30:31], exec, s[28:29]
	s_cbranch_execz .LBB4_13512
; %bb.13499:                            ;   in Loop: Header=BB4_12002 Depth=3
	v_and_b32_e32 v5, 0x7fffffff, v3
	v_mov_b32_e32 v6, v17
	v_cmp_gt_u64_e32 vcc, s[78:79], v[5:6]
	v_and_b32_sdwa v25, v3, s96 dst_sel:DWORD dst_unused:UNUSED_PAD src0_sel:BYTE_3 src1_sel:DWORD
                                        ; implicit-def: $vgpr15
	s_and_saveexec_b64 s[28:29], vcc
	s_xor_b64 s[34:35], exec, s[28:29]
	s_cbranch_execz .LBB4_13509
; %bb.13500:                            ;   in Loop: Header=BB4_12002 Depth=3
	v_mov_b32_e32 v15, 0
	v_cmp_ne_u32_e32 vcc, 0, v3
	s_and_saveexec_b64 s[36:37], vcc
	s_cbranch_execz .LBB4_13508
; %bb.13501:                            ;   in Loop: Header=BB4_12002 Depth=3
	v_bfe_u32 v15, v3, 23, 8
	v_cmp_gt_u32_e64 s[28:29], s46, v15
	v_sub_u32_e32 v3, 0x71, v15
	v_cmp_eq_u32_e32 vcc, 0, v15
	v_cndmask_b32_e64 v3, 0, v3, s[28:29]
	v_mov_b32_e32 v6, 0x70
	v_cndmask_b32_e32 v39, v3, v6, vcc
	v_or_b32_e32 v5, 0x800000, v1
	v_add_u32_e32 v3, 21, v39
	v_cndmask_b32_e32 v1, v5, v1, vcc
	v_lshlrev_b64 v[5:6], v3, -1
	v_add_u32_e32 v3, 20, v39
	v_bfi_b32 v5, v5, 0, v1
	v_lshlrev_b64 v[57:58], v3, 1
	v_lshrrev_b64 v[1:2], v39, v[1:2]
	v_bfi_b32 v6, v6, 0, 0
	v_cmp_eq_u64_e64 s[28:29], v[5:6], v[57:58]
	v_mov_b32_e32 v3, v2
	v_mov_b32_e32 v2, v1
	s_and_saveexec_b64 s[38:39], s[28:29]
; %bb.13502:                            ;   in Loop: Header=BB4_12002 Depth=3
	v_bfe_u32 v2, v1, 21, 1
	v_add_co_u32_e64 v2, s[28:29], v1, v2
	v_add_co_u32_e64 v2, s[28:29], -1, v2
; %bb.13503:                            ;   in Loop: Header=BB4_12002 Depth=3
	s_or_b64 exec, exec, s[38:39]
	v_add_u32_e32 v3, 0xffffff81, v15
	v_mov_b32_e32 v5, 0xffffff82
	v_cndmask_b32_e32 v3, v3, v5, vcc
	v_lshrrev_b32_e32 v5, 23, v1
	v_add3_u32 v39, v39, v3, v5
	v_add_u32_e32 v15, 14, v39
	v_and_b32_e32 v2, 0x1fffff, v2
	v_add_u32_e32 v1, v2, v1
	v_mov_b32_e32 v2, v17
	v_cmp_ne_u32_e32 vcc, 0, v15
                                        ; implicit-def: $vgpr3
	s_and_saveexec_b64 s[28:29], vcc
	s_xor_b64 s[28:29], exec, s[28:29]
; %bb.13504:                            ;   in Loop: Header=BB4_12002 Depth=3
	v_cmp_lt_u64_e32 vcc, s[88:89], v[1:2]
	v_add_u32_e32 v3, 15, v39
	v_cndmask_b32_e64 v5, 0, 1, vcc
	v_lshrrev_b64 v[1:2], v5, v[1:2]
	v_cndmask_b32_e32 v3, v15, v3, vcc
; %bb.13505:                            ;   in Loop: Header=BB4_12002 Depth=3
	s_andn2_saveexec_b64 s[28:29], s[28:29]
; %bb.13506:                            ;   in Loop: Header=BB4_12002 Depth=3
	v_bfe_u32 v3, v1, 23, 1
; %bb.13507:                            ;   in Loop: Header=BB4_12002 Depth=3
	s_or_b64 exec, exec, s[28:29]
	v_lshrrev_b64 v[1:2], 21, v[1:2]
	v_cmp_gt_i32_e32 vcc, 32, v3
	v_cndmask_b32_e32 v2, 0, v2, vcc
	v_cndmask_b32_e32 v1, 3, v1, vcc
	v_cmp_eq_u64_e64 s[28:29], 0, v[1:2]
	v_min_i32_e32 v2, 31, v3
	v_lshlrev_b32_e32 v2, 2, v2
	v_cmp_eq_u32_e32 vcc, 0, v3
	v_and_b32_e32 v2, 0xfc, v2
	v_and_or_b32 v1, v1, 3, v2
	s_and_b64 s[28:29], vcc, s[28:29]
	v_cndmask_b32_e64 v1, v1, 0, s[28:29]
	v_or_b32_e32 v15, v1, v25
.LBB4_13508:                            ;   in Loop: Header=BB4_12002 Depth=3
	s_or_b64 exec, exec, s[36:37]
                                        ; implicit-def: $vgpr25
.LBB4_13509:                            ;   in Loop: Header=BB4_12002 Depth=3
	s_andn2_saveexec_b64 s[28:29], s[34:35]
; %bb.13510:                            ;   in Loop: Header=BB4_12002 Depth=3
	v_or_b32_e32 v15, 0x7b, v25
; %bb.13511:                            ;   in Loop: Header=BB4_12002 Depth=3
	s_or_b64 exec, exec, s[28:29]
                                        ; implicit-def: $vgpr3
                                        ; implicit-def: $vgpr1_vgpr2
.LBB4_13512:                            ;   in Loop: Header=BB4_12002 Depth=3
	s_andn2_saveexec_b64 s[28:29], s[30:31]
	s_cbranch_execz .LBB4_13518
; %bb.13513:                            ;   in Loop: Header=BB4_12002 Depth=3
	v_cmp_ne_u64_e32 vcc, 0, v[1:2]
                                        ; implicit-def: $vgpr15
	s_and_saveexec_b64 s[30:31], vcc
	s_xor_b64 vcc, exec, s[30:31]
; %bb.13514:                            ;   in Loop: Header=BB4_12002 Depth=3
	v_or_b32_sdwa v15, v3, s47 dst_sel:DWORD dst_unused:UNUSED_PAD src0_sel:BYTE_3 src1_sel:DWORD
                                        ; implicit-def: $vgpr3
; %bb.13515:                            ;   in Loop: Header=BB4_12002 Depth=3
	s_andn2_saveexec_b64 s[30:31], vcc
; %bb.13516:                            ;   in Loop: Header=BB4_12002 Depth=3
	v_cmp_lt_i32_e32 vcc, -1, v3
	v_bfrev_b32_e32 v1, 0.5
	v_cndmask_b32_e32 v15, v1, v52, vcc
; %bb.13517:                            ;   in Loop: Header=BB4_12002 Depth=3
	s_or_b64 exec, exec, s[30:31]
.LBB4_13518:                            ;   in Loop: Header=BB4_12002 Depth=3
	s_or_b64 exec, exec, s[28:29]
	v_lshrrev_b16_e32 v1, 8, v35
	v_cmp_ne_u16_e32 vcc, 0, v1
	v_mov_b32_e32 v3, 0
	v_mov_b32_e32 v25, 0
	s_and_saveexec_b64 s[28:29], vcc
	s_cbranch_execz .LBB4_13526
; %bb.13519:                            ;   in Loop: Header=BB4_12002 Depth=3
	v_cmp_ne_u16_e32 vcc, s96, v1
	v_bfrev_b32_e32 v25, 1
	s_and_saveexec_b64 s[30:31], vcc
	s_cbranch_execz .LBB4_13525
; %bb.13520:                            ;   in Loop: Header=BB4_12002 Depth=3
	v_and_b32_e32 v2, 0x7c, v1
	v_and_b32_e32 v39, 3, v1
	v_cmp_ne_u32_e32 vcc, s85, v2
                                        ; implicit-def: $vgpr25
	s_and_saveexec_b64 s[34:35], vcc
	s_xor_b64 s[34:35], exec, s[34:35]
	s_cbranch_execz .LBB4_13522
; %bb.13521:                            ;   in Loop: Header=BB4_12002 Depth=3
	v_ffbh_u32_e32 v6, v39
	v_min_u32_e32 v6, 32, v6
	v_mov_b32_e32 v2, v17
	v_subrev_u32_e32 v25, 29, v6
	v_bfe_u32 v5, v1, 2, 5
	v_lshlrev_b64 v[1:2], v25, v[1:2]
	v_sub_u32_e32 v2, 30, v6
	v_cmp_eq_u32_e32 vcc, 0, v5
	v_cndmask_b32_e32 v2, v5, v2, vcc
	v_lshlrev_b32_e32 v5, 16, v35
	v_and_b32_e32 v1, 3, v1
	v_and_b32_e32 v5, 0x80000000, v5
	v_cndmask_b32_e32 v1, v39, v1, vcc
	v_lshl_add_u32 v2, v2, 23, v5
	v_lshl_or_b32 v1, v1, 21, v2
	v_add_u32_e32 v25, 0x38000000, v1
                                        ; implicit-def: $vgpr39
                                        ; implicit-def: $vgpr35
.LBB4_13522:                            ;   in Loop: Header=BB4_12002 Depth=3
	s_andn2_saveexec_b64 s[34:35], s[34:35]
; %bb.13523:                            ;   in Loop: Header=BB4_12002 Depth=3
	v_cmp_lt_i16_e32 vcc, -1, v35
	v_mov_b32_e32 v1, 0xff800000
	v_mov_b32_e32 v2, 0x7f800000
	v_cndmask_b32_e32 v1, v1, v2, vcc
	v_cmp_eq_u32_e32 vcc, 0, v39
	v_mov_b32_e32 v2, 0x7f800001
	v_cndmask_b32_e32 v25, v2, v1, vcc
; %bb.13524:                            ;   in Loop: Header=BB4_12002 Depth=3
	s_or_b64 exec, exec, s[34:35]
.LBB4_13525:                            ;   in Loop: Header=BB4_12002 Depth=3
	s_or_b64 exec, exec, s[30:31]
.LBB4_13526:                            ;   in Loop: Header=BB4_12002 Depth=3
	s_or_b64 exec, exec, s[28:29]
	v_lshrrev_b16_e32 v1, 8, v8
	v_cmp_ne_u16_e32 vcc, 0, v1
	s_and_saveexec_b64 s[28:29], vcc
	s_cbranch_execz .LBB4_13534
; %bb.13527:                            ;   in Loop: Header=BB4_12002 Depth=3
	v_cmp_ne_u16_e32 vcc, s96, v1
	v_bfrev_b32_e32 v3, 1
	s_and_saveexec_b64 s[30:31], vcc
	s_cbranch_execz .LBB4_13533
; %bb.13528:                            ;   in Loop: Header=BB4_12002 Depth=3
	v_and_b32_e32 v2, 0x7c, v1
	v_and_b32_e32 v35, 3, v1
	v_cmp_ne_u32_e32 vcc, s85, v2
                                        ; implicit-def: $vgpr3
	s_and_saveexec_b64 s[34:35], vcc
	s_xor_b64 s[34:35], exec, s[34:35]
	s_cbranch_execz .LBB4_13530
; %bb.13529:                            ;   in Loop: Header=BB4_12002 Depth=3
	v_ffbh_u32_e32 v5, v35
	v_min_u32_e32 v5, 32, v5
	v_mov_b32_e32 v2, v17
	v_subrev_u32_e32 v6, 29, v5
	v_bfe_u32 v3, v1, 2, 5
	v_lshlrev_b64 v[1:2], v6, v[1:2]
	v_sub_u32_e32 v2, 30, v5
	v_cmp_eq_u32_e32 vcc, 0, v3
	v_cndmask_b32_e32 v2, v3, v2, vcc
	v_lshlrev_b32_e32 v3, 16, v8
	v_and_b32_e32 v1, 3, v1
	v_and_b32_e32 v3, 0x80000000, v3
	v_cndmask_b32_e32 v1, v35, v1, vcc
	v_lshl_add_u32 v2, v2, 23, v3
	v_lshl_or_b32 v1, v1, 21, v2
	v_add_u32_e32 v3, 0x38000000, v1
                                        ; implicit-def: $vgpr35
.LBB4_13530:                            ;   in Loop: Header=BB4_12002 Depth=3
	s_andn2_saveexec_b64 s[34:35], s[34:35]
; %bb.13531:                            ;   in Loop: Header=BB4_12002 Depth=3
	v_cmp_lt_i16_e32 vcc, -1, v8
	v_mov_b32_e32 v1, 0xff800000
	v_mov_b32_e32 v2, 0x7f800000
	v_cndmask_b32_e32 v1, v1, v2, vcc
	v_cmp_eq_u32_e32 vcc, 0, v35
	v_mov_b32_e32 v2, 0x7f800001
	v_cndmask_b32_e32 v3, v2, v1, vcc
; %bb.13532:                            ;   in Loop: Header=BB4_12002 Depth=3
	s_or_b64 exec, exec, s[34:35]
.LBB4_13533:                            ;   in Loop: Header=BB4_12002 Depth=3
	s_or_b64 exec, exec, s[30:31]
.LBB4_13534:                            ;   in Loop: Header=BB4_12002 Depth=3
	s_or_b64 exec, exec, s[28:29]
	v_add_f32_e32 v3, v25, v3
	v_and_b32_e32 v5, 0x7f800000, v3
	v_mov_b32_e32 v6, v17
	v_cmp_ne_u64_e32 vcc, s[76:77], v[5:6]
	v_and_b32_e32 v1, 0x7fffff, v3
	v_mov_b32_e32 v2, v17
                                        ; implicit-def: $vgpr25
	s_and_saveexec_b64 s[28:29], vcc
	s_xor_b64 s[30:31], exec, s[28:29]
	s_cbranch_execz .LBB4_13548
; %bb.13535:                            ;   in Loop: Header=BB4_12002 Depth=3
	v_and_b32_e32 v5, 0x7fffffff, v3
	v_mov_b32_e32 v6, v17
	v_cmp_gt_u64_e32 vcc, s[78:79], v[5:6]
	v_and_b32_sdwa v35, v3, s96 dst_sel:DWORD dst_unused:UNUSED_PAD src0_sel:BYTE_3 src1_sel:DWORD
                                        ; implicit-def: $vgpr25
	s_and_saveexec_b64 s[28:29], vcc
	s_xor_b64 s[34:35], exec, s[28:29]
	s_cbranch_execz .LBB4_13545
; %bb.13536:                            ;   in Loop: Header=BB4_12002 Depth=3
	v_mov_b32_e32 v25, 0
	v_cmp_ne_u32_e32 vcc, 0, v3
	s_and_saveexec_b64 s[36:37], vcc
	s_cbranch_execz .LBB4_13544
; %bb.13537:                            ;   in Loop: Header=BB4_12002 Depth=3
	v_bfe_u32 v25, v3, 23, 8
	v_cmp_gt_u32_e64 s[28:29], s46, v25
	v_sub_u32_e32 v3, 0x71, v25
	v_cmp_eq_u32_e32 vcc, 0, v25
	v_cndmask_b32_e64 v3, 0, v3, s[28:29]
	v_mov_b32_e32 v6, 0x70
	v_cndmask_b32_e32 v39, v3, v6, vcc
	v_or_b32_e32 v5, 0x800000, v1
	v_add_u32_e32 v3, 21, v39
	v_cndmask_b32_e32 v1, v5, v1, vcc
	v_lshlrev_b64 v[5:6], v3, -1
	v_add_u32_e32 v3, 20, v39
	v_bfi_b32 v5, v5, 0, v1
	v_lshlrev_b64 v[57:58], v3, 1
	v_lshrrev_b64 v[1:2], v39, v[1:2]
	v_bfi_b32 v6, v6, 0, 0
	v_cmp_eq_u64_e64 s[28:29], v[5:6], v[57:58]
	v_mov_b32_e32 v3, v2
	v_mov_b32_e32 v2, v1
	s_and_saveexec_b64 s[38:39], s[28:29]
; %bb.13538:                            ;   in Loop: Header=BB4_12002 Depth=3
	v_bfe_u32 v2, v1, 21, 1
	v_add_co_u32_e64 v2, s[28:29], v1, v2
	v_add_co_u32_e64 v2, s[28:29], -1, v2
; %bb.13539:                            ;   in Loop: Header=BB4_12002 Depth=3
	s_or_b64 exec, exec, s[38:39]
	v_add_u32_e32 v3, 0xffffff81, v25
	v_mov_b32_e32 v5, 0xffffff82
	v_cndmask_b32_e32 v3, v3, v5, vcc
	v_lshrrev_b32_e32 v5, 23, v1
	v_add3_u32 v39, v39, v3, v5
	v_add_u32_e32 v25, 14, v39
	v_and_b32_e32 v2, 0x1fffff, v2
	v_add_u32_e32 v1, v2, v1
	v_mov_b32_e32 v2, v17
	v_cmp_ne_u32_e32 vcc, 0, v25
                                        ; implicit-def: $vgpr3
	s_and_saveexec_b64 s[28:29], vcc
	s_xor_b64 s[28:29], exec, s[28:29]
; %bb.13540:                            ;   in Loop: Header=BB4_12002 Depth=3
	v_cmp_lt_u64_e32 vcc, s[88:89], v[1:2]
	v_add_u32_e32 v3, 15, v39
	v_cndmask_b32_e64 v5, 0, 1, vcc
	v_lshrrev_b64 v[1:2], v5, v[1:2]
	v_cndmask_b32_e32 v3, v25, v3, vcc
; %bb.13541:                            ;   in Loop: Header=BB4_12002 Depth=3
	s_andn2_saveexec_b64 s[28:29], s[28:29]
; %bb.13542:                            ;   in Loop: Header=BB4_12002 Depth=3
	v_bfe_u32 v3, v1, 23, 1
; %bb.13543:                            ;   in Loop: Header=BB4_12002 Depth=3
	s_or_b64 exec, exec, s[28:29]
	v_lshrrev_b64 v[1:2], 21, v[1:2]
	v_cmp_gt_i32_e32 vcc, 32, v3
	v_cndmask_b32_e32 v2, 0, v2, vcc
	v_cndmask_b32_e32 v1, 3, v1, vcc
	v_cmp_eq_u64_e64 s[28:29], 0, v[1:2]
	v_min_i32_e32 v2, 31, v3
	v_lshlrev_b32_e32 v2, 2, v2
	v_cmp_eq_u32_e32 vcc, 0, v3
	v_and_b32_e32 v2, 0xfc, v2
	v_and_or_b32 v1, v1, 3, v2
	s_and_b64 s[28:29], vcc, s[28:29]
	v_cndmask_b32_e64 v1, v1, 0, s[28:29]
	v_or_b32_e32 v25, v1, v35
.LBB4_13544:                            ;   in Loop: Header=BB4_12002 Depth=3
	s_or_b64 exec, exec, s[36:37]
                                        ; implicit-def: $vgpr35
.LBB4_13545:                            ;   in Loop: Header=BB4_12002 Depth=3
	s_andn2_saveexec_b64 s[28:29], s[34:35]
; %bb.13546:                            ;   in Loop: Header=BB4_12002 Depth=3
	v_or_b32_e32 v25, 0x7b, v35
; %bb.13547:                            ;   in Loop: Header=BB4_12002 Depth=3
	s_or_b64 exec, exec, s[28:29]
                                        ; implicit-def: $vgpr3
                                        ; implicit-def: $vgpr1_vgpr2
.LBB4_13548:                            ;   in Loop: Header=BB4_12002 Depth=3
	s_andn2_saveexec_b64 s[28:29], s[30:31]
	s_cbranch_execz .LBB4_13554
; %bb.13549:                            ;   in Loop: Header=BB4_12002 Depth=3
	v_cmp_ne_u64_e32 vcc, 0, v[1:2]
                                        ; implicit-def: $vgpr25
	s_and_saveexec_b64 s[30:31], vcc
	s_xor_b64 vcc, exec, s[30:31]
; %bb.13550:                            ;   in Loop: Header=BB4_12002 Depth=3
	v_or_b32_sdwa v25, v3, s47 dst_sel:DWORD dst_unused:UNUSED_PAD src0_sel:BYTE_3 src1_sel:DWORD
                                        ; implicit-def: $vgpr3
; %bb.13551:                            ;   in Loop: Header=BB4_12002 Depth=3
	s_andn2_saveexec_b64 s[30:31], vcc
; %bb.13552:                            ;   in Loop: Header=BB4_12002 Depth=3
	v_cmp_lt_i32_e32 vcc, -1, v3
	v_bfrev_b32_e32 v1, 0.5
	v_cndmask_b32_e32 v25, v1, v52, vcc
; %bb.13553:                            ;   in Loop: Header=BB4_12002 Depth=3
	s_or_b64 exec, exec, s[30:31]
.LBB4_13554:                            ;   in Loop: Header=BB4_12002 Depth=3
	s_or_b64 exec, exec, s[28:29]
	v_and_b32_sdwa v35, v0, s87 dst_sel:DWORD dst_unused:UNUSED_PAD src0_sel:WORD_1 src1_sel:DWORD
	v_lshrrev_b32_e32 v1, 16, v0
	v_cmp_ne_u16_e32 vcc, 0, v35
	v_mov_b32_e32 v2, 0
	v_mov_b32_e32 v3, 0
	s_and_saveexec_b64 s[28:29], vcc
	s_cbranch_execz .LBB4_13562
; %bb.13555:                            ;   in Loop: Header=BB4_12002 Depth=3
	v_cmp_ne_u16_e32 vcc, s96, v35
	v_bfrev_b32_e32 v3, 1
	s_and_saveexec_b64 s[30:31], vcc
	s_cbranch_execz .LBB4_13561
; %bb.13556:                            ;   in Loop: Header=BB4_12002 Depth=3
	v_and_b32_e32 v3, 0x7c0000, v0
	v_bfe_u32 v35, v0, 16, 2
	v_cmp_ne_u32_e32 vcc, s44, v3
                                        ; implicit-def: $vgpr3
	s_and_saveexec_b64 s[34:35], vcc
	s_xor_b64 s[34:35], exec, s[34:35]
	s_cbranch_execz .LBB4_13558
; %bb.13557:                            ;   in Loop: Header=BB4_12002 Depth=3
	v_ffbh_u32_e32 v5, v35
	v_min_u32_e32 v28, 32, v5
	v_subrev_u32_e32 v5, 29, v28
	v_lshlrev_b64 v[5:6], v5, v[1:2]
	v_bfe_u32 v3, v0, 18, 5
	v_sub_u32_e32 v1, 30, v28
	v_and_b32_e32 v5, 3, v5
	v_cmp_eq_u32_e32 vcc, 0, v3
	v_cndmask_b32_e32 v1, v3, v1, vcc
	v_cndmask_b32_e32 v3, v35, v5, vcc
	v_lshlrev_b32_e32 v5, 8, v0
	v_and_b32_e32 v5, 0x80000000, v5
	v_lshl_add_u32 v1, v1, 23, v5
	v_lshl_or_b32 v1, v3, 21, v1
	v_add_u32_e32 v3, 0x38000000, v1
                                        ; implicit-def: $vgpr35
                                        ; implicit-def: $vgpr1
.LBB4_13558:                            ;   in Loop: Header=BB4_12002 Depth=3
	s_andn2_saveexec_b64 s[34:35], s[34:35]
; %bb.13559:                            ;   in Loop: Header=BB4_12002 Depth=3
	v_mov_b32_e32 v3, -1
	v_cmp_gt_i16_sdwa vcc, sext(v1), v3 src0_sel:BYTE_0 src1_sel:DWORD
	v_mov_b32_e32 v1, 0xff800000
	v_mov_b32_e32 v3, 0x7f800000
	v_cndmask_b32_e32 v1, v1, v3, vcc
	v_cmp_eq_u32_e32 vcc, 0, v35
	v_mov_b32_e32 v3, 0x7f800001
	v_cndmask_b32_e32 v3, v3, v1, vcc
; %bb.13560:                            ;   in Loop: Header=BB4_12002 Depth=3
	s_or_b64 exec, exec, s[34:35]
.LBB4_13561:                            ;   in Loop: Header=BB4_12002 Depth=3
	s_or_b64 exec, exec, s[30:31]
.LBB4_13562:                            ;   in Loop: Header=BB4_12002 Depth=3
	s_or_b64 exec, exec, s[28:29]
	v_lshrrev_b32_e32 v1, 16, v8
	v_cmp_ne_u16_sdwa vcc, v1, v17 src0_sel:BYTE_0 src1_sel:DWORD
	s_and_saveexec_b64 s[28:29], vcc
	s_cbranch_execz .LBB4_13570
; %bb.13563:                            ;   in Loop: Header=BB4_12002 Depth=3
	v_cmp_ne_u16_sdwa vcc, v1, s96 src0_sel:BYTE_0 src1_sel:DWORD
	v_bfrev_b32_e32 v2, 1
	s_and_saveexec_b64 s[30:31], vcc
	s_cbranch_execz .LBB4_13569
; %bb.13564:                            ;   in Loop: Header=BB4_12002 Depth=3
	v_and_b32_e32 v2, 0x7c0000, v8
	v_bfe_u32 v35, v8, 16, 2
	v_cmp_ne_u32_e32 vcc, s44, v2
                                        ; implicit-def: $vgpr2
	s_and_saveexec_b64 s[34:35], vcc
	s_xor_b64 s[34:35], exec, s[34:35]
	s_cbranch_execz .LBB4_13566
; %bb.13565:                            ;   in Loop: Header=BB4_12002 Depth=3
	v_ffbh_u32_e32 v2, v35
	v_min_u32_e32 v6, 32, v2
	v_subrev_u32_e32 v2, 29, v6
	v_bfe_u32 v5, v8, 18, 5
	v_lshlrev_b64 v[1:2], v2, v[1:2]
	v_sub_u32_e32 v2, 30, v6
	v_cmp_eq_u32_e32 vcc, 0, v5
	v_cndmask_b32_e32 v2, v5, v2, vcc
	v_lshlrev_b32_e32 v5, 8, v8
	v_and_b32_e32 v1, 3, v1
	v_and_b32_e32 v5, 0x80000000, v5
	v_cndmask_b32_e32 v1, v35, v1, vcc
	v_lshl_add_u32 v2, v2, 23, v5
	v_lshl_or_b32 v1, v1, 21, v2
	v_add_u32_e32 v2, 0x38000000, v1
                                        ; implicit-def: $vgpr35
                                        ; implicit-def: $vgpr1
.LBB4_13566:                            ;   in Loop: Header=BB4_12002 Depth=3
	s_andn2_saveexec_b64 s[34:35], s[34:35]
; %bb.13567:                            ;   in Loop: Header=BB4_12002 Depth=3
	v_mov_b32_e32 v2, -1
	v_cmp_gt_i16_sdwa vcc, sext(v1), v2 src0_sel:BYTE_0 src1_sel:DWORD
	v_mov_b32_e32 v1, 0xff800000
	v_mov_b32_e32 v2, 0x7f800000
	v_cndmask_b32_e32 v1, v1, v2, vcc
	v_cmp_eq_u32_e32 vcc, 0, v35
	v_mov_b32_e32 v2, 0x7f800001
	v_cndmask_b32_e32 v2, v2, v1, vcc
; %bb.13568:                            ;   in Loop: Header=BB4_12002 Depth=3
	s_or_b64 exec, exec, s[34:35]
.LBB4_13569:                            ;   in Loop: Header=BB4_12002 Depth=3
	s_or_b64 exec, exec, s[30:31]
.LBB4_13570:                            ;   in Loop: Header=BB4_12002 Depth=3
	s_or_b64 exec, exec, s[28:29]
	v_add_f32_e32 v3, v3, v2
	v_and_b32_e32 v5, 0x7f800000, v3
	v_mov_b32_e32 v6, v17
	v_cmp_ne_u64_e32 vcc, s[76:77], v[5:6]
	v_and_b32_e32 v1, 0x7fffff, v3
	v_mov_b32_e32 v2, v17
                                        ; implicit-def: $vgpr35
	s_and_saveexec_b64 s[28:29], vcc
	s_xor_b64 s[30:31], exec, s[28:29]
	s_cbranch_execz .LBB4_13584
; %bb.13571:                            ;   in Loop: Header=BB4_12002 Depth=3
	v_and_b32_e32 v5, 0x7fffffff, v3
	v_mov_b32_e32 v6, v17
	v_cmp_gt_u64_e32 vcc, s[78:79], v[5:6]
	v_and_b32_sdwa v39, v3, s96 dst_sel:DWORD dst_unused:UNUSED_PAD src0_sel:BYTE_3 src1_sel:DWORD
                                        ; implicit-def: $vgpr35
	s_and_saveexec_b64 s[28:29], vcc
	s_xor_b64 s[34:35], exec, s[28:29]
	s_cbranch_execz .LBB4_13581
; %bb.13572:                            ;   in Loop: Header=BB4_12002 Depth=3
	v_mov_b32_e32 v35, 0
	v_cmp_ne_u32_e32 vcc, 0, v3
	s_and_saveexec_b64 s[36:37], vcc
	s_cbranch_execz .LBB4_13580
; %bb.13573:                            ;   in Loop: Header=BB4_12002 Depth=3
	v_bfe_u32 v35, v3, 23, 8
	v_cmp_gt_u32_e64 s[28:29], s46, v35
	v_sub_u32_e32 v3, 0x71, v35
	v_cmp_eq_u32_e32 vcc, 0, v35
	v_cndmask_b32_e64 v3, 0, v3, s[28:29]
	v_mov_b32_e32 v6, 0x70
	v_cndmask_b32_e32 v53, v3, v6, vcc
	v_or_b32_e32 v5, 0x800000, v1
	v_add_u32_e32 v3, 21, v53
	v_cndmask_b32_e32 v1, v5, v1, vcc
	v_lshlrev_b64 v[5:6], v3, -1
	v_add_u32_e32 v3, 20, v53
	v_bfi_b32 v5, v5, 0, v1
	v_lshlrev_b64 v[57:58], v3, 1
	v_lshrrev_b64 v[1:2], v53, v[1:2]
	v_bfi_b32 v6, v6, 0, 0
	v_cmp_eq_u64_e64 s[28:29], v[5:6], v[57:58]
	v_mov_b32_e32 v3, v2
	v_mov_b32_e32 v2, v1
	s_and_saveexec_b64 s[38:39], s[28:29]
; %bb.13574:                            ;   in Loop: Header=BB4_12002 Depth=3
	v_bfe_u32 v2, v1, 21, 1
	v_add_co_u32_e64 v2, s[28:29], v1, v2
	v_add_co_u32_e64 v2, s[28:29], -1, v2
; %bb.13575:                            ;   in Loop: Header=BB4_12002 Depth=3
	s_or_b64 exec, exec, s[38:39]
	v_add_u32_e32 v3, 0xffffff81, v35
	v_mov_b32_e32 v5, 0xffffff82
	v_cndmask_b32_e32 v3, v3, v5, vcc
	v_lshrrev_b32_e32 v5, 23, v1
	v_add3_u32 v53, v53, v3, v5
	v_add_u32_e32 v35, 14, v53
	v_and_b32_e32 v2, 0x1fffff, v2
	v_add_u32_e32 v1, v2, v1
	v_mov_b32_e32 v2, v17
	v_cmp_ne_u32_e32 vcc, 0, v35
                                        ; implicit-def: $vgpr3
	s_and_saveexec_b64 s[28:29], vcc
	s_xor_b64 s[28:29], exec, s[28:29]
; %bb.13576:                            ;   in Loop: Header=BB4_12002 Depth=3
	v_cmp_lt_u64_e32 vcc, s[88:89], v[1:2]
	v_add_u32_e32 v3, 15, v53
	v_cndmask_b32_e64 v5, 0, 1, vcc
	v_lshrrev_b64 v[1:2], v5, v[1:2]
	v_cndmask_b32_e32 v3, v35, v3, vcc
; %bb.13577:                            ;   in Loop: Header=BB4_12002 Depth=3
	s_andn2_saveexec_b64 s[28:29], s[28:29]
; %bb.13578:                            ;   in Loop: Header=BB4_12002 Depth=3
	v_bfe_u32 v3, v1, 23, 1
; %bb.13579:                            ;   in Loop: Header=BB4_12002 Depth=3
	s_or_b64 exec, exec, s[28:29]
	v_lshrrev_b64 v[1:2], 21, v[1:2]
	v_cmp_gt_i32_e32 vcc, 32, v3
	v_cndmask_b32_e32 v2, 0, v2, vcc
	v_cndmask_b32_e32 v1, 3, v1, vcc
	v_cmp_eq_u64_e64 s[28:29], 0, v[1:2]
	v_min_i32_e32 v2, 31, v3
	v_lshlrev_b32_e32 v2, 2, v2
	v_cmp_eq_u32_e32 vcc, 0, v3
	v_and_b32_e32 v2, 0xfc, v2
	v_and_or_b32 v1, v1, 3, v2
	s_and_b64 s[28:29], vcc, s[28:29]
	v_cndmask_b32_e64 v1, v1, 0, s[28:29]
	v_or_b32_e32 v35, v1, v39
.LBB4_13580:                            ;   in Loop: Header=BB4_12002 Depth=3
	s_or_b64 exec, exec, s[36:37]
                                        ; implicit-def: $vgpr39
.LBB4_13581:                            ;   in Loop: Header=BB4_12002 Depth=3
	s_andn2_saveexec_b64 s[28:29], s[34:35]
; %bb.13582:                            ;   in Loop: Header=BB4_12002 Depth=3
	v_or_b32_e32 v35, 0x7b, v39
; %bb.13583:                            ;   in Loop: Header=BB4_12002 Depth=3
	s_or_b64 exec, exec, s[28:29]
                                        ; implicit-def: $vgpr3
                                        ; implicit-def: $vgpr1_vgpr2
.LBB4_13584:                            ;   in Loop: Header=BB4_12002 Depth=3
	s_andn2_saveexec_b64 s[28:29], s[30:31]
	s_cbranch_execz .LBB4_13590
; %bb.13585:                            ;   in Loop: Header=BB4_12002 Depth=3
	v_cmp_ne_u64_e32 vcc, 0, v[1:2]
                                        ; implicit-def: $vgpr35
	s_and_saveexec_b64 s[30:31], vcc
	s_xor_b64 vcc, exec, s[30:31]
; %bb.13586:                            ;   in Loop: Header=BB4_12002 Depth=3
	v_or_b32_sdwa v35, v3, s47 dst_sel:DWORD dst_unused:UNUSED_PAD src0_sel:BYTE_3 src1_sel:DWORD
                                        ; implicit-def: $vgpr3
; %bb.13587:                            ;   in Loop: Header=BB4_12002 Depth=3
	s_andn2_saveexec_b64 s[30:31], vcc
; %bb.13588:                            ;   in Loop: Header=BB4_12002 Depth=3
	v_cmp_lt_i32_e32 vcc, -1, v3
	v_bfrev_b32_e32 v1, 0.5
	v_cndmask_b32_e32 v35, v1, v52, vcc
; %bb.13589:                            ;   in Loop: Header=BB4_12002 Depth=3
	s_or_b64 exec, exec, s[30:31]
.LBB4_13590:                            ;   in Loop: Header=BB4_12002 Depth=3
	s_or_b64 exec, exec, s[28:29]
	v_cmp_lt_u32_e32 vcc, s57, v0
	v_mov_b32_e32 v2, 0
	v_mov_b32_e32 v3, 0
	s_and_saveexec_b64 s[28:29], vcc
	s_cbranch_execz .LBB4_13598
; %bb.13591:                            ;   in Loop: Header=BB4_12002 Depth=3
	v_lshrrev_b32_e32 v1, 24, v0
	v_cmp_ne_u32_e32 vcc, s96, v1
	v_bfrev_b32_e32 v3, 1
	s_and_saveexec_b64 s[30:31], vcc
	s_cbranch_execz .LBB4_13597
; %bb.13592:                            ;   in Loop: Header=BB4_12002 Depth=3
	v_and_b32_e32 v3, 0x7c000000, v0
	v_bfe_u32 v39, v0, 24, 2
	v_cmp_ne_u32_e32 vcc, s45, v3
                                        ; implicit-def: $vgpr3
	s_and_saveexec_b64 s[34:35], vcc
	s_xor_b64 s[34:35], exec, s[34:35]
	s_cbranch_execz .LBB4_13594
; %bb.13593:                            ;   in Loop: Header=BB4_12002 Depth=3
	v_ffbh_u32_e32 v5, v39
	v_min_u32_e32 v28, 32, v5
	v_subrev_u32_e32 v5, 29, v28
	v_bfe_u32 v3, v0, 26, 5
	v_lshlrev_b64 v[5:6], v5, v[1:2]
	v_sub_u32_e32 v1, 30, v28
	v_cmp_eq_u32_e32 vcc, 0, v3
	v_and_b32_e32 v5, 3, v5
	v_cndmask_b32_e32 v1, v3, v1, vcc
	v_and_b32_e32 v0, 0x80000000, v0
	v_cndmask_b32_e32 v3, v39, v5, vcc
	v_lshl_add_u32 v0, v1, 23, v0
	v_lshl_or_b32 v0, v3, 21, v0
	v_add_u32_e32 v3, 0x38000000, v0
                                        ; implicit-def: $vgpr39
                                        ; implicit-def: $vgpr0_vgpr1
.LBB4_13594:                            ;   in Loop: Header=BB4_12002 Depth=3
	s_andn2_saveexec_b64 s[34:35], s[34:35]
; %bb.13595:                            ;   in Loop: Header=BB4_12002 Depth=3
	v_cmp_lt_i32_e32 vcc, -1, v0
	v_mov_b32_e32 v0, 0xff800000
	v_mov_b32_e32 v1, 0x7f800000
	v_cndmask_b32_e32 v0, v0, v1, vcc
	v_cmp_eq_u32_e32 vcc, 0, v39
	v_mov_b32_e32 v1, 0x7f800001
	v_cndmask_b32_e32 v3, v1, v0, vcc
; %bb.13596:                            ;   in Loop: Header=BB4_12002 Depth=3
	s_or_b64 exec, exec, s[34:35]
.LBB4_13597:                            ;   in Loop: Header=BB4_12002 Depth=3
	s_or_b64 exec, exec, s[30:31]
.LBB4_13598:                            ;   in Loop: Header=BB4_12002 Depth=3
	s_or_b64 exec, exec, s[28:29]
	v_cmp_lt_u32_e32 vcc, s57, v8
	s_and_saveexec_b64 s[28:29], vcc
	s_cbranch_execz .LBB4_13606
; %bb.13599:                            ;   in Loop: Header=BB4_12002 Depth=3
	v_lshrrev_b32_e32 v0, 24, v8
	v_cmp_ne_u32_e32 vcc, s96, v0
	v_bfrev_b32_e32 v2, 1
	s_and_saveexec_b64 s[30:31], vcc
	s_cbranch_execz .LBB4_13605
; %bb.13600:                            ;   in Loop: Header=BB4_12002 Depth=3
	v_and_b32_e32 v2, 0x7c000000, v8
	v_bfe_u32 v1, v8, 24, 2
	v_cmp_ne_u32_e32 vcc, s45, v2
                                        ; implicit-def: $vgpr2
	s_and_saveexec_b64 s[34:35], vcc
	s_xor_b64 s[34:35], exec, s[34:35]
	s_cbranch_execz .LBB4_13602
; %bb.13601:                            ;   in Loop: Header=BB4_12002 Depth=3
	v_ffbh_u32_e32 v5, v1
	v_min_u32_e32 v28, 32, v5
	v_subrev_u32_e32 v5, 29, v28
	v_bfe_u32 v2, v8, 26, 5
	v_lshlrev_b64 v[5:6], v5, v[0:1]
	v_sub_u32_e32 v0, 30, v28
	v_cmp_eq_u32_e32 vcc, 0, v2
	v_and_b32_e32 v5, 3, v5
	v_cndmask_b32_e32 v0, v2, v0, vcc
	v_and_b32_e32 v2, 0x80000000, v8
	v_cndmask_b32_e32 v1, v1, v5, vcc
	v_lshl_add_u32 v0, v0, 23, v2
	v_lshl_or_b32 v0, v1, 21, v0
	v_add_u32_e32 v2, 0x38000000, v0
                                        ; implicit-def: $vgpr1
.LBB4_13602:                            ;   in Loop: Header=BB4_12002 Depth=3
	s_andn2_saveexec_b64 s[34:35], s[34:35]
; %bb.13603:                            ;   in Loop: Header=BB4_12002 Depth=3
	v_cmp_lt_i32_e32 vcc, -1, v8
	v_mov_b32_e32 v0, 0xff800000
	v_mov_b32_e32 v2, 0x7f800000
	v_cndmask_b32_e32 v0, v0, v2, vcc
	v_cmp_eq_u32_e32 vcc, 0, v1
	v_mov_b32_e32 v1, 0x7f800001
	v_cndmask_b32_e32 v2, v1, v0, vcc
; %bb.13604:                            ;   in Loop: Header=BB4_12002 Depth=3
	s_or_b64 exec, exec, s[34:35]
.LBB4_13605:                            ;   in Loop: Header=BB4_12002 Depth=3
	s_or_b64 exec, exec, s[30:31]
.LBB4_13606:                            ;   in Loop: Header=BB4_12002 Depth=3
	s_or_b64 exec, exec, s[28:29]
	v_add_f32_e32 v2, v3, v2
	v_and_b32_e32 v5, 0x7f800000, v2
	v_mov_b32_e32 v6, v17
	v_cmp_ne_u64_e32 vcc, s[76:77], v[5:6]
	v_and_b32_e32 v0, 0x7fffff, v2
	v_mov_b32_e32 v1, v17
                                        ; implicit-def: $vgpr39
	s_and_saveexec_b64 s[28:29], vcc
	s_xor_b64 s[30:31], exec, s[28:29]
	s_cbranch_execz .LBB4_13620
; %bb.13607:                            ;   in Loop: Header=BB4_12002 Depth=3
	v_and_b32_e32 v5, 0x7fffffff, v2
	v_mov_b32_e32 v6, v17
	v_cmp_gt_u64_e32 vcc, s[78:79], v[5:6]
	v_and_b32_sdwa v3, v2, s96 dst_sel:DWORD dst_unused:UNUSED_PAD src0_sel:BYTE_3 src1_sel:DWORD
                                        ; implicit-def: $vgpr39
	s_and_saveexec_b64 s[28:29], vcc
	s_xor_b64 s[34:35], exec, s[28:29]
	s_cbranch_execz .LBB4_13617
; %bb.13608:                            ;   in Loop: Header=BB4_12002 Depth=3
	v_mov_b32_e32 v39, 0
	v_cmp_ne_u32_e32 vcc, 0, v2
	s_and_saveexec_b64 s[36:37], vcc
	s_cbranch_execz .LBB4_13616
; %bb.13609:                            ;   in Loop: Header=BB4_12002 Depth=3
	v_bfe_u32 v39, v2, 23, 8
	v_cmp_gt_u32_e64 s[28:29], s46, v39
	v_sub_u32_e32 v2, 0x71, v39
	v_cmp_eq_u32_e32 vcc, 0, v39
	v_cndmask_b32_e64 v2, 0, v2, s[28:29]
	v_mov_b32_e32 v6, 0x70
	v_cndmask_b32_e32 v53, v2, v6, vcc
	v_or_b32_e32 v5, 0x800000, v0
	v_add_u32_e32 v2, 21, v53
	v_cndmask_b32_e32 v0, v5, v0, vcc
	v_lshlrev_b64 v[5:6], v2, -1
	v_add_u32_e32 v2, 20, v53
	v_bfi_b32 v5, v5, 0, v0
	v_lshlrev_b64 v[57:58], v2, 1
	v_lshrrev_b64 v[0:1], v53, v[0:1]
	v_bfi_b32 v6, v6, 0, 0
	v_cmp_eq_u64_e64 s[28:29], v[5:6], v[57:58]
	v_mov_b32_e32 v2, v1
	v_mov_b32_e32 v1, v0
	s_and_saveexec_b64 s[38:39], s[28:29]
; %bb.13610:                            ;   in Loop: Header=BB4_12002 Depth=3
	v_bfe_u32 v1, v0, 21, 1
	v_add_co_u32_e64 v1, s[28:29], v0, v1
	v_add_co_u32_e64 v1, s[28:29], -1, v1
; %bb.13611:                            ;   in Loop: Header=BB4_12002 Depth=3
	s_or_b64 exec, exec, s[38:39]
	v_add_u32_e32 v2, 0xffffff81, v39
	v_mov_b32_e32 v5, 0xffffff82
	v_cndmask_b32_e32 v2, v2, v5, vcc
	v_lshrrev_b32_e32 v5, 23, v0
	v_add3_u32 v53, v53, v2, v5
	v_add_u32_e32 v39, 14, v53
	v_and_b32_e32 v1, 0x1fffff, v1
	v_add_u32_e32 v0, v1, v0
	v_mov_b32_e32 v1, v17
	v_cmp_ne_u32_e32 vcc, 0, v39
                                        ; implicit-def: $vgpr2
	s_and_saveexec_b64 s[28:29], vcc
	s_xor_b64 s[28:29], exec, s[28:29]
; %bb.13612:                            ;   in Loop: Header=BB4_12002 Depth=3
	v_cmp_lt_u64_e32 vcc, s[88:89], v[0:1]
	v_add_u32_e32 v2, 15, v53
	v_cndmask_b32_e64 v5, 0, 1, vcc
	v_lshrrev_b64 v[0:1], v5, v[0:1]
	v_cndmask_b32_e32 v2, v39, v2, vcc
; %bb.13613:                            ;   in Loop: Header=BB4_12002 Depth=3
	s_andn2_saveexec_b64 s[28:29], s[28:29]
; %bb.13614:                            ;   in Loop: Header=BB4_12002 Depth=3
	v_bfe_u32 v2, v0, 23, 1
; %bb.13615:                            ;   in Loop: Header=BB4_12002 Depth=3
	s_or_b64 exec, exec, s[28:29]
	v_lshrrev_b64 v[0:1], 21, v[0:1]
	v_cmp_gt_i32_e32 vcc, 32, v2
	v_cndmask_b32_e32 v1, 0, v1, vcc
	v_cndmask_b32_e32 v0, 3, v0, vcc
	v_cmp_eq_u64_e64 s[28:29], 0, v[0:1]
	v_min_i32_e32 v1, 31, v2
	v_lshlrev_b32_e32 v1, 2, v1
	v_cmp_eq_u32_e32 vcc, 0, v2
	v_and_b32_e32 v1, 0xfc, v1
	v_and_or_b32 v0, v0, 3, v1
	s_and_b64 s[28:29], vcc, s[28:29]
	v_cndmask_b32_e64 v0, v0, 0, s[28:29]
	v_or_b32_e32 v39, v0, v3
.LBB4_13616:                            ;   in Loop: Header=BB4_12002 Depth=3
	s_or_b64 exec, exec, s[36:37]
                                        ; implicit-def: $vgpr3
.LBB4_13617:                            ;   in Loop: Header=BB4_12002 Depth=3
	s_andn2_saveexec_b64 s[28:29], s[34:35]
; %bb.13618:                            ;   in Loop: Header=BB4_12002 Depth=3
	v_or_b32_e32 v39, 0x7b, v3
; %bb.13619:                            ;   in Loop: Header=BB4_12002 Depth=3
	s_or_b64 exec, exec, s[28:29]
                                        ; implicit-def: $vgpr2
                                        ; implicit-def: $vgpr0_vgpr1
.LBB4_13620:                            ;   in Loop: Header=BB4_12002 Depth=3
	s_andn2_saveexec_b64 s[28:29], s[30:31]
	s_cbranch_execz .LBB4_13626
; %bb.13621:                            ;   in Loop: Header=BB4_12002 Depth=3
	v_cmp_ne_u64_e32 vcc, 0, v[0:1]
                                        ; implicit-def: $vgpr39
	s_and_saveexec_b64 s[30:31], vcc
	s_xor_b64 vcc, exec, s[30:31]
; %bb.13622:                            ;   in Loop: Header=BB4_12002 Depth=3
	v_or_b32_sdwa v39, v2, s47 dst_sel:DWORD dst_unused:UNUSED_PAD src0_sel:BYTE_3 src1_sel:DWORD
                                        ; implicit-def: $vgpr2
; %bb.13623:                            ;   in Loop: Header=BB4_12002 Depth=3
	s_andn2_saveexec_b64 s[30:31], vcc
; %bb.13624:                            ;   in Loop: Header=BB4_12002 Depth=3
	v_cmp_lt_i32_e32 vcc, -1, v2
	v_bfrev_b32_e32 v0, 0.5
	v_cndmask_b32_e32 v39, v0, v52, vcc
; %bb.13625:                            ;   in Loop: Header=BB4_12002 Depth=3
	s_or_b64 exec, exec, s[30:31]
.LBB4_13626:                            ;   in Loop: Header=BB4_12002 Depth=3
	s_or_b64 exec, exec, s[28:29]
	v_lshl_or_b32 v30, v30, 8, v21
	v_lshlrev_b32_e32 v0, 16, v34
	v_lshlrev_b32_e32 v1, 24, v38
	v_or3_b32 v0, v0, v1, v30
	v_mov_b32_e32 v1, v17
	v_cmp_ne_u32_e32 vcc, 0, v21
	v_mov_b32_e32 v2, 0
	v_mov_b32_e32 v3, 0
	s_and_saveexec_b64 s[30:31], vcc
	s_cbranch_execz .LBB4_13634
; %bb.13627:                            ;   in Loop: Header=BB4_12002 Depth=3
	v_cmp_ne_u32_e32 vcc, s96, v21
	v_bfrev_b32_e32 v3, 1
	s_and_saveexec_b64 s[34:35], vcc
	s_cbranch_execz .LBB4_13633
; %bb.13628:                            ;   in Loop: Header=BB4_12002 Depth=3
	v_and_b32_e32 v3, 0x7c, v21
	v_and_b32_e32 v34, 3, v21
	v_cmp_ne_u32_e32 vcc, s85, v3
                                        ; implicit-def: $vgpr3
	s_and_saveexec_b64 s[28:29], vcc
	s_xor_b64 s[28:29], exec, s[28:29]
	s_cbranch_execz .LBB4_13630
; %bb.13629:                            ;   in Loop: Header=BB4_12002 Depth=3
	v_ffbh_u32_e32 v5, v34
	v_min_u32_e32 v28, 32, v5
	v_subrev_u32_e32 v5, 29, v28
	v_lshlrev_b64 v[5:6], v5, v[0:1]
	v_bfe_u32 v3, v21, 2, 5
	v_sub_u32_e32 v1, 30, v28
	v_and_b32_e32 v5, 3, v5
	v_cmp_eq_u32_e32 vcc, 0, v3
	v_cndmask_b32_e32 v1, v3, v1, vcc
	v_cndmask_b32_e32 v3, v34, v5, vcc
	v_lshlrev_b32_e32 v5, 24, v21
	v_and_b32_e32 v5, 0x80000000, v5
	v_lshl_add_u32 v1, v1, 23, v5
	v_lshl_or_b32 v1, v3, 21, v1
	v_add_u32_e32 v3, 0x38000000, v1
                                        ; implicit-def: $vgpr34
                                        ; implicit-def: $vgpr21
.LBB4_13630:                            ;   in Loop: Header=BB4_12002 Depth=3
	s_andn2_saveexec_b64 s[36:37], s[28:29]
; %bb.13631:                            ;   in Loop: Header=BB4_12002 Depth=3
	v_and_b32_e32 v1, 0x80, v21
	v_cmp_eq_u32_e64 s[28:29], 0, v1
	v_mov_b32_e32 v1, 0xff800000
	v_mov_b32_e32 v3, 0x7f800000
	v_cmp_eq_u32_e32 vcc, 0, v34
	v_cndmask_b32_e64 v1, v1, v3, s[28:29]
	v_mov_b32_e32 v3, 0x7f800001
	v_cndmask_b32_e32 v3, v3, v1, vcc
; %bb.13632:                            ;   in Loop: Header=BB4_12002 Depth=3
	s_or_b64 exec, exec, s[36:37]
.LBB4_13633:                            ;   in Loop: Header=BB4_12002 Depth=3
	s_or_b64 exec, exec, s[34:35]
.LBB4_13634:                            ;   in Loop: Header=BB4_12002 Depth=3
	s_or_b64 exec, exec, s[30:31]
	v_cmp_ne_u16_sdwa vcc, v9, v17 src0_sel:BYTE_0 src1_sel:DWORD
	s_and_saveexec_b64 s[28:29], vcc
	s_cbranch_execz .LBB4_13642
; %bb.13635:                            ;   in Loop: Header=BB4_12002 Depth=3
	v_cmp_ne_u16_sdwa vcc, v9, s96 src0_sel:BYTE_0 src1_sel:DWORD
	v_bfrev_b32_e32 v2, 1
	s_and_saveexec_b64 s[30:31], vcc
	s_cbranch_execz .LBB4_13641
; %bb.13636:                            ;   in Loop: Header=BB4_12002 Depth=3
	v_and_b32_e32 v2, 0x7c, v9
	v_and_b32_e32 v1, 3, v9
	v_cmp_ne_u32_e32 vcc, s85, v2
                                        ; implicit-def: $vgpr2
	s_and_saveexec_b64 s[34:35], vcc
	s_xor_b64 s[34:35], exec, s[34:35]
	s_cbranch_execz .LBB4_13638
; %bb.13637:                            ;   in Loop: Header=BB4_12002 Depth=3
	v_ffbh_u32_e32 v21, v1
	v_min_u32_e32 v21, 32, v21
	v_mov_b32_e32 v5, v9
	v_mov_b32_e32 v6, v17
	v_subrev_u32_e32 v28, 29, v21
	v_lshlrev_b64 v[5:6], v28, v[5:6]
	v_bfe_u32 v2, v9, 2, 5
	v_and_b32_e32 v5, 3, v5
	v_cmp_eq_u32_e32 vcc, 0, v2
	v_sub_u32_e32 v6, 30, v21
	v_cndmask_b32_e32 v1, v1, v5, vcc
	v_lshlrev_b32_e32 v5, 24, v9
	v_cndmask_b32_e32 v2, v2, v6, vcc
	v_and_b32_e32 v5, 0x80000000, v5
	v_lshl_add_u32 v2, v2, 23, v5
	v_lshl_or_b32 v1, v1, 21, v2
	v_add_u32_e32 v2, 0x38000000, v1
                                        ; implicit-def: $vgpr1
.LBB4_13638:                            ;   in Loop: Header=BB4_12002 Depth=3
	s_andn2_saveexec_b64 s[34:35], s[34:35]
; %bb.13639:                            ;   in Loop: Header=BB4_12002 Depth=3
	v_mov_b32_e32 v2, -1
	v_cmp_gt_i16_sdwa vcc, sext(v9), v2 src0_sel:BYTE_0 src1_sel:DWORD
	v_mov_b32_e32 v2, 0xff800000
	v_mov_b32_e32 v5, 0x7f800000
	v_cndmask_b32_e32 v2, v2, v5, vcc
	v_cmp_eq_u32_e32 vcc, 0, v1
	v_mov_b32_e32 v1, 0x7f800001
	v_cndmask_b32_e32 v2, v1, v2, vcc
; %bb.13640:                            ;   in Loop: Header=BB4_12002 Depth=3
	s_or_b64 exec, exec, s[34:35]
.LBB4_13641:                            ;   in Loop: Header=BB4_12002 Depth=3
	s_or_b64 exec, exec, s[30:31]
.LBB4_13642:                            ;   in Loop: Header=BB4_12002 Depth=3
	s_or_b64 exec, exec, s[28:29]
	v_add_f32_e32 v3, v3, v2
	v_and_b32_e32 v5, 0x7f800000, v3
	v_mov_b32_e32 v6, v17
	v_cmp_ne_u64_e32 vcc, s[76:77], v[5:6]
	v_and_b32_e32 v1, 0x7fffff, v3
	v_mov_b32_e32 v2, v17
                                        ; implicit-def: $vgpr21
	s_and_saveexec_b64 s[28:29], vcc
	s_xor_b64 s[30:31], exec, s[28:29]
	s_cbranch_execz .LBB4_13656
; %bb.13643:                            ;   in Loop: Header=BB4_12002 Depth=3
	v_and_b32_e32 v5, 0x7fffffff, v3
	v_mov_b32_e32 v6, v17
	v_cmp_gt_u64_e32 vcc, s[78:79], v[5:6]
	v_and_b32_sdwa v34, v3, s96 dst_sel:DWORD dst_unused:UNUSED_PAD src0_sel:BYTE_3 src1_sel:DWORD
                                        ; implicit-def: $vgpr21
	s_and_saveexec_b64 s[28:29], vcc
	s_xor_b64 s[34:35], exec, s[28:29]
	s_cbranch_execz .LBB4_13653
; %bb.13644:                            ;   in Loop: Header=BB4_12002 Depth=3
	v_mov_b32_e32 v21, 0
	v_cmp_ne_u32_e32 vcc, 0, v3
	s_and_saveexec_b64 s[36:37], vcc
	s_cbranch_execz .LBB4_13652
; %bb.13645:                            ;   in Loop: Header=BB4_12002 Depth=3
	v_bfe_u32 v21, v3, 23, 8
	v_cmp_gt_u32_e64 s[28:29], s46, v21
	v_sub_u32_e32 v3, 0x71, v21
	v_cmp_eq_u32_e32 vcc, 0, v21
	v_cndmask_b32_e64 v3, 0, v3, s[28:29]
	v_mov_b32_e32 v6, 0x70
	v_cndmask_b32_e32 v38, v3, v6, vcc
	v_or_b32_e32 v5, 0x800000, v1
	v_add_u32_e32 v3, 21, v38
	v_cndmask_b32_e32 v1, v5, v1, vcc
	v_lshlrev_b64 v[5:6], v3, -1
	v_add_u32_e32 v3, 20, v38
	v_bfi_b32 v5, v5, 0, v1
	v_lshlrev_b64 v[57:58], v3, 1
	v_lshrrev_b64 v[1:2], v38, v[1:2]
	v_bfi_b32 v6, v6, 0, 0
	v_cmp_eq_u64_e64 s[28:29], v[5:6], v[57:58]
	v_mov_b32_e32 v3, v2
	v_mov_b32_e32 v2, v1
	s_and_saveexec_b64 s[38:39], s[28:29]
; %bb.13646:                            ;   in Loop: Header=BB4_12002 Depth=3
	v_bfe_u32 v2, v1, 21, 1
	v_add_co_u32_e64 v2, s[28:29], v1, v2
	v_add_co_u32_e64 v2, s[28:29], -1, v2
; %bb.13647:                            ;   in Loop: Header=BB4_12002 Depth=3
	s_or_b64 exec, exec, s[38:39]
	v_add_u32_e32 v3, 0xffffff81, v21
	v_mov_b32_e32 v5, 0xffffff82
	v_cndmask_b32_e32 v3, v3, v5, vcc
	v_lshrrev_b32_e32 v5, 23, v1
	v_add3_u32 v38, v38, v3, v5
	v_add_u32_e32 v21, 14, v38
	v_and_b32_e32 v2, 0x1fffff, v2
	v_add_u32_e32 v1, v2, v1
	v_mov_b32_e32 v2, v17
	v_cmp_ne_u32_e32 vcc, 0, v21
                                        ; implicit-def: $vgpr3
	s_and_saveexec_b64 s[28:29], vcc
	s_xor_b64 s[28:29], exec, s[28:29]
; %bb.13648:                            ;   in Loop: Header=BB4_12002 Depth=3
	v_cmp_lt_u64_e32 vcc, s[88:89], v[1:2]
	v_add_u32_e32 v3, 15, v38
	v_cndmask_b32_e64 v5, 0, 1, vcc
	v_lshrrev_b64 v[1:2], v5, v[1:2]
	v_cndmask_b32_e32 v3, v21, v3, vcc
; %bb.13649:                            ;   in Loop: Header=BB4_12002 Depth=3
	s_andn2_saveexec_b64 s[28:29], s[28:29]
; %bb.13650:                            ;   in Loop: Header=BB4_12002 Depth=3
	v_bfe_u32 v3, v1, 23, 1
; %bb.13651:                            ;   in Loop: Header=BB4_12002 Depth=3
	s_or_b64 exec, exec, s[28:29]
	v_lshrrev_b64 v[1:2], 21, v[1:2]
	v_cmp_gt_i32_e32 vcc, 32, v3
	v_cndmask_b32_e32 v2, 0, v2, vcc
	v_cndmask_b32_e32 v1, 3, v1, vcc
	v_cmp_eq_u64_e64 s[28:29], 0, v[1:2]
	v_min_i32_e32 v2, 31, v3
	v_lshlrev_b32_e32 v2, 2, v2
	v_cmp_eq_u32_e32 vcc, 0, v3
	v_and_b32_e32 v2, 0xfc, v2
	v_and_or_b32 v1, v1, 3, v2
	s_and_b64 s[28:29], vcc, s[28:29]
	v_cndmask_b32_e64 v1, v1, 0, s[28:29]
	v_or_b32_e32 v21, v1, v34
.LBB4_13652:                            ;   in Loop: Header=BB4_12002 Depth=3
	s_or_b64 exec, exec, s[36:37]
                                        ; implicit-def: $vgpr34
.LBB4_13653:                            ;   in Loop: Header=BB4_12002 Depth=3
	s_andn2_saveexec_b64 s[28:29], s[34:35]
; %bb.13654:                            ;   in Loop: Header=BB4_12002 Depth=3
	v_or_b32_e32 v21, 0x7b, v34
; %bb.13655:                            ;   in Loop: Header=BB4_12002 Depth=3
	s_or_b64 exec, exec, s[28:29]
                                        ; implicit-def: $vgpr3
                                        ; implicit-def: $vgpr1_vgpr2
.LBB4_13656:                            ;   in Loop: Header=BB4_12002 Depth=3
	s_andn2_saveexec_b64 s[28:29], s[30:31]
	s_cbranch_execz .LBB4_13662
; %bb.13657:                            ;   in Loop: Header=BB4_12002 Depth=3
	v_cmp_ne_u64_e32 vcc, 0, v[1:2]
                                        ; implicit-def: $vgpr21
	s_and_saveexec_b64 s[30:31], vcc
	s_xor_b64 vcc, exec, s[30:31]
; %bb.13658:                            ;   in Loop: Header=BB4_12002 Depth=3
	v_or_b32_sdwa v21, v3, s47 dst_sel:DWORD dst_unused:UNUSED_PAD src0_sel:BYTE_3 src1_sel:DWORD
                                        ; implicit-def: $vgpr3
; %bb.13659:                            ;   in Loop: Header=BB4_12002 Depth=3
	s_andn2_saveexec_b64 s[30:31], vcc
; %bb.13660:                            ;   in Loop: Header=BB4_12002 Depth=3
	v_cmp_lt_i32_e32 vcc, -1, v3
	v_bfrev_b32_e32 v1, 0.5
	v_cndmask_b32_e32 v21, v1, v52, vcc
; %bb.13661:                            ;   in Loop: Header=BB4_12002 Depth=3
	s_or_b64 exec, exec, s[30:31]
.LBB4_13662:                            ;   in Loop: Header=BB4_12002 Depth=3
	s_or_b64 exec, exec, s[28:29]
	v_lshrrev_b16_e32 v1, 8, v30
	v_cmp_ne_u16_e32 vcc, 0, v1
	v_mov_b32_e32 v3, 0
	v_mov_b32_e32 v34, 0
	s_and_saveexec_b64 s[28:29], vcc
	s_cbranch_execz .LBB4_13670
; %bb.13663:                            ;   in Loop: Header=BB4_12002 Depth=3
	v_cmp_ne_u16_e32 vcc, s96, v1
	v_bfrev_b32_e32 v34, 1
	s_and_saveexec_b64 s[30:31], vcc
	s_cbranch_execz .LBB4_13669
; %bb.13664:                            ;   in Loop: Header=BB4_12002 Depth=3
	v_and_b32_e32 v2, 0x7c, v1
	v_and_b32_e32 v38, 3, v1
	v_cmp_ne_u32_e32 vcc, s85, v2
                                        ; implicit-def: $vgpr34
	s_and_saveexec_b64 s[34:35], vcc
	s_xor_b64 s[34:35], exec, s[34:35]
	s_cbranch_execz .LBB4_13666
; %bb.13665:                            ;   in Loop: Header=BB4_12002 Depth=3
	v_ffbh_u32_e32 v6, v38
	v_min_u32_e32 v6, 32, v6
	v_mov_b32_e32 v2, v17
	v_subrev_u32_e32 v28, 29, v6
	v_bfe_u32 v5, v1, 2, 5
	v_lshlrev_b64 v[1:2], v28, v[1:2]
	v_sub_u32_e32 v2, 30, v6
	v_cmp_eq_u32_e32 vcc, 0, v5
	v_cndmask_b32_e32 v2, v5, v2, vcc
	v_lshlrev_b32_e32 v5, 16, v30
	v_and_b32_e32 v1, 3, v1
	v_and_b32_e32 v5, 0x80000000, v5
	v_cndmask_b32_e32 v1, v38, v1, vcc
	v_lshl_add_u32 v2, v2, 23, v5
	v_lshl_or_b32 v1, v1, 21, v2
	v_add_u32_e32 v34, 0x38000000, v1
                                        ; implicit-def: $vgpr38
                                        ; implicit-def: $vgpr30
.LBB4_13666:                            ;   in Loop: Header=BB4_12002 Depth=3
	s_andn2_saveexec_b64 s[34:35], s[34:35]
; %bb.13667:                            ;   in Loop: Header=BB4_12002 Depth=3
	v_cmp_lt_i16_e32 vcc, -1, v30
	v_mov_b32_e32 v1, 0xff800000
	v_mov_b32_e32 v2, 0x7f800000
	v_cndmask_b32_e32 v1, v1, v2, vcc
	v_cmp_eq_u32_e32 vcc, 0, v38
	v_mov_b32_e32 v2, 0x7f800001
	v_cndmask_b32_e32 v34, v2, v1, vcc
; %bb.13668:                            ;   in Loop: Header=BB4_12002 Depth=3
	s_or_b64 exec, exec, s[34:35]
.LBB4_13669:                            ;   in Loop: Header=BB4_12002 Depth=3
	s_or_b64 exec, exec, s[30:31]
.LBB4_13670:                            ;   in Loop: Header=BB4_12002 Depth=3
	s_or_b64 exec, exec, s[28:29]
	v_lshrrev_b16_e32 v1, 8, v9
	v_cmp_ne_u16_e32 vcc, 0, v1
	s_and_saveexec_b64 s[28:29], vcc
	s_cbranch_execz .LBB4_13678
; %bb.13671:                            ;   in Loop: Header=BB4_12002 Depth=3
	v_cmp_ne_u16_e32 vcc, s96, v1
	v_bfrev_b32_e32 v3, 1
	s_and_saveexec_b64 s[30:31], vcc
	s_cbranch_execz .LBB4_13677
; %bb.13672:                            ;   in Loop: Header=BB4_12002 Depth=3
	v_and_b32_e32 v2, 0x7c, v1
	v_and_b32_e32 v30, 3, v1
	v_cmp_ne_u32_e32 vcc, s85, v2
                                        ; implicit-def: $vgpr3
	s_and_saveexec_b64 s[34:35], vcc
	s_xor_b64 s[34:35], exec, s[34:35]
	s_cbranch_execz .LBB4_13674
; %bb.13673:                            ;   in Loop: Header=BB4_12002 Depth=3
	v_ffbh_u32_e32 v5, v30
	v_min_u32_e32 v5, 32, v5
	v_mov_b32_e32 v2, v17
	v_subrev_u32_e32 v6, 29, v5
	v_bfe_u32 v3, v1, 2, 5
	v_lshlrev_b64 v[1:2], v6, v[1:2]
	v_sub_u32_e32 v2, 30, v5
	v_cmp_eq_u32_e32 vcc, 0, v3
	v_cndmask_b32_e32 v2, v3, v2, vcc
	v_lshlrev_b32_e32 v3, 16, v9
	v_and_b32_e32 v1, 3, v1
	v_and_b32_e32 v3, 0x80000000, v3
	v_cndmask_b32_e32 v1, v30, v1, vcc
	v_lshl_add_u32 v2, v2, 23, v3
	v_lshl_or_b32 v1, v1, 21, v2
	v_add_u32_e32 v3, 0x38000000, v1
                                        ; implicit-def: $vgpr30
.LBB4_13674:                            ;   in Loop: Header=BB4_12002 Depth=3
	s_andn2_saveexec_b64 s[34:35], s[34:35]
; %bb.13675:                            ;   in Loop: Header=BB4_12002 Depth=3
	v_cmp_lt_i16_e32 vcc, -1, v9
	v_mov_b32_e32 v1, 0xff800000
	v_mov_b32_e32 v2, 0x7f800000
	v_cndmask_b32_e32 v1, v1, v2, vcc
	v_cmp_eq_u32_e32 vcc, 0, v30
	v_mov_b32_e32 v2, 0x7f800001
	v_cndmask_b32_e32 v3, v2, v1, vcc
; %bb.13676:                            ;   in Loop: Header=BB4_12002 Depth=3
	s_or_b64 exec, exec, s[34:35]
.LBB4_13677:                            ;   in Loop: Header=BB4_12002 Depth=3
	s_or_b64 exec, exec, s[30:31]
.LBB4_13678:                            ;   in Loop: Header=BB4_12002 Depth=3
	s_or_b64 exec, exec, s[28:29]
	v_add_f32_e32 v3, v34, v3
	v_and_b32_e32 v5, 0x7f800000, v3
	v_mov_b32_e32 v6, v17
	v_cmp_ne_u64_e32 vcc, s[76:77], v[5:6]
	v_and_b32_e32 v1, 0x7fffff, v3
	v_mov_b32_e32 v2, v17
                                        ; implicit-def: $vgpr30
	s_and_saveexec_b64 s[28:29], vcc
	s_xor_b64 s[30:31], exec, s[28:29]
	s_cbranch_execz .LBB4_13692
; %bb.13679:                            ;   in Loop: Header=BB4_12002 Depth=3
	v_and_b32_e32 v5, 0x7fffffff, v3
	v_mov_b32_e32 v6, v17
	v_cmp_gt_u64_e32 vcc, s[78:79], v[5:6]
	v_and_b32_sdwa v34, v3, s96 dst_sel:DWORD dst_unused:UNUSED_PAD src0_sel:BYTE_3 src1_sel:DWORD
                                        ; implicit-def: $vgpr30
	s_and_saveexec_b64 s[28:29], vcc
	s_xor_b64 s[34:35], exec, s[28:29]
	s_cbranch_execz .LBB4_13689
; %bb.13680:                            ;   in Loop: Header=BB4_12002 Depth=3
	v_mov_b32_e32 v30, 0
	v_cmp_ne_u32_e32 vcc, 0, v3
	s_and_saveexec_b64 s[36:37], vcc
	s_cbranch_execz .LBB4_13688
; %bb.13681:                            ;   in Loop: Header=BB4_12002 Depth=3
	v_bfe_u32 v30, v3, 23, 8
	v_cmp_gt_u32_e64 s[28:29], s46, v30
	v_sub_u32_e32 v3, 0x71, v30
	v_cmp_eq_u32_e32 vcc, 0, v30
	v_cndmask_b32_e64 v3, 0, v3, s[28:29]
	v_mov_b32_e32 v6, 0x70
	v_cndmask_b32_e32 v38, v3, v6, vcc
	v_or_b32_e32 v5, 0x800000, v1
	v_add_u32_e32 v3, 21, v38
	v_cndmask_b32_e32 v1, v5, v1, vcc
	v_lshlrev_b64 v[5:6], v3, -1
	v_add_u32_e32 v3, 20, v38
	v_bfi_b32 v5, v5, 0, v1
	v_lshlrev_b64 v[57:58], v3, 1
	v_lshrrev_b64 v[1:2], v38, v[1:2]
	v_bfi_b32 v6, v6, 0, 0
	v_cmp_eq_u64_e64 s[28:29], v[5:6], v[57:58]
	v_mov_b32_e32 v3, v2
	v_mov_b32_e32 v2, v1
	s_and_saveexec_b64 s[38:39], s[28:29]
; %bb.13682:                            ;   in Loop: Header=BB4_12002 Depth=3
	v_bfe_u32 v2, v1, 21, 1
	v_add_co_u32_e64 v2, s[28:29], v1, v2
	v_add_co_u32_e64 v2, s[28:29], -1, v2
; %bb.13683:                            ;   in Loop: Header=BB4_12002 Depth=3
	s_or_b64 exec, exec, s[38:39]
	v_add_u32_e32 v3, 0xffffff81, v30
	v_mov_b32_e32 v5, 0xffffff82
	v_cndmask_b32_e32 v3, v3, v5, vcc
	v_lshrrev_b32_e32 v5, 23, v1
	v_add3_u32 v38, v38, v3, v5
	v_add_u32_e32 v30, 14, v38
	v_and_b32_e32 v2, 0x1fffff, v2
	v_add_u32_e32 v1, v2, v1
	v_mov_b32_e32 v2, v17
	v_cmp_ne_u32_e32 vcc, 0, v30
                                        ; implicit-def: $vgpr3
	s_and_saveexec_b64 s[28:29], vcc
	s_xor_b64 s[28:29], exec, s[28:29]
; %bb.13684:                            ;   in Loop: Header=BB4_12002 Depth=3
	v_cmp_lt_u64_e32 vcc, s[88:89], v[1:2]
	v_add_u32_e32 v3, 15, v38
	v_cndmask_b32_e64 v5, 0, 1, vcc
	v_lshrrev_b64 v[1:2], v5, v[1:2]
	v_cndmask_b32_e32 v3, v30, v3, vcc
; %bb.13685:                            ;   in Loop: Header=BB4_12002 Depth=3
	s_andn2_saveexec_b64 s[28:29], s[28:29]
; %bb.13686:                            ;   in Loop: Header=BB4_12002 Depth=3
	v_bfe_u32 v3, v1, 23, 1
; %bb.13687:                            ;   in Loop: Header=BB4_12002 Depth=3
	s_or_b64 exec, exec, s[28:29]
	v_lshrrev_b64 v[1:2], 21, v[1:2]
	v_cmp_gt_i32_e32 vcc, 32, v3
	v_cndmask_b32_e32 v2, 0, v2, vcc
	v_cndmask_b32_e32 v1, 3, v1, vcc
	v_cmp_eq_u64_e64 s[28:29], 0, v[1:2]
	v_min_i32_e32 v2, 31, v3
	v_lshlrev_b32_e32 v2, 2, v2
	v_cmp_eq_u32_e32 vcc, 0, v3
	v_and_b32_e32 v2, 0xfc, v2
	v_and_or_b32 v1, v1, 3, v2
	s_and_b64 s[28:29], vcc, s[28:29]
	v_cndmask_b32_e64 v1, v1, 0, s[28:29]
	v_or_b32_e32 v30, v1, v34
.LBB4_13688:                            ;   in Loop: Header=BB4_12002 Depth=3
	s_or_b64 exec, exec, s[36:37]
                                        ; implicit-def: $vgpr34
.LBB4_13689:                            ;   in Loop: Header=BB4_12002 Depth=3
	s_andn2_saveexec_b64 s[28:29], s[34:35]
; %bb.13690:                            ;   in Loop: Header=BB4_12002 Depth=3
	v_or_b32_e32 v30, 0x7b, v34
; %bb.13691:                            ;   in Loop: Header=BB4_12002 Depth=3
	s_or_b64 exec, exec, s[28:29]
                                        ; implicit-def: $vgpr3
                                        ; implicit-def: $vgpr1_vgpr2
.LBB4_13692:                            ;   in Loop: Header=BB4_12002 Depth=3
	s_andn2_saveexec_b64 s[28:29], s[30:31]
	s_cbranch_execz .LBB4_13698
; %bb.13693:                            ;   in Loop: Header=BB4_12002 Depth=3
	v_cmp_ne_u64_e32 vcc, 0, v[1:2]
                                        ; implicit-def: $vgpr30
	s_and_saveexec_b64 s[30:31], vcc
	s_xor_b64 vcc, exec, s[30:31]
; %bb.13694:                            ;   in Loop: Header=BB4_12002 Depth=3
	v_or_b32_sdwa v30, v3, s47 dst_sel:DWORD dst_unused:UNUSED_PAD src0_sel:BYTE_3 src1_sel:DWORD
                                        ; implicit-def: $vgpr3
; %bb.13695:                            ;   in Loop: Header=BB4_12002 Depth=3
	s_andn2_saveexec_b64 s[30:31], vcc
; %bb.13696:                            ;   in Loop: Header=BB4_12002 Depth=3
	v_cmp_lt_i32_e32 vcc, -1, v3
	v_bfrev_b32_e32 v1, 0.5
	v_cndmask_b32_e32 v30, v1, v52, vcc
; %bb.13697:                            ;   in Loop: Header=BB4_12002 Depth=3
	s_or_b64 exec, exec, s[30:31]
.LBB4_13698:                            ;   in Loop: Header=BB4_12002 Depth=3
	s_or_b64 exec, exec, s[28:29]
	v_and_b32_sdwa v34, v0, s87 dst_sel:DWORD dst_unused:UNUSED_PAD src0_sel:WORD_1 src1_sel:DWORD
	v_lshrrev_b32_e32 v1, 16, v0
	v_cmp_ne_u16_e32 vcc, 0, v34
	v_mov_b32_e32 v2, 0
	v_mov_b32_e32 v3, 0
	s_and_saveexec_b64 s[28:29], vcc
	s_cbranch_execz .LBB4_13706
; %bb.13699:                            ;   in Loop: Header=BB4_12002 Depth=3
	v_cmp_ne_u16_e32 vcc, s96, v34
	v_bfrev_b32_e32 v3, 1
	s_and_saveexec_b64 s[30:31], vcc
	s_cbranch_execz .LBB4_13705
; %bb.13700:                            ;   in Loop: Header=BB4_12002 Depth=3
	v_and_b32_e32 v3, 0x7c0000, v0
	v_bfe_u32 v34, v0, 16, 2
	v_cmp_ne_u32_e32 vcc, s44, v3
                                        ; implicit-def: $vgpr3
	s_and_saveexec_b64 s[34:35], vcc
	s_xor_b64 s[34:35], exec, s[34:35]
	s_cbranch_execz .LBB4_13702
; %bb.13701:                            ;   in Loop: Header=BB4_12002 Depth=3
	v_ffbh_u32_e32 v5, v34
	v_min_u32_e32 v28, 32, v5
	v_subrev_u32_e32 v5, 29, v28
	v_lshlrev_b64 v[5:6], v5, v[1:2]
	v_bfe_u32 v3, v0, 18, 5
	v_sub_u32_e32 v1, 30, v28
	v_and_b32_e32 v5, 3, v5
	v_cmp_eq_u32_e32 vcc, 0, v3
	v_cndmask_b32_e32 v1, v3, v1, vcc
	v_cndmask_b32_e32 v3, v34, v5, vcc
	v_lshlrev_b32_e32 v5, 8, v0
	v_and_b32_e32 v5, 0x80000000, v5
	v_lshl_add_u32 v1, v1, 23, v5
	v_lshl_or_b32 v1, v3, 21, v1
	v_add_u32_e32 v3, 0x38000000, v1
                                        ; implicit-def: $vgpr34
                                        ; implicit-def: $vgpr1
.LBB4_13702:                            ;   in Loop: Header=BB4_12002 Depth=3
	s_andn2_saveexec_b64 s[34:35], s[34:35]
; %bb.13703:                            ;   in Loop: Header=BB4_12002 Depth=3
	v_mov_b32_e32 v3, -1
	v_cmp_gt_i16_sdwa vcc, sext(v1), v3 src0_sel:BYTE_0 src1_sel:DWORD
	v_mov_b32_e32 v1, 0xff800000
	v_mov_b32_e32 v3, 0x7f800000
	v_cndmask_b32_e32 v1, v1, v3, vcc
	v_cmp_eq_u32_e32 vcc, 0, v34
	v_mov_b32_e32 v3, 0x7f800001
	v_cndmask_b32_e32 v3, v3, v1, vcc
; %bb.13704:                            ;   in Loop: Header=BB4_12002 Depth=3
	s_or_b64 exec, exec, s[34:35]
.LBB4_13705:                            ;   in Loop: Header=BB4_12002 Depth=3
	s_or_b64 exec, exec, s[30:31]
.LBB4_13706:                            ;   in Loop: Header=BB4_12002 Depth=3
	s_or_b64 exec, exec, s[28:29]
	v_lshrrev_b32_e32 v1, 16, v9
	v_cmp_ne_u16_sdwa vcc, v1, v17 src0_sel:BYTE_0 src1_sel:DWORD
	s_and_saveexec_b64 s[28:29], vcc
	s_cbranch_execz .LBB4_13714
; %bb.13707:                            ;   in Loop: Header=BB4_12002 Depth=3
	v_cmp_ne_u16_sdwa vcc, v1, s96 src0_sel:BYTE_0 src1_sel:DWORD
	v_bfrev_b32_e32 v2, 1
	s_and_saveexec_b64 s[30:31], vcc
	s_cbranch_execz .LBB4_13713
; %bb.13708:                            ;   in Loop: Header=BB4_12002 Depth=3
	v_and_b32_e32 v2, 0x7c0000, v9
	v_bfe_u32 v34, v9, 16, 2
	v_cmp_ne_u32_e32 vcc, s44, v2
                                        ; implicit-def: $vgpr2
	s_and_saveexec_b64 s[34:35], vcc
	s_xor_b64 s[34:35], exec, s[34:35]
	s_cbranch_execz .LBB4_13710
; %bb.13709:                            ;   in Loop: Header=BB4_12002 Depth=3
	v_ffbh_u32_e32 v2, v34
	v_min_u32_e32 v6, 32, v2
	v_subrev_u32_e32 v2, 29, v6
	v_bfe_u32 v5, v9, 18, 5
	v_lshlrev_b64 v[1:2], v2, v[1:2]
	v_sub_u32_e32 v2, 30, v6
	v_cmp_eq_u32_e32 vcc, 0, v5
	v_cndmask_b32_e32 v2, v5, v2, vcc
	v_lshlrev_b32_e32 v5, 8, v9
	v_and_b32_e32 v1, 3, v1
	v_and_b32_e32 v5, 0x80000000, v5
	v_cndmask_b32_e32 v1, v34, v1, vcc
	v_lshl_add_u32 v2, v2, 23, v5
	v_lshl_or_b32 v1, v1, 21, v2
	v_add_u32_e32 v2, 0x38000000, v1
                                        ; implicit-def: $vgpr34
                                        ; implicit-def: $vgpr1
.LBB4_13710:                            ;   in Loop: Header=BB4_12002 Depth=3
	s_andn2_saveexec_b64 s[34:35], s[34:35]
; %bb.13711:                            ;   in Loop: Header=BB4_12002 Depth=3
	v_mov_b32_e32 v2, -1
	v_cmp_gt_i16_sdwa vcc, sext(v1), v2 src0_sel:BYTE_0 src1_sel:DWORD
	v_mov_b32_e32 v1, 0xff800000
	v_mov_b32_e32 v2, 0x7f800000
	v_cndmask_b32_e32 v1, v1, v2, vcc
	v_cmp_eq_u32_e32 vcc, 0, v34
	v_mov_b32_e32 v2, 0x7f800001
	v_cndmask_b32_e32 v2, v2, v1, vcc
; %bb.13712:                            ;   in Loop: Header=BB4_12002 Depth=3
	s_or_b64 exec, exec, s[34:35]
.LBB4_13713:                            ;   in Loop: Header=BB4_12002 Depth=3
	s_or_b64 exec, exec, s[30:31]
.LBB4_13714:                            ;   in Loop: Header=BB4_12002 Depth=3
	s_or_b64 exec, exec, s[28:29]
	v_add_f32_e32 v3, v3, v2
	v_and_b32_e32 v5, 0x7f800000, v3
	v_mov_b32_e32 v6, v17
	v_cmp_ne_u64_e32 vcc, s[76:77], v[5:6]
	v_and_b32_e32 v1, 0x7fffff, v3
	v_mov_b32_e32 v2, v17
                                        ; implicit-def: $vgpr34
	s_and_saveexec_b64 s[28:29], vcc
	s_xor_b64 s[30:31], exec, s[28:29]
	s_cbranch_execz .LBB4_13728
; %bb.13715:                            ;   in Loop: Header=BB4_12002 Depth=3
	v_and_b32_e32 v5, 0x7fffffff, v3
	v_mov_b32_e32 v6, v17
	v_cmp_gt_u64_e32 vcc, s[78:79], v[5:6]
	v_and_b32_sdwa v38, v3, s96 dst_sel:DWORD dst_unused:UNUSED_PAD src0_sel:BYTE_3 src1_sel:DWORD
                                        ; implicit-def: $vgpr34
	s_and_saveexec_b64 s[28:29], vcc
	s_xor_b64 s[34:35], exec, s[28:29]
	s_cbranch_execz .LBB4_13725
; %bb.13716:                            ;   in Loop: Header=BB4_12002 Depth=3
	v_mov_b32_e32 v34, 0
	v_cmp_ne_u32_e32 vcc, 0, v3
	s_and_saveexec_b64 s[36:37], vcc
	s_cbranch_execz .LBB4_13724
; %bb.13717:                            ;   in Loop: Header=BB4_12002 Depth=3
	v_bfe_u32 v34, v3, 23, 8
	v_cmp_gt_u32_e64 s[28:29], s46, v34
	v_sub_u32_e32 v3, 0x71, v34
	v_cmp_eq_u32_e32 vcc, 0, v34
	v_cndmask_b32_e64 v3, 0, v3, s[28:29]
	v_mov_b32_e32 v6, 0x70
	v_cndmask_b32_e32 v53, v3, v6, vcc
	v_or_b32_e32 v5, 0x800000, v1
	v_add_u32_e32 v3, 21, v53
	v_cndmask_b32_e32 v1, v5, v1, vcc
	v_lshlrev_b64 v[5:6], v3, -1
	v_add_u32_e32 v3, 20, v53
	v_bfi_b32 v5, v5, 0, v1
	v_lshlrev_b64 v[57:58], v3, 1
	v_lshrrev_b64 v[1:2], v53, v[1:2]
	v_bfi_b32 v6, v6, 0, 0
	v_cmp_eq_u64_e64 s[28:29], v[5:6], v[57:58]
	v_mov_b32_e32 v3, v2
	v_mov_b32_e32 v2, v1
	s_and_saveexec_b64 s[38:39], s[28:29]
; %bb.13718:                            ;   in Loop: Header=BB4_12002 Depth=3
	v_bfe_u32 v2, v1, 21, 1
	v_add_co_u32_e64 v2, s[28:29], v1, v2
	v_add_co_u32_e64 v2, s[28:29], -1, v2
; %bb.13719:                            ;   in Loop: Header=BB4_12002 Depth=3
	s_or_b64 exec, exec, s[38:39]
	v_add_u32_e32 v3, 0xffffff81, v34
	v_mov_b32_e32 v5, 0xffffff82
	v_cndmask_b32_e32 v3, v3, v5, vcc
	v_lshrrev_b32_e32 v5, 23, v1
	v_add3_u32 v53, v53, v3, v5
	v_add_u32_e32 v34, 14, v53
	v_and_b32_e32 v2, 0x1fffff, v2
	v_add_u32_e32 v1, v2, v1
	v_mov_b32_e32 v2, v17
	v_cmp_ne_u32_e32 vcc, 0, v34
                                        ; implicit-def: $vgpr3
	s_and_saveexec_b64 s[28:29], vcc
	s_xor_b64 s[28:29], exec, s[28:29]
; %bb.13720:                            ;   in Loop: Header=BB4_12002 Depth=3
	v_cmp_lt_u64_e32 vcc, s[88:89], v[1:2]
	v_add_u32_e32 v3, 15, v53
	v_cndmask_b32_e64 v5, 0, 1, vcc
	v_lshrrev_b64 v[1:2], v5, v[1:2]
	v_cndmask_b32_e32 v3, v34, v3, vcc
; %bb.13721:                            ;   in Loop: Header=BB4_12002 Depth=3
	s_andn2_saveexec_b64 s[28:29], s[28:29]
; %bb.13722:                            ;   in Loop: Header=BB4_12002 Depth=3
	v_bfe_u32 v3, v1, 23, 1
; %bb.13723:                            ;   in Loop: Header=BB4_12002 Depth=3
	s_or_b64 exec, exec, s[28:29]
	v_lshrrev_b64 v[1:2], 21, v[1:2]
	v_cmp_gt_i32_e32 vcc, 32, v3
	v_cndmask_b32_e32 v2, 0, v2, vcc
	v_cndmask_b32_e32 v1, 3, v1, vcc
	v_cmp_eq_u64_e64 s[28:29], 0, v[1:2]
	v_min_i32_e32 v2, 31, v3
	v_lshlrev_b32_e32 v2, 2, v2
	v_cmp_eq_u32_e32 vcc, 0, v3
	v_and_b32_e32 v2, 0xfc, v2
	v_and_or_b32 v1, v1, 3, v2
	s_and_b64 s[28:29], vcc, s[28:29]
	v_cndmask_b32_e64 v1, v1, 0, s[28:29]
	v_or_b32_e32 v34, v1, v38
.LBB4_13724:                            ;   in Loop: Header=BB4_12002 Depth=3
	s_or_b64 exec, exec, s[36:37]
                                        ; implicit-def: $vgpr38
.LBB4_13725:                            ;   in Loop: Header=BB4_12002 Depth=3
	s_andn2_saveexec_b64 s[28:29], s[34:35]
; %bb.13726:                            ;   in Loop: Header=BB4_12002 Depth=3
	v_or_b32_e32 v34, 0x7b, v38
; %bb.13727:                            ;   in Loop: Header=BB4_12002 Depth=3
	s_or_b64 exec, exec, s[28:29]
                                        ; implicit-def: $vgpr3
                                        ; implicit-def: $vgpr1_vgpr2
.LBB4_13728:                            ;   in Loop: Header=BB4_12002 Depth=3
	s_andn2_saveexec_b64 s[28:29], s[30:31]
	s_cbranch_execz .LBB4_13734
; %bb.13729:                            ;   in Loop: Header=BB4_12002 Depth=3
	v_cmp_ne_u64_e32 vcc, 0, v[1:2]
                                        ; implicit-def: $vgpr34
	s_and_saveexec_b64 s[30:31], vcc
	s_xor_b64 vcc, exec, s[30:31]
; %bb.13730:                            ;   in Loop: Header=BB4_12002 Depth=3
	v_or_b32_sdwa v34, v3, s47 dst_sel:DWORD dst_unused:UNUSED_PAD src0_sel:BYTE_3 src1_sel:DWORD
                                        ; implicit-def: $vgpr3
; %bb.13731:                            ;   in Loop: Header=BB4_12002 Depth=3
	s_andn2_saveexec_b64 s[30:31], vcc
; %bb.13732:                            ;   in Loop: Header=BB4_12002 Depth=3
	v_cmp_lt_i32_e32 vcc, -1, v3
	v_bfrev_b32_e32 v1, 0.5
	v_cndmask_b32_e32 v34, v1, v52, vcc
; %bb.13733:                            ;   in Loop: Header=BB4_12002 Depth=3
	s_or_b64 exec, exec, s[30:31]
.LBB4_13734:                            ;   in Loop: Header=BB4_12002 Depth=3
	s_or_b64 exec, exec, s[28:29]
	v_cmp_lt_u32_e32 vcc, s57, v0
	v_mov_b32_e32 v2, 0
	v_mov_b32_e32 v3, 0
	s_and_saveexec_b64 s[28:29], vcc
	s_cbranch_execz .LBB4_13742
; %bb.13735:                            ;   in Loop: Header=BB4_12002 Depth=3
	v_lshrrev_b32_e32 v1, 24, v0
	v_cmp_ne_u32_e32 vcc, s96, v1
	v_bfrev_b32_e32 v3, 1
	s_and_saveexec_b64 s[30:31], vcc
	s_cbranch_execz .LBB4_13741
; %bb.13736:                            ;   in Loop: Header=BB4_12002 Depth=3
	v_and_b32_e32 v3, 0x7c000000, v0
	v_bfe_u32 v38, v0, 24, 2
	v_cmp_ne_u32_e32 vcc, s45, v3
                                        ; implicit-def: $vgpr3
	s_and_saveexec_b64 s[34:35], vcc
	s_xor_b64 s[34:35], exec, s[34:35]
	s_cbranch_execz .LBB4_13738
; %bb.13737:                            ;   in Loop: Header=BB4_12002 Depth=3
	v_ffbh_u32_e32 v5, v38
	v_min_u32_e32 v28, 32, v5
	v_subrev_u32_e32 v5, 29, v28
	v_bfe_u32 v3, v0, 26, 5
	v_lshlrev_b64 v[5:6], v5, v[1:2]
	v_sub_u32_e32 v1, 30, v28
	v_cmp_eq_u32_e32 vcc, 0, v3
	v_and_b32_e32 v5, 3, v5
	v_cndmask_b32_e32 v1, v3, v1, vcc
	v_and_b32_e32 v0, 0x80000000, v0
	v_cndmask_b32_e32 v3, v38, v5, vcc
	v_lshl_add_u32 v0, v1, 23, v0
	v_lshl_or_b32 v0, v3, 21, v0
	v_add_u32_e32 v3, 0x38000000, v0
                                        ; implicit-def: $vgpr38
                                        ; implicit-def: $vgpr0_vgpr1
.LBB4_13738:                            ;   in Loop: Header=BB4_12002 Depth=3
	s_andn2_saveexec_b64 s[34:35], s[34:35]
; %bb.13739:                            ;   in Loop: Header=BB4_12002 Depth=3
	v_cmp_lt_i32_e32 vcc, -1, v0
	v_mov_b32_e32 v0, 0xff800000
	v_mov_b32_e32 v1, 0x7f800000
	v_cndmask_b32_e32 v0, v0, v1, vcc
	v_cmp_eq_u32_e32 vcc, 0, v38
	v_mov_b32_e32 v1, 0x7f800001
	v_cndmask_b32_e32 v3, v1, v0, vcc
; %bb.13740:                            ;   in Loop: Header=BB4_12002 Depth=3
	s_or_b64 exec, exec, s[34:35]
.LBB4_13741:                            ;   in Loop: Header=BB4_12002 Depth=3
	s_or_b64 exec, exec, s[30:31]
.LBB4_13742:                            ;   in Loop: Header=BB4_12002 Depth=3
	s_or_b64 exec, exec, s[28:29]
	v_cmp_lt_u64_e32 vcc, s[56:57], v[8:9]
	s_and_saveexec_b64 s[28:29], vcc
	s_cbranch_execz .LBB4_13750
; %bb.13743:                            ;   in Loop: Header=BB4_12002 Depth=3
	v_lshrrev_b32_e32 v0, 24, v9
	v_cmp_ne_u32_e32 vcc, s96, v0
	v_bfrev_b32_e32 v2, 1
	s_and_saveexec_b64 s[30:31], vcc
	s_cbranch_execz .LBB4_13749
; %bb.13744:                            ;   in Loop: Header=BB4_12002 Depth=3
	v_and_b32_e32 v2, 0x7c000000, v9
	v_bfe_u32 v1, v9, 24, 2
	v_cmp_ne_u32_e32 vcc, s45, v2
                                        ; implicit-def: $vgpr2
	s_and_saveexec_b64 s[34:35], vcc
	s_xor_b64 s[34:35], exec, s[34:35]
	s_cbranch_execz .LBB4_13746
; %bb.13745:                            ;   in Loop: Header=BB4_12002 Depth=3
	v_ffbh_u32_e32 v5, v1
	v_min_u32_e32 v28, 32, v5
	v_subrev_u32_e32 v5, 29, v28
	v_bfe_u32 v2, v9, 26, 5
	v_lshlrev_b64 v[5:6], v5, v[0:1]
	v_sub_u32_e32 v0, 30, v28
	v_cmp_eq_u32_e32 vcc, 0, v2
	v_and_b32_e32 v5, 3, v5
	v_cndmask_b32_e32 v0, v2, v0, vcc
	v_and_b32_e32 v2, 0x80000000, v9
	v_cndmask_b32_e32 v1, v1, v5, vcc
	v_lshl_add_u32 v0, v0, 23, v2
	v_lshl_or_b32 v0, v1, 21, v0
	v_add_u32_e32 v2, 0x38000000, v0
                                        ; implicit-def: $vgpr1
.LBB4_13746:                            ;   in Loop: Header=BB4_12002 Depth=3
	s_andn2_saveexec_b64 s[34:35], s[34:35]
; %bb.13747:                            ;   in Loop: Header=BB4_12002 Depth=3
	v_cmp_lt_i64_e32 vcc, -1, v[8:9]
	v_mov_b32_e32 v0, 0xff800000
	v_mov_b32_e32 v2, 0x7f800000
	v_cndmask_b32_e32 v0, v0, v2, vcc
	v_cmp_eq_u32_e32 vcc, 0, v1
	v_mov_b32_e32 v1, 0x7f800001
	v_cndmask_b32_e32 v2, v1, v0, vcc
; %bb.13748:                            ;   in Loop: Header=BB4_12002 Depth=3
	s_or_b64 exec, exec, s[34:35]
.LBB4_13749:                            ;   in Loop: Header=BB4_12002 Depth=3
	s_or_b64 exec, exec, s[30:31]
.LBB4_13750:                            ;   in Loop: Header=BB4_12002 Depth=3
	s_or_b64 exec, exec, s[28:29]
	v_add_f32_e32 v2, v3, v2
	v_and_b32_e32 v5, 0x7f800000, v2
	v_mov_b32_e32 v6, v17
	v_cmp_ne_u64_e32 vcc, s[76:77], v[5:6]
	v_and_b32_e32 v0, 0x7fffff, v2
	v_mov_b32_e32 v1, v17
                                        ; implicit-def: $vgpr8
	s_and_saveexec_b64 s[28:29], vcc
	s_xor_b64 s[30:31], exec, s[28:29]
	s_cbranch_execz .LBB4_13764
; %bb.13751:                            ;   in Loop: Header=BB4_12002 Depth=3
	v_and_b32_e32 v5, 0x7fffffff, v2
	v_mov_b32_e32 v6, v17
	v_cmp_gt_u64_e32 vcc, s[78:79], v[5:6]
	v_and_b32_sdwa v3, v2, s96 dst_sel:DWORD dst_unused:UNUSED_PAD src0_sel:BYTE_3 src1_sel:DWORD
                                        ; implicit-def: $vgpr8
	s_and_saveexec_b64 s[28:29], vcc
	s_xor_b64 s[34:35], exec, s[28:29]
	s_cbranch_execz .LBB4_13761
; %bb.13752:                            ;   in Loop: Header=BB4_12002 Depth=3
	v_mov_b32_e32 v8, 0
	v_cmp_ne_u32_e32 vcc, 0, v2
	s_and_saveexec_b64 s[36:37], vcc
	s_cbranch_execz .LBB4_13760
; %bb.13753:                            ;   in Loop: Header=BB4_12002 Depth=3
	v_bfe_u32 v8, v2, 23, 8
	v_cmp_gt_u32_e64 s[28:29], s46, v8
	v_sub_u32_e32 v2, 0x71, v8
	v_cmp_eq_u32_e32 vcc, 0, v8
	v_cndmask_b32_e64 v2, 0, v2, s[28:29]
	v_mov_b32_e32 v6, 0x70
	v_cndmask_b32_e32 v9, v2, v6, vcc
	v_or_b32_e32 v5, 0x800000, v0
	v_add_u32_e32 v2, 21, v9
	v_cndmask_b32_e32 v0, v5, v0, vcc
	v_lshlrev_b64 v[5:6], v2, -1
	v_add_u32_e32 v2, 20, v9
	v_bfi_b32 v5, v5, 0, v0
	v_lshlrev_b64 v[57:58], v2, 1
	v_lshrrev_b64 v[0:1], v9, v[0:1]
	v_bfi_b32 v6, v6, 0, 0
	v_cmp_eq_u64_e64 s[28:29], v[5:6], v[57:58]
	v_mov_b32_e32 v2, v1
	v_mov_b32_e32 v1, v0
	s_and_saveexec_b64 s[38:39], s[28:29]
; %bb.13754:                            ;   in Loop: Header=BB4_12002 Depth=3
	v_bfe_u32 v1, v0, 21, 1
	v_add_co_u32_e64 v1, s[28:29], v0, v1
	v_add_co_u32_e64 v1, s[28:29], -1, v1
; %bb.13755:                            ;   in Loop: Header=BB4_12002 Depth=3
	s_or_b64 exec, exec, s[38:39]
	v_add_u32_e32 v2, 0xffffff81, v8
	v_mov_b32_e32 v5, 0xffffff82
	v_cndmask_b32_e32 v2, v2, v5, vcc
	v_lshrrev_b32_e32 v5, 23, v0
	v_add3_u32 v9, v9, v2, v5
	v_add_u32_e32 v8, 14, v9
	v_and_b32_e32 v1, 0x1fffff, v1
	v_add_u32_e32 v0, v1, v0
	v_mov_b32_e32 v1, v17
	v_cmp_ne_u32_e32 vcc, 0, v8
                                        ; implicit-def: $vgpr2
	s_and_saveexec_b64 s[28:29], vcc
	s_xor_b64 s[28:29], exec, s[28:29]
; %bb.13756:                            ;   in Loop: Header=BB4_12002 Depth=3
	v_cmp_lt_u64_e32 vcc, s[88:89], v[0:1]
	v_add_u32_e32 v2, 15, v9
	v_cndmask_b32_e64 v5, 0, 1, vcc
	v_lshrrev_b64 v[0:1], v5, v[0:1]
	v_cndmask_b32_e32 v2, v8, v2, vcc
; %bb.13757:                            ;   in Loop: Header=BB4_12002 Depth=3
	s_andn2_saveexec_b64 s[28:29], s[28:29]
; %bb.13758:                            ;   in Loop: Header=BB4_12002 Depth=3
	v_bfe_u32 v2, v0, 23, 1
; %bb.13759:                            ;   in Loop: Header=BB4_12002 Depth=3
	s_or_b64 exec, exec, s[28:29]
	v_lshrrev_b64 v[0:1], 21, v[0:1]
	v_cmp_gt_i32_e32 vcc, 32, v2
	v_cndmask_b32_e32 v1, 0, v1, vcc
	v_cndmask_b32_e32 v0, 3, v0, vcc
	v_cmp_eq_u64_e64 s[28:29], 0, v[0:1]
	v_min_i32_e32 v1, 31, v2
	v_lshlrev_b32_e32 v1, 2, v1
	v_cmp_eq_u32_e32 vcc, 0, v2
	v_and_b32_e32 v1, 0xfc, v1
	v_and_or_b32 v0, v0, 3, v1
	s_and_b64 s[28:29], vcc, s[28:29]
	v_cndmask_b32_e64 v0, v0, 0, s[28:29]
	v_or_b32_e32 v8, v0, v3
.LBB4_13760:                            ;   in Loop: Header=BB4_12002 Depth=3
	s_or_b64 exec, exec, s[36:37]
                                        ; implicit-def: $vgpr3
.LBB4_13761:                            ;   in Loop: Header=BB4_12002 Depth=3
	s_andn2_saveexec_b64 s[28:29], s[34:35]
; %bb.13762:                            ;   in Loop: Header=BB4_12002 Depth=3
	v_or_b32_e32 v8, 0x7b, v3
; %bb.13763:                            ;   in Loop: Header=BB4_12002 Depth=3
	s_or_b64 exec, exec, s[28:29]
                                        ; implicit-def: $vgpr2
                                        ; implicit-def: $vgpr0_vgpr1
.LBB4_13764:                            ;   in Loop: Header=BB4_12002 Depth=3
	s_andn2_saveexec_b64 s[28:29], s[30:31]
	s_cbranch_execz .LBB4_13770
; %bb.13765:                            ;   in Loop: Header=BB4_12002 Depth=3
	v_cmp_ne_u64_e32 vcc, 0, v[0:1]
                                        ; implicit-def: $vgpr8
	s_and_saveexec_b64 s[30:31], vcc
	s_xor_b64 vcc, exec, s[30:31]
; %bb.13766:                            ;   in Loop: Header=BB4_12002 Depth=3
	v_or_b32_sdwa v8, v2, s47 dst_sel:DWORD dst_unused:UNUSED_PAD src0_sel:BYTE_3 src1_sel:DWORD
                                        ; implicit-def: $vgpr2
; %bb.13767:                            ;   in Loop: Header=BB4_12002 Depth=3
	s_andn2_saveexec_b64 s[30:31], vcc
; %bb.13768:                            ;   in Loop: Header=BB4_12002 Depth=3
	v_cmp_lt_i32_e32 vcc, -1, v2
	v_bfrev_b32_e32 v0, 0.5
	v_cndmask_b32_e32 v8, v0, v52, vcc
; %bb.13769:                            ;   in Loop: Header=BB4_12002 Depth=3
	s_or_b64 exec, exec, s[30:31]
.LBB4_13770:                            ;   in Loop: Header=BB4_12002 Depth=3
	s_or_b64 exec, exec, s[28:29]
	v_lshl_or_b32 v24, v24, 8, v19
	v_lshlrev_b32_e32 v0, 16, v26
	v_lshlrev_b32_e32 v1, 24, v33
	v_or3_b32 v0, v0, v1, v24
	v_mov_b32_e32 v1, v17
	v_cmp_ne_u32_e32 vcc, 0, v19
	v_mov_b32_e32 v2, 0
	v_mov_b32_e32 v3, 0
	s_and_saveexec_b64 s[30:31], vcc
	s_cbranch_execz .LBB4_13778
; %bb.13771:                            ;   in Loop: Header=BB4_12002 Depth=3
	v_cmp_ne_u32_e32 vcc, s96, v19
	v_bfrev_b32_e32 v3, 1
	s_and_saveexec_b64 s[34:35], vcc
	s_cbranch_execz .LBB4_13777
; %bb.13772:                            ;   in Loop: Header=BB4_12002 Depth=3
	v_and_b32_e32 v3, 0x7c, v19
	v_and_b32_e32 v9, 3, v19
	v_cmp_ne_u32_e32 vcc, s85, v3
                                        ; implicit-def: $vgpr3
	s_and_saveexec_b64 s[28:29], vcc
	s_xor_b64 s[28:29], exec, s[28:29]
	s_cbranch_execz .LBB4_13774
; %bb.13773:                            ;   in Loop: Header=BB4_12002 Depth=3
	v_ffbh_u32_e32 v5, v9
	v_min_u32_e32 v26, 32, v5
	v_subrev_u32_e32 v5, 29, v26
	v_lshlrev_b64 v[5:6], v5, v[0:1]
	v_bfe_u32 v3, v19, 2, 5
	v_sub_u32_e32 v1, 30, v26
	v_and_b32_e32 v5, 3, v5
	v_cmp_eq_u32_e32 vcc, 0, v3
	v_cndmask_b32_e32 v1, v3, v1, vcc
	v_cndmask_b32_e32 v3, v9, v5, vcc
	v_lshlrev_b32_e32 v5, 24, v19
	v_and_b32_e32 v5, 0x80000000, v5
	v_lshl_add_u32 v1, v1, 23, v5
	v_lshl_or_b32 v1, v3, 21, v1
	v_add_u32_e32 v3, 0x38000000, v1
                                        ; implicit-def: $vgpr9
                                        ; implicit-def: $vgpr19
.LBB4_13774:                            ;   in Loop: Header=BB4_12002 Depth=3
	s_andn2_saveexec_b64 s[36:37], s[28:29]
; %bb.13775:                            ;   in Loop: Header=BB4_12002 Depth=3
	v_and_b32_e32 v1, 0x80, v19
	v_cmp_eq_u32_e64 s[28:29], 0, v1
	v_mov_b32_e32 v1, 0xff800000
	v_mov_b32_e32 v3, 0x7f800000
	v_cmp_eq_u32_e32 vcc, 0, v9
	v_cndmask_b32_e64 v1, v1, v3, s[28:29]
	v_mov_b32_e32 v3, 0x7f800001
	v_cndmask_b32_e32 v3, v3, v1, vcc
; %bb.13776:                            ;   in Loop: Header=BB4_12002 Depth=3
	s_or_b64 exec, exec, s[36:37]
.LBB4_13777:                            ;   in Loop: Header=BB4_12002 Depth=3
	s_or_b64 exec, exec, s[34:35]
.LBB4_13778:                            ;   in Loop: Header=BB4_12002 Depth=3
	s_or_b64 exec, exec, s[30:31]
	v_cmp_ne_u16_sdwa vcc, v10, v17 src0_sel:BYTE_0 src1_sel:DWORD
	s_and_saveexec_b64 s[28:29], vcc
	s_cbranch_execz .LBB4_13786
; %bb.13779:                            ;   in Loop: Header=BB4_12002 Depth=3
	v_cmp_ne_u16_sdwa vcc, sext(v10), s97 src0_sel:BYTE_0 src1_sel:DWORD
	v_bfrev_b32_e32 v2, 1
	s_and_saveexec_b64 s[30:31], vcc
	s_cbranch_execz .LBB4_13785
; %bb.13780:                            ;   in Loop: Header=BB4_12002 Depth=3
	v_and_b32_e32 v2, 0x7c, v10
	v_and_b32_e32 v1, 3, v10
	v_cmp_ne_u32_e32 vcc, s85, v2
                                        ; implicit-def: $vgpr2
	s_and_saveexec_b64 s[34:35], vcc
	s_xor_b64 s[34:35], exec, s[34:35]
	s_cbranch_execz .LBB4_13782
; %bb.13781:                            ;   in Loop: Header=BB4_12002 Depth=3
	v_ffbh_u32_e32 v5, v1
	v_min_u32_e32 v9, 32, v5
	v_subrev_u32_e32 v5, 29, v9
	v_lshlrev_b64 v[5:6], v5, v[10:11]
	v_bfe_u32 v2, v10, 2, 5
	v_and_b32_e32 v5, 3, v5
	v_cmp_eq_u32_e32 vcc, 0, v2
	v_sub_u32_e32 v6, 30, v9
	v_cndmask_b32_e32 v1, v1, v5, vcc
	v_lshlrev_b32_e32 v5, 24, v10
	v_cndmask_b32_e32 v2, v2, v6, vcc
	v_and_b32_e32 v5, 0x80000000, v5
	v_lshl_add_u32 v2, v2, 23, v5
	v_lshl_or_b32 v1, v1, 21, v2
	v_add_u32_e32 v2, 0x38000000, v1
                                        ; implicit-def: $vgpr1
.LBB4_13782:                            ;   in Loop: Header=BB4_12002 Depth=3
	s_andn2_saveexec_b64 s[34:35], s[34:35]
; %bb.13783:                            ;   in Loop: Header=BB4_12002 Depth=3
	v_mov_b32_e32 v2, -1
	v_cmp_gt_i16_sdwa vcc, sext(v10), v2 src0_sel:BYTE_0 src1_sel:DWORD
	v_mov_b32_e32 v2, 0xff800000
	v_mov_b32_e32 v5, 0x7f800000
	v_cndmask_b32_e32 v2, v2, v5, vcc
	v_cmp_eq_u32_e32 vcc, 0, v1
	v_mov_b32_e32 v1, 0x7f800001
	v_cndmask_b32_e32 v2, v1, v2, vcc
; %bb.13784:                            ;   in Loop: Header=BB4_12002 Depth=3
	s_or_b64 exec, exec, s[34:35]
.LBB4_13785:                            ;   in Loop: Header=BB4_12002 Depth=3
	s_or_b64 exec, exec, s[30:31]
.LBB4_13786:                            ;   in Loop: Header=BB4_12002 Depth=3
	s_or_b64 exec, exec, s[28:29]
	v_add_f32_e32 v3, v3, v2
	v_and_b32_e32 v5, 0x7f800000, v3
	v_mov_b32_e32 v6, v17
	v_cmp_ne_u64_e32 vcc, s[76:77], v[5:6]
	v_and_b32_e32 v1, 0x7fffff, v3
	v_mov_b32_e32 v2, v17
                                        ; implicit-def: $vgpr9
	s_and_saveexec_b64 s[28:29], vcc
	s_xor_b64 s[30:31], exec, s[28:29]
	s_cbranch_execz .LBB4_13800
; %bb.13787:                            ;   in Loop: Header=BB4_12002 Depth=3
	v_and_b32_e32 v5, 0x7fffffff, v3
	v_mov_b32_e32 v6, v17
	v_cmp_gt_u64_e32 vcc, s[78:79], v[5:6]
	v_and_b32_sdwa v19, v3, s96 dst_sel:DWORD dst_unused:UNUSED_PAD src0_sel:BYTE_3 src1_sel:DWORD
                                        ; implicit-def: $vgpr9
	s_and_saveexec_b64 s[28:29], vcc
	s_xor_b64 s[34:35], exec, s[28:29]
	s_cbranch_execz .LBB4_13797
; %bb.13788:                            ;   in Loop: Header=BB4_12002 Depth=3
	v_mov_b32_e32 v9, 0
	v_cmp_ne_u32_e32 vcc, 0, v3
	s_and_saveexec_b64 s[36:37], vcc
	s_cbranch_execz .LBB4_13796
; %bb.13789:                            ;   in Loop: Header=BB4_12002 Depth=3
	v_bfe_u32 v9, v3, 23, 8
	v_cmp_gt_u32_e64 s[28:29], s46, v9
	v_sub_u32_e32 v3, 0x71, v9
	v_cmp_eq_u32_e32 vcc, 0, v9
	v_cndmask_b32_e64 v3, 0, v3, s[28:29]
	v_mov_b32_e32 v6, 0x70
	v_cndmask_b32_e32 v26, v3, v6, vcc
	v_or_b32_e32 v5, 0x800000, v1
	v_add_u32_e32 v3, 21, v26
	v_cndmask_b32_e32 v1, v5, v1, vcc
	v_lshlrev_b64 v[5:6], v3, -1
	v_add_u32_e32 v3, 20, v26
	v_bfi_b32 v5, v5, 0, v1
	v_lshlrev_b64 v[57:58], v3, 1
	v_lshrrev_b64 v[1:2], v26, v[1:2]
	v_bfi_b32 v6, v6, 0, 0
	v_cmp_eq_u64_e64 s[28:29], v[5:6], v[57:58]
	v_mov_b32_e32 v3, v2
	v_mov_b32_e32 v2, v1
	s_and_saveexec_b64 s[38:39], s[28:29]
; %bb.13790:                            ;   in Loop: Header=BB4_12002 Depth=3
	v_bfe_u32 v2, v1, 21, 1
	v_add_co_u32_e64 v2, s[28:29], v1, v2
	v_add_co_u32_e64 v2, s[28:29], -1, v2
; %bb.13791:                            ;   in Loop: Header=BB4_12002 Depth=3
	s_or_b64 exec, exec, s[38:39]
	v_add_u32_e32 v3, 0xffffff81, v9
	v_mov_b32_e32 v5, 0xffffff82
	v_cndmask_b32_e32 v3, v3, v5, vcc
	v_lshrrev_b32_e32 v5, 23, v1
	v_add3_u32 v26, v26, v3, v5
	v_add_u32_e32 v9, 14, v26
	v_and_b32_e32 v2, 0x1fffff, v2
	v_add_u32_e32 v1, v2, v1
	v_mov_b32_e32 v2, v17
	v_cmp_ne_u32_e32 vcc, 0, v9
                                        ; implicit-def: $vgpr3
	s_and_saveexec_b64 s[28:29], vcc
	s_xor_b64 s[28:29], exec, s[28:29]
; %bb.13792:                            ;   in Loop: Header=BB4_12002 Depth=3
	v_cmp_lt_u64_e32 vcc, s[88:89], v[1:2]
	v_add_u32_e32 v3, 15, v26
	v_cndmask_b32_e64 v5, 0, 1, vcc
	v_lshrrev_b64 v[1:2], v5, v[1:2]
	v_cndmask_b32_e32 v3, v9, v3, vcc
; %bb.13793:                            ;   in Loop: Header=BB4_12002 Depth=3
	s_andn2_saveexec_b64 s[28:29], s[28:29]
; %bb.13794:                            ;   in Loop: Header=BB4_12002 Depth=3
	v_bfe_u32 v3, v1, 23, 1
; %bb.13795:                            ;   in Loop: Header=BB4_12002 Depth=3
	s_or_b64 exec, exec, s[28:29]
	v_lshrrev_b64 v[1:2], 21, v[1:2]
	v_cmp_gt_i32_e32 vcc, 32, v3
	v_cndmask_b32_e32 v2, 0, v2, vcc
	v_cndmask_b32_e32 v1, 3, v1, vcc
	v_cmp_eq_u64_e64 s[28:29], 0, v[1:2]
	v_min_i32_e32 v2, 31, v3
	v_lshlrev_b32_e32 v2, 2, v2
	v_cmp_eq_u32_e32 vcc, 0, v3
	v_and_b32_e32 v2, 0xfc, v2
	v_and_or_b32 v1, v1, 3, v2
	s_and_b64 s[28:29], vcc, s[28:29]
	v_cndmask_b32_e64 v1, v1, 0, s[28:29]
	v_or_b32_e32 v9, v1, v19
.LBB4_13796:                            ;   in Loop: Header=BB4_12002 Depth=3
	s_or_b64 exec, exec, s[36:37]
                                        ; implicit-def: $vgpr19
.LBB4_13797:                            ;   in Loop: Header=BB4_12002 Depth=3
	s_andn2_saveexec_b64 s[28:29], s[34:35]
; %bb.13798:                            ;   in Loop: Header=BB4_12002 Depth=3
	v_or_b32_e32 v9, 0x7b, v19
; %bb.13799:                            ;   in Loop: Header=BB4_12002 Depth=3
	s_or_b64 exec, exec, s[28:29]
                                        ; implicit-def: $vgpr3
                                        ; implicit-def: $vgpr1_vgpr2
.LBB4_13800:                            ;   in Loop: Header=BB4_12002 Depth=3
	s_andn2_saveexec_b64 s[28:29], s[30:31]
	s_cbranch_execz .LBB4_13806
; %bb.13801:                            ;   in Loop: Header=BB4_12002 Depth=3
	v_cmp_ne_u64_e32 vcc, 0, v[1:2]
                                        ; implicit-def: $vgpr9
	s_and_saveexec_b64 s[30:31], vcc
	s_xor_b64 vcc, exec, s[30:31]
; %bb.13802:                            ;   in Loop: Header=BB4_12002 Depth=3
	v_or_b32_sdwa v9, v3, s47 dst_sel:DWORD dst_unused:UNUSED_PAD src0_sel:BYTE_3 src1_sel:DWORD
                                        ; implicit-def: $vgpr3
; %bb.13803:                            ;   in Loop: Header=BB4_12002 Depth=3
	s_andn2_saveexec_b64 s[30:31], vcc
; %bb.13804:                            ;   in Loop: Header=BB4_12002 Depth=3
	v_cmp_lt_i32_e32 vcc, -1, v3
	v_bfrev_b32_e32 v1, 0.5
	v_cndmask_b32_e32 v9, v1, v52, vcc
; %bb.13805:                            ;   in Loop: Header=BB4_12002 Depth=3
	s_or_b64 exec, exec, s[30:31]
.LBB4_13806:                            ;   in Loop: Header=BB4_12002 Depth=3
	s_or_b64 exec, exec, s[28:29]
	v_lshrrev_b16_e32 v1, 8, v24
	v_cmp_ne_u16_e32 vcc, 0, v1
	v_mov_b32_e32 v3, 0
	v_mov_b32_e32 v19, 0
	s_and_saveexec_b64 s[28:29], vcc
	s_cbranch_execz .LBB4_13814
; %bb.13807:                            ;   in Loop: Header=BB4_12002 Depth=3
	v_cmp_ne_u16_e32 vcc, s96, v1
	v_bfrev_b32_e32 v19, 1
	s_and_saveexec_b64 s[30:31], vcc
	s_cbranch_execz .LBB4_13813
; %bb.13808:                            ;   in Loop: Header=BB4_12002 Depth=3
	v_and_b32_e32 v2, 0x7c, v1
	v_and_b32_e32 v26, 3, v1
	v_cmp_ne_u32_e32 vcc, s85, v2
                                        ; implicit-def: $vgpr19
	s_and_saveexec_b64 s[34:35], vcc
	s_xor_b64 s[34:35], exec, s[34:35]
	s_cbranch_execz .LBB4_13810
; %bb.13809:                            ;   in Loop: Header=BB4_12002 Depth=3
	v_ffbh_u32_e32 v6, v26
	v_min_u32_e32 v6, 32, v6
	v_mov_b32_e32 v2, v17
	v_subrev_u32_e32 v19, 29, v6
	v_bfe_u32 v5, v1, 2, 5
	v_lshlrev_b64 v[1:2], v19, v[1:2]
	v_sub_u32_e32 v2, 30, v6
	v_cmp_eq_u32_e32 vcc, 0, v5
	v_cndmask_b32_e32 v2, v5, v2, vcc
	v_lshlrev_b32_e32 v5, 16, v24
	v_and_b32_e32 v1, 3, v1
	v_and_b32_e32 v5, 0x80000000, v5
	v_cndmask_b32_e32 v1, v26, v1, vcc
	v_lshl_add_u32 v2, v2, 23, v5
	v_lshl_or_b32 v1, v1, 21, v2
	v_add_u32_e32 v19, 0x38000000, v1
                                        ; implicit-def: $vgpr26
                                        ; implicit-def: $vgpr24
.LBB4_13810:                            ;   in Loop: Header=BB4_12002 Depth=3
	s_andn2_saveexec_b64 s[34:35], s[34:35]
; %bb.13811:                            ;   in Loop: Header=BB4_12002 Depth=3
	v_cmp_lt_i16_e32 vcc, -1, v24
	v_mov_b32_e32 v1, 0xff800000
	v_mov_b32_e32 v2, 0x7f800000
	v_cndmask_b32_e32 v1, v1, v2, vcc
	v_cmp_eq_u32_e32 vcc, 0, v26
	v_mov_b32_e32 v2, 0x7f800001
	v_cndmask_b32_e32 v19, v2, v1, vcc
; %bb.13812:                            ;   in Loop: Header=BB4_12002 Depth=3
	s_or_b64 exec, exec, s[34:35]
.LBB4_13813:                            ;   in Loop: Header=BB4_12002 Depth=3
	s_or_b64 exec, exec, s[30:31]
.LBB4_13814:                            ;   in Loop: Header=BB4_12002 Depth=3
	s_or_b64 exec, exec, s[28:29]
	v_lshrrev_b16_e32 v1, 8, v10
	v_cmp_ne_u16_e32 vcc, 0, v1
	s_and_saveexec_b64 s[28:29], vcc
	s_cbranch_execz .LBB4_13822
; %bb.13815:                            ;   in Loop: Header=BB4_12002 Depth=3
	v_cmp_ne_u16_e32 vcc, s96, v1
	v_bfrev_b32_e32 v3, 1
	s_and_saveexec_b64 s[30:31], vcc
	s_cbranch_execz .LBB4_13821
; %bb.13816:                            ;   in Loop: Header=BB4_12002 Depth=3
	v_and_b32_e32 v2, 0x7c, v1
	v_and_b32_e32 v24, 3, v1
	v_cmp_ne_u32_e32 vcc, s85, v2
                                        ; implicit-def: $vgpr3
	s_and_saveexec_b64 s[34:35], vcc
	s_xor_b64 s[34:35], exec, s[34:35]
	s_cbranch_execz .LBB4_13818
; %bb.13817:                            ;   in Loop: Header=BB4_12002 Depth=3
	v_ffbh_u32_e32 v5, v24
	v_min_u32_e32 v5, 32, v5
	v_mov_b32_e32 v2, v17
	v_subrev_u32_e32 v6, 29, v5
	v_bfe_u32 v3, v1, 2, 5
	v_lshlrev_b64 v[1:2], v6, v[1:2]
	v_sub_u32_e32 v2, 30, v5
	v_cmp_eq_u32_e32 vcc, 0, v3
	v_cndmask_b32_e32 v2, v3, v2, vcc
	v_lshlrev_b32_e32 v3, 16, v10
	v_and_b32_e32 v1, 3, v1
	v_and_b32_e32 v3, 0x80000000, v3
	v_cndmask_b32_e32 v1, v24, v1, vcc
	v_lshl_add_u32 v2, v2, 23, v3
	v_lshl_or_b32 v1, v1, 21, v2
	v_add_u32_e32 v3, 0x38000000, v1
                                        ; implicit-def: $vgpr24
.LBB4_13818:                            ;   in Loop: Header=BB4_12002 Depth=3
	s_andn2_saveexec_b64 s[34:35], s[34:35]
; %bb.13819:                            ;   in Loop: Header=BB4_12002 Depth=3
	v_cmp_lt_i16_e32 vcc, -1, v10
	v_mov_b32_e32 v1, 0xff800000
	v_mov_b32_e32 v2, 0x7f800000
	v_cndmask_b32_e32 v1, v1, v2, vcc
	v_cmp_eq_u32_e32 vcc, 0, v24
	v_mov_b32_e32 v2, 0x7f800001
	v_cndmask_b32_e32 v3, v2, v1, vcc
; %bb.13820:                            ;   in Loop: Header=BB4_12002 Depth=3
	s_or_b64 exec, exec, s[34:35]
.LBB4_13821:                            ;   in Loop: Header=BB4_12002 Depth=3
	s_or_b64 exec, exec, s[30:31]
.LBB4_13822:                            ;   in Loop: Header=BB4_12002 Depth=3
	s_or_b64 exec, exec, s[28:29]
	v_add_f32_e32 v3, v19, v3
	v_and_b32_e32 v5, 0x7f800000, v3
	v_mov_b32_e32 v6, v17
	v_cmp_ne_u64_e32 vcc, s[76:77], v[5:6]
	v_and_b32_e32 v1, 0x7fffff, v3
	v_mov_b32_e32 v2, v17
                                        ; implicit-def: $vgpr19
	s_and_saveexec_b64 s[28:29], vcc
	s_xor_b64 s[30:31], exec, s[28:29]
	s_cbranch_execz .LBB4_13836
; %bb.13823:                            ;   in Loop: Header=BB4_12002 Depth=3
	v_and_b32_e32 v5, 0x7fffffff, v3
	v_mov_b32_e32 v6, v17
	v_cmp_gt_u64_e32 vcc, s[78:79], v[5:6]
	v_and_b32_sdwa v24, v3, s96 dst_sel:DWORD dst_unused:UNUSED_PAD src0_sel:BYTE_3 src1_sel:DWORD
                                        ; implicit-def: $vgpr19
	s_and_saveexec_b64 s[28:29], vcc
	s_xor_b64 s[34:35], exec, s[28:29]
	s_cbranch_execz .LBB4_13833
; %bb.13824:                            ;   in Loop: Header=BB4_12002 Depth=3
	v_mov_b32_e32 v19, 0
	v_cmp_ne_u32_e32 vcc, 0, v3
	s_and_saveexec_b64 s[36:37], vcc
	s_cbranch_execz .LBB4_13832
; %bb.13825:                            ;   in Loop: Header=BB4_12002 Depth=3
	v_bfe_u32 v19, v3, 23, 8
	v_cmp_gt_u32_e64 s[28:29], s46, v19
	v_sub_u32_e32 v3, 0x71, v19
	v_cmp_eq_u32_e32 vcc, 0, v19
	v_cndmask_b32_e64 v3, 0, v3, s[28:29]
	v_mov_b32_e32 v6, 0x70
	v_cndmask_b32_e32 v26, v3, v6, vcc
	v_or_b32_e32 v5, 0x800000, v1
	v_add_u32_e32 v3, 21, v26
	v_cndmask_b32_e32 v1, v5, v1, vcc
	v_lshlrev_b64 v[5:6], v3, -1
	v_add_u32_e32 v3, 20, v26
	v_bfi_b32 v5, v5, 0, v1
	v_lshlrev_b64 v[57:58], v3, 1
	v_lshrrev_b64 v[1:2], v26, v[1:2]
	v_bfi_b32 v6, v6, 0, 0
	v_cmp_eq_u64_e64 s[28:29], v[5:6], v[57:58]
	v_mov_b32_e32 v3, v2
	v_mov_b32_e32 v2, v1
	s_and_saveexec_b64 s[38:39], s[28:29]
; %bb.13826:                            ;   in Loop: Header=BB4_12002 Depth=3
	v_bfe_u32 v2, v1, 21, 1
	v_add_co_u32_e64 v2, s[28:29], v1, v2
	v_add_co_u32_e64 v2, s[28:29], -1, v2
; %bb.13827:                            ;   in Loop: Header=BB4_12002 Depth=3
	s_or_b64 exec, exec, s[38:39]
	v_add_u32_e32 v3, 0xffffff81, v19
	v_mov_b32_e32 v5, 0xffffff82
	v_cndmask_b32_e32 v3, v3, v5, vcc
	v_lshrrev_b32_e32 v5, 23, v1
	v_add3_u32 v26, v26, v3, v5
	v_add_u32_e32 v19, 14, v26
	v_and_b32_e32 v2, 0x1fffff, v2
	v_add_u32_e32 v1, v2, v1
	v_mov_b32_e32 v2, v17
	v_cmp_ne_u32_e32 vcc, 0, v19
                                        ; implicit-def: $vgpr3
	s_and_saveexec_b64 s[28:29], vcc
	s_xor_b64 s[28:29], exec, s[28:29]
; %bb.13828:                            ;   in Loop: Header=BB4_12002 Depth=3
	v_cmp_lt_u64_e32 vcc, s[88:89], v[1:2]
	v_add_u32_e32 v3, 15, v26
	v_cndmask_b32_e64 v5, 0, 1, vcc
	v_lshrrev_b64 v[1:2], v5, v[1:2]
	v_cndmask_b32_e32 v3, v19, v3, vcc
; %bb.13829:                            ;   in Loop: Header=BB4_12002 Depth=3
	s_andn2_saveexec_b64 s[28:29], s[28:29]
; %bb.13830:                            ;   in Loop: Header=BB4_12002 Depth=3
	v_bfe_u32 v3, v1, 23, 1
; %bb.13831:                            ;   in Loop: Header=BB4_12002 Depth=3
	s_or_b64 exec, exec, s[28:29]
	v_lshrrev_b64 v[1:2], 21, v[1:2]
	v_cmp_gt_i32_e32 vcc, 32, v3
	v_cndmask_b32_e32 v2, 0, v2, vcc
	v_cndmask_b32_e32 v1, 3, v1, vcc
	v_cmp_eq_u64_e64 s[28:29], 0, v[1:2]
	v_min_i32_e32 v2, 31, v3
	v_lshlrev_b32_e32 v2, 2, v2
	v_cmp_eq_u32_e32 vcc, 0, v3
	v_and_b32_e32 v2, 0xfc, v2
	v_and_or_b32 v1, v1, 3, v2
	s_and_b64 s[28:29], vcc, s[28:29]
	v_cndmask_b32_e64 v1, v1, 0, s[28:29]
	v_or_b32_e32 v19, v1, v24
.LBB4_13832:                            ;   in Loop: Header=BB4_12002 Depth=3
	s_or_b64 exec, exec, s[36:37]
                                        ; implicit-def: $vgpr24
.LBB4_13833:                            ;   in Loop: Header=BB4_12002 Depth=3
	s_andn2_saveexec_b64 s[28:29], s[34:35]
; %bb.13834:                            ;   in Loop: Header=BB4_12002 Depth=3
	v_or_b32_e32 v19, 0x7b, v24
; %bb.13835:                            ;   in Loop: Header=BB4_12002 Depth=3
	s_or_b64 exec, exec, s[28:29]
                                        ; implicit-def: $vgpr3
                                        ; implicit-def: $vgpr1_vgpr2
.LBB4_13836:                            ;   in Loop: Header=BB4_12002 Depth=3
	s_andn2_saveexec_b64 s[28:29], s[30:31]
	s_cbranch_execz .LBB4_13842
; %bb.13837:                            ;   in Loop: Header=BB4_12002 Depth=3
	v_cmp_ne_u64_e32 vcc, 0, v[1:2]
                                        ; implicit-def: $vgpr19
	s_and_saveexec_b64 s[30:31], vcc
	s_xor_b64 vcc, exec, s[30:31]
; %bb.13838:                            ;   in Loop: Header=BB4_12002 Depth=3
	v_or_b32_sdwa v19, v3, s47 dst_sel:DWORD dst_unused:UNUSED_PAD src0_sel:BYTE_3 src1_sel:DWORD
                                        ; implicit-def: $vgpr3
; %bb.13839:                            ;   in Loop: Header=BB4_12002 Depth=3
	s_andn2_saveexec_b64 s[30:31], vcc
; %bb.13840:                            ;   in Loop: Header=BB4_12002 Depth=3
	v_cmp_lt_i32_e32 vcc, -1, v3
	v_bfrev_b32_e32 v1, 0.5
	v_cndmask_b32_e32 v19, v1, v52, vcc
; %bb.13841:                            ;   in Loop: Header=BB4_12002 Depth=3
	s_or_b64 exec, exec, s[30:31]
.LBB4_13842:                            ;   in Loop: Header=BB4_12002 Depth=3
	s_or_b64 exec, exec, s[28:29]
	v_and_b32_sdwa v24, v0, s87 dst_sel:DWORD dst_unused:UNUSED_PAD src0_sel:WORD_1 src1_sel:DWORD
	v_lshrrev_b32_e32 v1, 16, v0
	v_cmp_ne_u16_e32 vcc, 0, v24
	v_mov_b32_e32 v2, 0
	v_mov_b32_e32 v3, 0
	s_and_saveexec_b64 s[28:29], vcc
	s_cbranch_execz .LBB4_13850
; %bb.13843:                            ;   in Loop: Header=BB4_12002 Depth=3
	v_cmp_ne_u16_e32 vcc, s96, v24
	v_bfrev_b32_e32 v3, 1
	s_and_saveexec_b64 s[30:31], vcc
	s_cbranch_execz .LBB4_13849
; %bb.13844:                            ;   in Loop: Header=BB4_12002 Depth=3
	v_and_b32_e32 v3, 0x7c0000, v0
	v_bfe_u32 v24, v0, 16, 2
	v_cmp_ne_u32_e32 vcc, s44, v3
                                        ; implicit-def: $vgpr3
	s_and_saveexec_b64 s[34:35], vcc
	s_xor_b64 s[34:35], exec, s[34:35]
	s_cbranch_execz .LBB4_13846
; %bb.13845:                            ;   in Loop: Header=BB4_12002 Depth=3
	v_ffbh_u32_e32 v5, v24
	v_min_u32_e32 v26, 32, v5
	v_subrev_u32_e32 v5, 29, v26
	v_lshlrev_b64 v[5:6], v5, v[1:2]
	v_bfe_u32 v3, v0, 18, 5
	v_sub_u32_e32 v1, 30, v26
	v_and_b32_e32 v5, 3, v5
	v_cmp_eq_u32_e32 vcc, 0, v3
	v_cndmask_b32_e32 v1, v3, v1, vcc
	v_cndmask_b32_e32 v3, v24, v5, vcc
	v_lshlrev_b32_e32 v5, 8, v0
	v_and_b32_e32 v5, 0x80000000, v5
	v_lshl_add_u32 v1, v1, 23, v5
	v_lshl_or_b32 v1, v3, 21, v1
	v_add_u32_e32 v3, 0x38000000, v1
                                        ; implicit-def: $vgpr24
                                        ; implicit-def: $vgpr1
.LBB4_13846:                            ;   in Loop: Header=BB4_12002 Depth=3
	s_andn2_saveexec_b64 s[34:35], s[34:35]
; %bb.13847:                            ;   in Loop: Header=BB4_12002 Depth=3
	v_mov_b32_e32 v3, -1
	v_cmp_gt_i16_sdwa vcc, sext(v1), v3 src0_sel:BYTE_0 src1_sel:DWORD
	v_mov_b32_e32 v1, 0xff800000
	v_mov_b32_e32 v3, 0x7f800000
	v_cndmask_b32_e32 v1, v1, v3, vcc
	v_cmp_eq_u32_e32 vcc, 0, v24
	v_mov_b32_e32 v3, 0x7f800001
	v_cndmask_b32_e32 v3, v3, v1, vcc
; %bb.13848:                            ;   in Loop: Header=BB4_12002 Depth=3
	s_or_b64 exec, exec, s[34:35]
.LBB4_13849:                            ;   in Loop: Header=BB4_12002 Depth=3
	s_or_b64 exec, exec, s[30:31]
.LBB4_13850:                            ;   in Loop: Header=BB4_12002 Depth=3
	s_or_b64 exec, exec, s[28:29]
	v_lshrrev_b32_e32 v1, 16, v10
	v_cmp_ne_u16_sdwa vcc, v1, v17 src0_sel:BYTE_0 src1_sel:DWORD
	s_and_saveexec_b64 s[28:29], vcc
	s_cbranch_execz .LBB4_13858
; %bb.13851:                            ;   in Loop: Header=BB4_12002 Depth=3
	v_cmp_ne_u16_sdwa vcc, v1, s96 src0_sel:BYTE_0 src1_sel:DWORD
	v_bfrev_b32_e32 v2, 1
	s_and_saveexec_b64 s[30:31], vcc
	s_cbranch_execz .LBB4_13857
; %bb.13852:                            ;   in Loop: Header=BB4_12002 Depth=3
	v_and_b32_e32 v2, 0x7c0000, v10
	v_bfe_u32 v24, v10, 16, 2
	v_cmp_ne_u32_e32 vcc, s44, v2
                                        ; implicit-def: $vgpr2
	s_and_saveexec_b64 s[34:35], vcc
	s_xor_b64 s[34:35], exec, s[34:35]
	s_cbranch_execz .LBB4_13854
; %bb.13853:                            ;   in Loop: Header=BB4_12002 Depth=3
	v_ffbh_u32_e32 v2, v24
	v_min_u32_e32 v6, 32, v2
	v_subrev_u32_e32 v2, 29, v6
	v_bfe_u32 v5, v10, 18, 5
	v_lshlrev_b64 v[1:2], v2, v[1:2]
	v_sub_u32_e32 v2, 30, v6
	v_cmp_eq_u32_e32 vcc, 0, v5
	v_cndmask_b32_e32 v2, v5, v2, vcc
	v_lshlrev_b32_e32 v5, 8, v10
	v_and_b32_e32 v1, 3, v1
	v_and_b32_e32 v5, 0x80000000, v5
	v_cndmask_b32_e32 v1, v24, v1, vcc
	v_lshl_add_u32 v2, v2, 23, v5
	v_lshl_or_b32 v1, v1, 21, v2
	v_add_u32_e32 v2, 0x38000000, v1
                                        ; implicit-def: $vgpr24
                                        ; implicit-def: $vgpr1
.LBB4_13854:                            ;   in Loop: Header=BB4_12002 Depth=3
	s_andn2_saveexec_b64 s[34:35], s[34:35]
; %bb.13855:                            ;   in Loop: Header=BB4_12002 Depth=3
	v_mov_b32_e32 v2, -1
	v_cmp_gt_i16_sdwa vcc, sext(v1), v2 src0_sel:BYTE_0 src1_sel:DWORD
	v_mov_b32_e32 v1, 0xff800000
	v_mov_b32_e32 v2, 0x7f800000
	v_cndmask_b32_e32 v1, v1, v2, vcc
	v_cmp_eq_u32_e32 vcc, 0, v24
	v_mov_b32_e32 v2, 0x7f800001
	v_cndmask_b32_e32 v2, v2, v1, vcc
; %bb.13856:                            ;   in Loop: Header=BB4_12002 Depth=3
	s_or_b64 exec, exec, s[34:35]
.LBB4_13857:                            ;   in Loop: Header=BB4_12002 Depth=3
	s_or_b64 exec, exec, s[30:31]
.LBB4_13858:                            ;   in Loop: Header=BB4_12002 Depth=3
	s_or_b64 exec, exec, s[28:29]
	v_add_f32_e32 v3, v3, v2
	v_and_b32_e32 v5, 0x7f800000, v3
	v_mov_b32_e32 v6, v17
	v_cmp_ne_u64_e32 vcc, s[76:77], v[5:6]
	v_and_b32_e32 v1, 0x7fffff, v3
	v_mov_b32_e32 v2, v17
                                        ; implicit-def: $vgpr24
	s_and_saveexec_b64 s[28:29], vcc
	s_xor_b64 s[30:31], exec, s[28:29]
	s_cbranch_execz .LBB4_13872
; %bb.13859:                            ;   in Loop: Header=BB4_12002 Depth=3
	v_and_b32_e32 v5, 0x7fffffff, v3
	v_mov_b32_e32 v6, v17
	v_cmp_gt_u64_e32 vcc, s[78:79], v[5:6]
	v_and_b32_sdwa v26, v3, s96 dst_sel:DWORD dst_unused:UNUSED_PAD src0_sel:BYTE_3 src1_sel:DWORD
                                        ; implicit-def: $vgpr24
	s_and_saveexec_b64 s[28:29], vcc
	s_xor_b64 s[34:35], exec, s[28:29]
	s_cbranch_execz .LBB4_13869
; %bb.13860:                            ;   in Loop: Header=BB4_12002 Depth=3
	v_mov_b32_e32 v24, 0
	v_cmp_ne_u32_e32 vcc, 0, v3
	s_and_saveexec_b64 s[36:37], vcc
	s_cbranch_execz .LBB4_13868
; %bb.13861:                            ;   in Loop: Header=BB4_12002 Depth=3
	v_bfe_u32 v24, v3, 23, 8
	v_cmp_gt_u32_e64 s[28:29], s46, v24
	v_sub_u32_e32 v3, 0x71, v24
	v_cmp_eq_u32_e32 vcc, 0, v24
	v_cndmask_b32_e64 v3, 0, v3, s[28:29]
	v_mov_b32_e32 v6, 0x70
	v_cndmask_b32_e32 v33, v3, v6, vcc
	v_or_b32_e32 v5, 0x800000, v1
	v_add_u32_e32 v3, 21, v33
	v_cndmask_b32_e32 v1, v5, v1, vcc
	v_lshlrev_b64 v[5:6], v3, -1
	v_add_u32_e32 v3, 20, v33
	v_bfi_b32 v5, v5, 0, v1
	v_lshlrev_b64 v[57:58], v3, 1
	v_lshrrev_b64 v[1:2], v33, v[1:2]
	v_bfi_b32 v6, v6, 0, 0
	v_cmp_eq_u64_e64 s[28:29], v[5:6], v[57:58]
	v_mov_b32_e32 v3, v2
	v_mov_b32_e32 v2, v1
	s_and_saveexec_b64 s[38:39], s[28:29]
; %bb.13862:                            ;   in Loop: Header=BB4_12002 Depth=3
	v_bfe_u32 v2, v1, 21, 1
	v_add_co_u32_e64 v2, s[28:29], v1, v2
	v_add_co_u32_e64 v2, s[28:29], -1, v2
; %bb.13863:                            ;   in Loop: Header=BB4_12002 Depth=3
	s_or_b64 exec, exec, s[38:39]
	v_add_u32_e32 v3, 0xffffff81, v24
	v_mov_b32_e32 v5, 0xffffff82
	v_cndmask_b32_e32 v3, v3, v5, vcc
	v_lshrrev_b32_e32 v5, 23, v1
	v_add3_u32 v33, v33, v3, v5
	v_add_u32_e32 v24, 14, v33
	v_and_b32_e32 v2, 0x1fffff, v2
	v_add_u32_e32 v1, v2, v1
	v_mov_b32_e32 v2, v17
	v_cmp_ne_u32_e32 vcc, 0, v24
                                        ; implicit-def: $vgpr3
	s_and_saveexec_b64 s[28:29], vcc
	s_xor_b64 s[28:29], exec, s[28:29]
; %bb.13864:                            ;   in Loop: Header=BB4_12002 Depth=3
	v_cmp_lt_u64_e32 vcc, s[88:89], v[1:2]
	v_add_u32_e32 v3, 15, v33
	v_cndmask_b32_e64 v5, 0, 1, vcc
	v_lshrrev_b64 v[1:2], v5, v[1:2]
	v_cndmask_b32_e32 v3, v24, v3, vcc
; %bb.13865:                            ;   in Loop: Header=BB4_12002 Depth=3
	s_andn2_saveexec_b64 s[28:29], s[28:29]
; %bb.13866:                            ;   in Loop: Header=BB4_12002 Depth=3
	v_bfe_u32 v3, v1, 23, 1
; %bb.13867:                            ;   in Loop: Header=BB4_12002 Depth=3
	s_or_b64 exec, exec, s[28:29]
	v_lshrrev_b64 v[1:2], 21, v[1:2]
	v_cmp_gt_i32_e32 vcc, 32, v3
	v_cndmask_b32_e32 v2, 0, v2, vcc
	v_cndmask_b32_e32 v1, 3, v1, vcc
	v_cmp_eq_u64_e64 s[28:29], 0, v[1:2]
	v_min_i32_e32 v2, 31, v3
	v_lshlrev_b32_e32 v2, 2, v2
	v_cmp_eq_u32_e32 vcc, 0, v3
	v_and_b32_e32 v2, 0xfc, v2
	v_and_or_b32 v1, v1, 3, v2
	s_and_b64 s[28:29], vcc, s[28:29]
	v_cndmask_b32_e64 v1, v1, 0, s[28:29]
	v_or_b32_e32 v24, v1, v26
.LBB4_13868:                            ;   in Loop: Header=BB4_12002 Depth=3
	s_or_b64 exec, exec, s[36:37]
                                        ; implicit-def: $vgpr26
.LBB4_13869:                            ;   in Loop: Header=BB4_12002 Depth=3
	s_andn2_saveexec_b64 s[28:29], s[34:35]
; %bb.13870:                            ;   in Loop: Header=BB4_12002 Depth=3
	v_or_b32_e32 v24, 0x7b, v26
; %bb.13871:                            ;   in Loop: Header=BB4_12002 Depth=3
	s_or_b64 exec, exec, s[28:29]
                                        ; implicit-def: $vgpr3
                                        ; implicit-def: $vgpr1_vgpr2
.LBB4_13872:                            ;   in Loop: Header=BB4_12002 Depth=3
	s_andn2_saveexec_b64 s[28:29], s[30:31]
	s_cbranch_execz .LBB4_13878
; %bb.13873:                            ;   in Loop: Header=BB4_12002 Depth=3
	v_cmp_ne_u64_e32 vcc, 0, v[1:2]
                                        ; implicit-def: $vgpr24
	s_and_saveexec_b64 s[30:31], vcc
	s_xor_b64 vcc, exec, s[30:31]
; %bb.13874:                            ;   in Loop: Header=BB4_12002 Depth=3
	v_or_b32_sdwa v24, v3, s47 dst_sel:DWORD dst_unused:UNUSED_PAD src0_sel:BYTE_3 src1_sel:DWORD
                                        ; implicit-def: $vgpr3
; %bb.13875:                            ;   in Loop: Header=BB4_12002 Depth=3
	s_andn2_saveexec_b64 s[30:31], vcc
; %bb.13876:                            ;   in Loop: Header=BB4_12002 Depth=3
	v_cmp_lt_i32_e32 vcc, -1, v3
	v_bfrev_b32_e32 v1, 0.5
	v_cndmask_b32_e32 v24, v1, v52, vcc
; %bb.13877:                            ;   in Loop: Header=BB4_12002 Depth=3
	s_or_b64 exec, exec, s[30:31]
.LBB4_13878:                            ;   in Loop: Header=BB4_12002 Depth=3
	s_or_b64 exec, exec, s[28:29]
	v_cmp_lt_u32_e32 vcc, s57, v0
	v_mov_b32_e32 v2, 0
	v_mov_b32_e32 v3, 0
	s_and_saveexec_b64 s[28:29], vcc
	s_cbranch_execz .LBB4_13886
; %bb.13879:                            ;   in Loop: Header=BB4_12002 Depth=3
	v_lshrrev_b32_e32 v1, 24, v0
	v_cmp_ne_u32_e32 vcc, s96, v1
	v_bfrev_b32_e32 v3, 1
	s_and_saveexec_b64 s[30:31], vcc
	s_cbranch_execz .LBB4_13885
; %bb.13880:                            ;   in Loop: Header=BB4_12002 Depth=3
	v_and_b32_e32 v3, 0x7c000000, v0
	v_bfe_u32 v26, v0, 24, 2
	v_cmp_ne_u32_e32 vcc, s45, v3
                                        ; implicit-def: $vgpr3
	s_and_saveexec_b64 s[34:35], vcc
	s_xor_b64 s[34:35], exec, s[34:35]
	s_cbranch_execz .LBB4_13882
; %bb.13881:                            ;   in Loop: Header=BB4_12002 Depth=3
	v_ffbh_u32_e32 v5, v26
	v_min_u32_e32 v28, 32, v5
	v_subrev_u32_e32 v5, 29, v28
	v_bfe_u32 v3, v0, 26, 5
	v_lshlrev_b64 v[5:6], v5, v[1:2]
	v_sub_u32_e32 v1, 30, v28
	v_cmp_eq_u32_e32 vcc, 0, v3
	v_and_b32_e32 v5, 3, v5
	v_cndmask_b32_e32 v1, v3, v1, vcc
	v_and_b32_e32 v0, 0x80000000, v0
	v_cndmask_b32_e32 v3, v26, v5, vcc
	v_lshl_add_u32 v0, v1, 23, v0
	v_lshl_or_b32 v0, v3, 21, v0
	v_add_u32_e32 v3, 0x38000000, v0
                                        ; implicit-def: $vgpr26
                                        ; implicit-def: $vgpr0_vgpr1
.LBB4_13882:                            ;   in Loop: Header=BB4_12002 Depth=3
	s_andn2_saveexec_b64 s[34:35], s[34:35]
; %bb.13883:                            ;   in Loop: Header=BB4_12002 Depth=3
	v_cmp_lt_i32_e32 vcc, -1, v0
	v_mov_b32_e32 v0, 0xff800000
	v_mov_b32_e32 v1, 0x7f800000
	v_cndmask_b32_e32 v0, v0, v1, vcc
	v_cmp_eq_u32_e32 vcc, 0, v26
	v_mov_b32_e32 v1, 0x7f800001
	v_cndmask_b32_e32 v3, v1, v0, vcc
; %bb.13884:                            ;   in Loop: Header=BB4_12002 Depth=3
	s_or_b64 exec, exec, s[34:35]
.LBB4_13885:                            ;   in Loop: Header=BB4_12002 Depth=3
	s_or_b64 exec, exec, s[30:31]
.LBB4_13886:                            ;   in Loop: Header=BB4_12002 Depth=3
	s_or_b64 exec, exec, s[28:29]
	v_cmp_lt_u32_e32 vcc, s57, v10
	s_and_saveexec_b64 s[28:29], vcc
	s_cbranch_execz .LBB4_13894
; %bb.13887:                            ;   in Loop: Header=BB4_12002 Depth=3
	v_lshrrev_b32_e32 v0, 24, v10
	v_cmp_ne_u32_e32 vcc, s96, v0
	v_bfrev_b32_e32 v2, 1
	s_and_saveexec_b64 s[30:31], vcc
	s_cbranch_execz .LBB4_13893
; %bb.13888:                            ;   in Loop: Header=BB4_12002 Depth=3
	v_and_b32_e32 v2, 0x7c000000, v10
	v_bfe_u32 v1, v10, 24, 2
	v_cmp_ne_u32_e32 vcc, s45, v2
                                        ; implicit-def: $vgpr2
	s_and_saveexec_b64 s[34:35], vcc
	s_xor_b64 s[34:35], exec, s[34:35]
	s_cbranch_execz .LBB4_13890
; %bb.13889:                            ;   in Loop: Header=BB4_12002 Depth=3
	v_ffbh_u32_e32 v5, v1
	v_min_u32_e32 v26, 32, v5
	v_subrev_u32_e32 v5, 29, v26
	v_bfe_u32 v2, v10, 26, 5
	v_lshlrev_b64 v[5:6], v5, v[0:1]
	v_sub_u32_e32 v0, 30, v26
	v_cmp_eq_u32_e32 vcc, 0, v2
	v_and_b32_e32 v5, 3, v5
	v_cndmask_b32_e32 v0, v2, v0, vcc
	v_and_b32_e32 v2, 0x80000000, v10
	v_cndmask_b32_e32 v1, v1, v5, vcc
	v_lshl_add_u32 v0, v0, 23, v2
	v_lshl_or_b32 v0, v1, 21, v0
	v_add_u32_e32 v2, 0x38000000, v0
                                        ; implicit-def: $vgpr1
.LBB4_13890:                            ;   in Loop: Header=BB4_12002 Depth=3
	s_andn2_saveexec_b64 s[34:35], s[34:35]
; %bb.13891:                            ;   in Loop: Header=BB4_12002 Depth=3
	v_cmp_lt_i32_e32 vcc, -1, v10
	v_mov_b32_e32 v0, 0xff800000
	v_mov_b32_e32 v2, 0x7f800000
	v_cndmask_b32_e32 v0, v0, v2, vcc
	v_cmp_eq_u32_e32 vcc, 0, v1
	v_mov_b32_e32 v1, 0x7f800001
	v_cndmask_b32_e32 v2, v1, v0, vcc
; %bb.13892:                            ;   in Loop: Header=BB4_12002 Depth=3
	s_or_b64 exec, exec, s[34:35]
.LBB4_13893:                            ;   in Loop: Header=BB4_12002 Depth=3
	s_or_b64 exec, exec, s[30:31]
.LBB4_13894:                            ;   in Loop: Header=BB4_12002 Depth=3
	s_or_b64 exec, exec, s[28:29]
	v_add_f32_e32 v2, v3, v2
	v_and_b32_e32 v5, 0x7f800000, v2
	v_mov_b32_e32 v6, v17
	v_cmp_ne_u64_e32 vcc, s[76:77], v[5:6]
	v_and_b32_e32 v0, 0x7fffff, v2
	v_mov_b32_e32 v1, v17
                                        ; implicit-def: $vgpr26
	s_and_saveexec_b64 s[28:29], vcc
	s_xor_b64 s[30:31], exec, s[28:29]
	s_cbranch_execz .LBB4_13908
; %bb.13895:                            ;   in Loop: Header=BB4_12002 Depth=3
	v_and_b32_e32 v5, 0x7fffffff, v2
	v_mov_b32_e32 v6, v17
	v_cmp_gt_u64_e32 vcc, s[78:79], v[5:6]
	v_and_b32_sdwa v3, v2, s96 dst_sel:DWORD dst_unused:UNUSED_PAD src0_sel:BYTE_3 src1_sel:DWORD
                                        ; implicit-def: $vgpr26
	s_and_saveexec_b64 s[28:29], vcc
	s_xor_b64 s[34:35], exec, s[28:29]
	s_cbranch_execz .LBB4_13905
; %bb.13896:                            ;   in Loop: Header=BB4_12002 Depth=3
	v_mov_b32_e32 v26, 0
	v_cmp_ne_u32_e32 vcc, 0, v2
	s_and_saveexec_b64 s[36:37], vcc
	s_cbranch_execz .LBB4_13904
; %bb.13897:                            ;   in Loop: Header=BB4_12002 Depth=3
	v_bfe_u32 v26, v2, 23, 8
	v_cmp_gt_u32_e64 s[28:29], s46, v26
	v_sub_u32_e32 v2, 0x71, v26
	v_cmp_eq_u32_e32 vcc, 0, v26
	v_cndmask_b32_e64 v2, 0, v2, s[28:29]
	v_mov_b32_e32 v6, 0x70
	v_cndmask_b32_e32 v33, v2, v6, vcc
	v_or_b32_e32 v5, 0x800000, v0
	v_add_u32_e32 v2, 21, v33
	v_cndmask_b32_e32 v0, v5, v0, vcc
	v_lshlrev_b64 v[5:6], v2, -1
	v_add_u32_e32 v2, 20, v33
	v_bfi_b32 v5, v5, 0, v0
	v_lshlrev_b64 v[57:58], v2, 1
	v_lshrrev_b64 v[0:1], v33, v[0:1]
	v_bfi_b32 v6, v6, 0, 0
	v_cmp_eq_u64_e64 s[28:29], v[5:6], v[57:58]
	v_mov_b32_e32 v2, v1
	v_mov_b32_e32 v1, v0
	s_and_saveexec_b64 s[38:39], s[28:29]
; %bb.13898:                            ;   in Loop: Header=BB4_12002 Depth=3
	v_bfe_u32 v1, v0, 21, 1
	v_add_co_u32_e64 v1, s[28:29], v0, v1
	v_add_co_u32_e64 v1, s[28:29], -1, v1
; %bb.13899:                            ;   in Loop: Header=BB4_12002 Depth=3
	s_or_b64 exec, exec, s[38:39]
	v_add_u32_e32 v2, 0xffffff81, v26
	v_mov_b32_e32 v5, 0xffffff82
	v_cndmask_b32_e32 v2, v2, v5, vcc
	v_lshrrev_b32_e32 v5, 23, v0
	v_add3_u32 v33, v33, v2, v5
	v_add_u32_e32 v26, 14, v33
	v_and_b32_e32 v1, 0x1fffff, v1
	v_add_u32_e32 v0, v1, v0
	v_mov_b32_e32 v1, v17
	v_cmp_ne_u32_e32 vcc, 0, v26
                                        ; implicit-def: $vgpr2
	s_and_saveexec_b64 s[28:29], vcc
	s_xor_b64 s[28:29], exec, s[28:29]
; %bb.13900:                            ;   in Loop: Header=BB4_12002 Depth=3
	v_cmp_lt_u64_e32 vcc, s[88:89], v[0:1]
	v_add_u32_e32 v2, 15, v33
	v_cndmask_b32_e64 v5, 0, 1, vcc
	v_lshrrev_b64 v[0:1], v5, v[0:1]
	v_cndmask_b32_e32 v2, v26, v2, vcc
; %bb.13901:                            ;   in Loop: Header=BB4_12002 Depth=3
	s_andn2_saveexec_b64 s[28:29], s[28:29]
; %bb.13902:                            ;   in Loop: Header=BB4_12002 Depth=3
	v_bfe_u32 v2, v0, 23, 1
; %bb.13903:                            ;   in Loop: Header=BB4_12002 Depth=3
	s_or_b64 exec, exec, s[28:29]
	v_lshrrev_b64 v[0:1], 21, v[0:1]
	v_cmp_gt_i32_e32 vcc, 32, v2
	v_cndmask_b32_e32 v1, 0, v1, vcc
	v_cndmask_b32_e32 v0, 3, v0, vcc
	v_cmp_eq_u64_e64 s[28:29], 0, v[0:1]
	v_min_i32_e32 v1, 31, v2
	v_lshlrev_b32_e32 v1, 2, v1
	v_cmp_eq_u32_e32 vcc, 0, v2
	v_and_b32_e32 v1, 0xfc, v1
	v_and_or_b32 v0, v0, 3, v1
	s_and_b64 s[28:29], vcc, s[28:29]
	v_cndmask_b32_e64 v0, v0, 0, s[28:29]
	v_or_b32_e32 v26, v0, v3
.LBB4_13904:                            ;   in Loop: Header=BB4_12002 Depth=3
	s_or_b64 exec, exec, s[36:37]
                                        ; implicit-def: $vgpr3
.LBB4_13905:                            ;   in Loop: Header=BB4_12002 Depth=3
	s_andn2_saveexec_b64 s[28:29], s[34:35]
; %bb.13906:                            ;   in Loop: Header=BB4_12002 Depth=3
	v_or_b32_e32 v26, 0x7b, v3
; %bb.13907:                            ;   in Loop: Header=BB4_12002 Depth=3
	s_or_b64 exec, exec, s[28:29]
                                        ; implicit-def: $vgpr2
                                        ; implicit-def: $vgpr0_vgpr1
.LBB4_13908:                            ;   in Loop: Header=BB4_12002 Depth=3
	s_andn2_saveexec_b64 s[28:29], s[30:31]
	s_cbranch_execz .LBB4_13914
; %bb.13909:                            ;   in Loop: Header=BB4_12002 Depth=3
	v_cmp_ne_u64_e32 vcc, 0, v[0:1]
                                        ; implicit-def: $vgpr26
	s_and_saveexec_b64 s[30:31], vcc
	s_xor_b64 vcc, exec, s[30:31]
; %bb.13910:                            ;   in Loop: Header=BB4_12002 Depth=3
	v_or_b32_sdwa v26, v2, s47 dst_sel:DWORD dst_unused:UNUSED_PAD src0_sel:BYTE_3 src1_sel:DWORD
                                        ; implicit-def: $vgpr2
; %bb.13911:                            ;   in Loop: Header=BB4_12002 Depth=3
	s_andn2_saveexec_b64 s[30:31], vcc
; %bb.13912:                            ;   in Loop: Header=BB4_12002 Depth=3
	v_cmp_lt_i32_e32 vcc, -1, v2
	v_bfrev_b32_e32 v0, 0.5
	v_cndmask_b32_e32 v26, v0, v52, vcc
; %bb.13913:                            ;   in Loop: Header=BB4_12002 Depth=3
	s_or_b64 exec, exec, s[30:31]
.LBB4_13914:                            ;   in Loop: Header=BB4_12002 Depth=3
	s_or_b64 exec, exec, s[28:29]
	v_lshlrev_b32_e32 v0, 24, v27
	v_lshlrev_b32_e32 v1, 16, v23
	v_lshl_or_b32 v20, v20, 8, v16
	v_or3_b32 v0, v1, v0, v20
	v_mov_b32_e32 v1, v17
	v_cmp_ne_u32_e32 vcc, 0, v16
	v_mov_b32_e32 v2, 0
	v_mov_b32_e32 v3, 0
	s_and_saveexec_b64 s[30:31], vcc
	s_cbranch_execz .LBB4_13922
; %bb.13915:                            ;   in Loop: Header=BB4_12002 Depth=3
	v_cmp_ne_u32_e32 vcc, s96, v16
	v_bfrev_b32_e32 v3, 1
	s_and_saveexec_b64 s[34:35], vcc
	s_cbranch_execz .LBB4_13921
; %bb.13916:                            ;   in Loop: Header=BB4_12002 Depth=3
	v_and_b32_e32 v3, 0x7c, v16
	v_and_b32_e32 v23, 3, v16
	v_cmp_ne_u32_e32 vcc, s85, v3
                                        ; implicit-def: $vgpr3
	s_and_saveexec_b64 s[28:29], vcc
	s_xor_b64 s[28:29], exec, s[28:29]
	s_cbranch_execz .LBB4_13918
; %bb.13917:                            ;   in Loop: Header=BB4_12002 Depth=3
	v_ffbh_u32_e32 v5, v23
	v_min_u32_e32 v27, 32, v5
	v_subrev_u32_e32 v5, 29, v27
	v_lshlrev_b64 v[5:6], v5, v[0:1]
	v_bfe_u32 v3, v16, 2, 5
	v_sub_u32_e32 v1, 30, v27
	v_and_b32_e32 v5, 3, v5
	v_cmp_eq_u32_e32 vcc, 0, v3
	v_cndmask_b32_e32 v1, v3, v1, vcc
	v_cndmask_b32_e32 v3, v23, v5, vcc
	v_lshlrev_b32_e32 v5, 24, v16
	v_and_b32_e32 v5, 0x80000000, v5
	v_lshl_add_u32 v1, v1, 23, v5
	v_lshl_or_b32 v1, v3, 21, v1
	v_add_u32_e32 v3, 0x38000000, v1
                                        ; implicit-def: $vgpr23
                                        ; implicit-def: $vgpr16
.LBB4_13918:                            ;   in Loop: Header=BB4_12002 Depth=3
	s_andn2_saveexec_b64 s[36:37], s[28:29]
; %bb.13919:                            ;   in Loop: Header=BB4_12002 Depth=3
	v_and_b32_e32 v1, 0x80, v16
	v_cmp_eq_u32_e64 s[28:29], 0, v1
	v_mov_b32_e32 v1, 0xff800000
	v_mov_b32_e32 v3, 0x7f800000
	v_cmp_eq_u32_e32 vcc, 0, v23
	v_cndmask_b32_e64 v1, v1, v3, s[28:29]
	v_mov_b32_e32 v3, 0x7f800001
	v_cndmask_b32_e32 v3, v3, v1, vcc
; %bb.13920:                            ;   in Loop: Header=BB4_12002 Depth=3
	s_or_b64 exec, exec, s[36:37]
.LBB4_13921:                            ;   in Loop: Header=BB4_12002 Depth=3
	s_or_b64 exec, exec, s[34:35]
.LBB4_13922:                            ;   in Loop: Header=BB4_12002 Depth=3
	s_or_b64 exec, exec, s[30:31]
	v_cmp_ne_u16_sdwa vcc, v11, v17 src0_sel:BYTE_0 src1_sel:DWORD
	s_and_saveexec_b64 s[28:29], vcc
	s_cbranch_execz .LBB4_13930
; %bb.13923:                            ;   in Loop: Header=BB4_12002 Depth=3
	v_cmp_ne_u16_sdwa vcc, v11, s96 src0_sel:BYTE_0 src1_sel:DWORD
	v_bfrev_b32_e32 v2, 1
	s_and_saveexec_b64 s[30:31], vcc
	s_cbranch_execz .LBB4_13929
; %bb.13924:                            ;   in Loop: Header=BB4_12002 Depth=3
	v_and_b32_e32 v2, 0x7c, v11
	v_and_b32_e32 v1, 3, v11
	v_cmp_ne_u32_e32 vcc, s85, v2
                                        ; implicit-def: $vgpr2
	s_and_saveexec_b64 s[34:35], vcc
	s_xor_b64 s[34:35], exec, s[34:35]
	s_cbranch_execz .LBB4_13926
; %bb.13925:                            ;   in Loop: Header=BB4_12002 Depth=3
	v_ffbh_u32_e32 v16, v1
	v_min_u32_e32 v16, 32, v16
	v_mov_b32_e32 v5, v11
	v_mov_b32_e32 v6, v17
	v_subrev_u32_e32 v23, 29, v16
	v_lshlrev_b64 v[5:6], v23, v[5:6]
	v_bfe_u32 v2, v11, 2, 5
	v_and_b32_e32 v5, 3, v5
	v_cmp_eq_u32_e32 vcc, 0, v2
	v_sub_u32_e32 v6, 30, v16
	v_cndmask_b32_e32 v1, v1, v5, vcc
	v_lshlrev_b32_e32 v5, 24, v11
	v_cndmask_b32_e32 v2, v2, v6, vcc
	v_and_b32_e32 v5, 0x80000000, v5
	v_lshl_add_u32 v2, v2, 23, v5
	v_lshl_or_b32 v1, v1, 21, v2
	v_add_u32_e32 v2, 0x38000000, v1
                                        ; implicit-def: $vgpr1
.LBB4_13926:                            ;   in Loop: Header=BB4_12002 Depth=3
	s_andn2_saveexec_b64 s[34:35], s[34:35]
; %bb.13927:                            ;   in Loop: Header=BB4_12002 Depth=3
	v_mov_b32_e32 v2, -1
	v_cmp_gt_i16_sdwa vcc, sext(v11), v2 src0_sel:BYTE_0 src1_sel:DWORD
	v_mov_b32_e32 v2, 0xff800000
	v_mov_b32_e32 v5, 0x7f800000
	v_cndmask_b32_e32 v2, v2, v5, vcc
	v_cmp_eq_u32_e32 vcc, 0, v1
	v_mov_b32_e32 v1, 0x7f800001
	v_cndmask_b32_e32 v2, v1, v2, vcc
; %bb.13928:                            ;   in Loop: Header=BB4_12002 Depth=3
	s_or_b64 exec, exec, s[34:35]
.LBB4_13929:                            ;   in Loop: Header=BB4_12002 Depth=3
	s_or_b64 exec, exec, s[30:31]
.LBB4_13930:                            ;   in Loop: Header=BB4_12002 Depth=3
	s_or_b64 exec, exec, s[28:29]
	v_add_f32_e32 v3, v3, v2
	v_and_b32_e32 v5, 0x7f800000, v3
	v_mov_b32_e32 v6, v17
	v_cmp_ne_u64_e32 vcc, s[76:77], v[5:6]
	v_and_b32_e32 v1, 0x7fffff, v3
	v_mov_b32_e32 v2, v17
                                        ; implicit-def: $vgpr16
	s_and_saveexec_b64 s[28:29], vcc
	s_xor_b64 s[30:31], exec, s[28:29]
	s_cbranch_execz .LBB4_13944
; %bb.13931:                            ;   in Loop: Header=BB4_12002 Depth=3
	v_and_b32_e32 v5, 0x7fffffff, v3
	v_mov_b32_e32 v6, v17
	v_cmp_gt_u64_e32 vcc, s[78:79], v[5:6]
	v_and_b32_sdwa v23, v3, s96 dst_sel:DWORD dst_unused:UNUSED_PAD src0_sel:BYTE_3 src1_sel:DWORD
                                        ; implicit-def: $vgpr16
	s_and_saveexec_b64 s[28:29], vcc
	s_xor_b64 s[34:35], exec, s[28:29]
	s_cbranch_execz .LBB4_13941
; %bb.13932:                            ;   in Loop: Header=BB4_12002 Depth=3
	v_mov_b32_e32 v16, 0
	v_cmp_ne_u32_e32 vcc, 0, v3
	s_and_saveexec_b64 s[36:37], vcc
	s_cbranch_execz .LBB4_13940
; %bb.13933:                            ;   in Loop: Header=BB4_12002 Depth=3
	v_bfe_u32 v16, v3, 23, 8
	v_cmp_gt_u32_e64 s[28:29], s46, v16
	v_sub_u32_e32 v3, 0x71, v16
	v_cmp_eq_u32_e32 vcc, 0, v16
	v_cndmask_b32_e64 v3, 0, v3, s[28:29]
	v_mov_b32_e32 v6, 0x70
	v_cndmask_b32_e32 v27, v3, v6, vcc
	v_or_b32_e32 v5, 0x800000, v1
	v_add_u32_e32 v3, 21, v27
	v_cndmask_b32_e32 v1, v5, v1, vcc
	v_lshlrev_b64 v[5:6], v3, -1
	v_add_u32_e32 v3, 20, v27
	v_bfi_b32 v5, v5, 0, v1
	v_lshlrev_b64 v[57:58], v3, 1
	v_lshrrev_b64 v[1:2], v27, v[1:2]
	v_bfi_b32 v6, v6, 0, 0
	v_cmp_eq_u64_e64 s[28:29], v[5:6], v[57:58]
	v_mov_b32_e32 v3, v2
	v_mov_b32_e32 v2, v1
	s_and_saveexec_b64 s[38:39], s[28:29]
; %bb.13934:                            ;   in Loop: Header=BB4_12002 Depth=3
	v_bfe_u32 v2, v1, 21, 1
	v_add_co_u32_e64 v2, s[28:29], v1, v2
	v_add_co_u32_e64 v2, s[28:29], -1, v2
; %bb.13935:                            ;   in Loop: Header=BB4_12002 Depth=3
	s_or_b64 exec, exec, s[38:39]
	v_add_u32_e32 v3, 0xffffff81, v16
	v_mov_b32_e32 v5, 0xffffff82
	v_cndmask_b32_e32 v3, v3, v5, vcc
	v_lshrrev_b32_e32 v5, 23, v1
	v_add3_u32 v27, v27, v3, v5
	v_add_u32_e32 v16, 14, v27
	v_and_b32_e32 v2, 0x1fffff, v2
	v_add_u32_e32 v1, v2, v1
	v_mov_b32_e32 v2, v17
	v_cmp_ne_u32_e32 vcc, 0, v16
                                        ; implicit-def: $vgpr3
	s_and_saveexec_b64 s[28:29], vcc
	s_xor_b64 s[28:29], exec, s[28:29]
; %bb.13936:                            ;   in Loop: Header=BB4_12002 Depth=3
	v_cmp_lt_u64_e32 vcc, s[88:89], v[1:2]
	v_add_u32_e32 v3, 15, v27
	v_cndmask_b32_e64 v5, 0, 1, vcc
	v_lshrrev_b64 v[1:2], v5, v[1:2]
	v_cndmask_b32_e32 v3, v16, v3, vcc
; %bb.13937:                            ;   in Loop: Header=BB4_12002 Depth=3
	s_andn2_saveexec_b64 s[28:29], s[28:29]
; %bb.13938:                            ;   in Loop: Header=BB4_12002 Depth=3
	v_bfe_u32 v3, v1, 23, 1
; %bb.13939:                            ;   in Loop: Header=BB4_12002 Depth=3
	s_or_b64 exec, exec, s[28:29]
	v_lshrrev_b64 v[1:2], 21, v[1:2]
	v_cmp_gt_i32_e32 vcc, 32, v3
	v_cndmask_b32_e32 v2, 0, v2, vcc
	v_cndmask_b32_e32 v1, 3, v1, vcc
	v_cmp_eq_u64_e64 s[28:29], 0, v[1:2]
	v_min_i32_e32 v2, 31, v3
	v_lshlrev_b32_e32 v2, 2, v2
	v_cmp_eq_u32_e32 vcc, 0, v3
	v_and_b32_e32 v2, 0xfc, v2
	v_and_or_b32 v1, v1, 3, v2
	s_and_b64 s[28:29], vcc, s[28:29]
	v_cndmask_b32_e64 v1, v1, 0, s[28:29]
	v_or_b32_e32 v16, v1, v23
.LBB4_13940:                            ;   in Loop: Header=BB4_12002 Depth=3
	s_or_b64 exec, exec, s[36:37]
                                        ; implicit-def: $vgpr23
.LBB4_13941:                            ;   in Loop: Header=BB4_12002 Depth=3
	s_andn2_saveexec_b64 s[28:29], s[34:35]
; %bb.13942:                            ;   in Loop: Header=BB4_12002 Depth=3
	v_or_b32_e32 v16, 0x7b, v23
; %bb.13943:                            ;   in Loop: Header=BB4_12002 Depth=3
	s_or_b64 exec, exec, s[28:29]
                                        ; implicit-def: $vgpr3
                                        ; implicit-def: $vgpr1_vgpr2
.LBB4_13944:                            ;   in Loop: Header=BB4_12002 Depth=3
	s_andn2_saveexec_b64 s[28:29], s[30:31]
	s_cbranch_execz .LBB4_13950
; %bb.13945:                            ;   in Loop: Header=BB4_12002 Depth=3
	v_cmp_ne_u64_e32 vcc, 0, v[1:2]
                                        ; implicit-def: $vgpr16
	s_and_saveexec_b64 s[30:31], vcc
	s_xor_b64 vcc, exec, s[30:31]
; %bb.13946:                            ;   in Loop: Header=BB4_12002 Depth=3
	v_or_b32_sdwa v16, v3, s47 dst_sel:DWORD dst_unused:UNUSED_PAD src0_sel:BYTE_3 src1_sel:DWORD
                                        ; implicit-def: $vgpr3
; %bb.13947:                            ;   in Loop: Header=BB4_12002 Depth=3
	s_andn2_saveexec_b64 s[30:31], vcc
; %bb.13948:                            ;   in Loop: Header=BB4_12002 Depth=3
	v_cmp_lt_i32_e32 vcc, -1, v3
	v_bfrev_b32_e32 v1, 0.5
	v_cndmask_b32_e32 v16, v1, v52, vcc
; %bb.13949:                            ;   in Loop: Header=BB4_12002 Depth=3
	s_or_b64 exec, exec, s[30:31]
.LBB4_13950:                            ;   in Loop: Header=BB4_12002 Depth=3
	s_or_b64 exec, exec, s[28:29]
	v_lshrrev_b16_e32 v1, 8, v20
	v_cmp_ne_u16_e32 vcc, 0, v1
	v_mov_b32_e32 v3, 0
	v_mov_b32_e32 v23, 0
	s_and_saveexec_b64 s[28:29], vcc
	s_cbranch_execz .LBB4_13958
; %bb.13951:                            ;   in Loop: Header=BB4_12002 Depth=3
	v_cmp_ne_u16_e32 vcc, s96, v1
	v_bfrev_b32_e32 v23, 1
	s_and_saveexec_b64 s[30:31], vcc
	s_cbranch_execz .LBB4_13957
; %bb.13952:                            ;   in Loop: Header=BB4_12002 Depth=3
	v_and_b32_e32 v2, 0x7c, v1
	v_and_b32_e32 v27, 3, v1
	v_cmp_ne_u32_e32 vcc, s85, v2
                                        ; implicit-def: $vgpr23
	s_and_saveexec_b64 s[34:35], vcc
	s_xor_b64 s[34:35], exec, s[34:35]
	s_cbranch_execz .LBB4_13954
; %bb.13953:                            ;   in Loop: Header=BB4_12002 Depth=3
	v_ffbh_u32_e32 v6, v27
	v_min_u32_e32 v6, 32, v6
	v_mov_b32_e32 v2, v17
	v_subrev_u32_e32 v23, 29, v6
	v_bfe_u32 v5, v1, 2, 5
	v_lshlrev_b64 v[1:2], v23, v[1:2]
	v_sub_u32_e32 v2, 30, v6
	v_cmp_eq_u32_e32 vcc, 0, v5
	v_cndmask_b32_e32 v2, v5, v2, vcc
	v_lshlrev_b32_e32 v5, 16, v20
	v_and_b32_e32 v1, 3, v1
	v_and_b32_e32 v5, 0x80000000, v5
	v_cndmask_b32_e32 v1, v27, v1, vcc
	v_lshl_add_u32 v2, v2, 23, v5
	v_lshl_or_b32 v1, v1, 21, v2
	v_add_u32_e32 v23, 0x38000000, v1
                                        ; implicit-def: $vgpr27
                                        ; implicit-def: $vgpr20
.LBB4_13954:                            ;   in Loop: Header=BB4_12002 Depth=3
	s_andn2_saveexec_b64 s[34:35], s[34:35]
; %bb.13955:                            ;   in Loop: Header=BB4_12002 Depth=3
	v_cmp_lt_i16_e32 vcc, -1, v20
	v_mov_b32_e32 v1, 0xff800000
	v_mov_b32_e32 v2, 0x7f800000
	v_cndmask_b32_e32 v1, v1, v2, vcc
	v_cmp_eq_u32_e32 vcc, 0, v27
	v_mov_b32_e32 v2, 0x7f800001
	v_cndmask_b32_e32 v23, v2, v1, vcc
; %bb.13956:                            ;   in Loop: Header=BB4_12002 Depth=3
	s_or_b64 exec, exec, s[34:35]
.LBB4_13957:                            ;   in Loop: Header=BB4_12002 Depth=3
	s_or_b64 exec, exec, s[30:31]
.LBB4_13958:                            ;   in Loop: Header=BB4_12002 Depth=3
	s_or_b64 exec, exec, s[28:29]
	v_lshrrev_b16_e32 v1, 8, v11
	v_cmp_ne_u16_e32 vcc, 0, v1
	s_and_saveexec_b64 s[28:29], vcc
	s_cbranch_execz .LBB4_13966
; %bb.13959:                            ;   in Loop: Header=BB4_12002 Depth=3
	v_cmp_ne_u16_e32 vcc, s96, v1
	v_bfrev_b32_e32 v3, 1
	s_and_saveexec_b64 s[30:31], vcc
	s_cbranch_execz .LBB4_13965
; %bb.13960:                            ;   in Loop: Header=BB4_12002 Depth=3
	v_and_b32_e32 v2, 0x7c, v1
	v_and_b32_e32 v20, 3, v1
	v_cmp_ne_u32_e32 vcc, s85, v2
                                        ; implicit-def: $vgpr3
	s_and_saveexec_b64 s[34:35], vcc
	s_xor_b64 s[34:35], exec, s[34:35]
	s_cbranch_execz .LBB4_13962
; %bb.13961:                            ;   in Loop: Header=BB4_12002 Depth=3
	v_ffbh_u32_e32 v5, v20
	v_min_u32_e32 v5, 32, v5
	v_mov_b32_e32 v2, v17
	v_subrev_u32_e32 v6, 29, v5
	v_bfe_u32 v3, v1, 2, 5
	v_lshlrev_b64 v[1:2], v6, v[1:2]
	v_sub_u32_e32 v2, 30, v5
	v_cmp_eq_u32_e32 vcc, 0, v3
	v_cndmask_b32_e32 v2, v3, v2, vcc
	v_lshlrev_b32_e32 v3, 16, v11
	v_and_b32_e32 v1, 3, v1
	v_and_b32_e32 v3, 0x80000000, v3
	v_cndmask_b32_e32 v1, v20, v1, vcc
	v_lshl_add_u32 v2, v2, 23, v3
	v_lshl_or_b32 v1, v1, 21, v2
	v_add_u32_e32 v3, 0x38000000, v1
                                        ; implicit-def: $vgpr20
.LBB4_13962:                            ;   in Loop: Header=BB4_12002 Depth=3
	s_andn2_saveexec_b64 s[34:35], s[34:35]
; %bb.13963:                            ;   in Loop: Header=BB4_12002 Depth=3
	v_cmp_lt_i16_e32 vcc, -1, v11
	v_mov_b32_e32 v1, 0xff800000
	v_mov_b32_e32 v2, 0x7f800000
	v_cndmask_b32_e32 v1, v1, v2, vcc
	v_cmp_eq_u32_e32 vcc, 0, v20
	v_mov_b32_e32 v2, 0x7f800001
	v_cndmask_b32_e32 v3, v2, v1, vcc
; %bb.13964:                            ;   in Loop: Header=BB4_12002 Depth=3
	s_or_b64 exec, exec, s[34:35]
.LBB4_13965:                            ;   in Loop: Header=BB4_12002 Depth=3
	s_or_b64 exec, exec, s[30:31]
.LBB4_13966:                            ;   in Loop: Header=BB4_12002 Depth=3
	s_or_b64 exec, exec, s[28:29]
	v_add_f32_e32 v3, v23, v3
	v_and_b32_e32 v5, 0x7f800000, v3
	v_mov_b32_e32 v6, v17
	v_cmp_ne_u64_e32 vcc, s[76:77], v[5:6]
	v_and_b32_e32 v1, 0x7fffff, v3
	v_mov_b32_e32 v2, v17
                                        ; implicit-def: $vgpr20
	s_and_saveexec_b64 s[28:29], vcc
	s_xor_b64 s[30:31], exec, s[28:29]
	s_cbranch_execz .LBB4_13980
; %bb.13967:                            ;   in Loop: Header=BB4_12002 Depth=3
	v_and_b32_e32 v5, 0x7fffffff, v3
	v_mov_b32_e32 v6, v17
	v_cmp_gt_u64_e32 vcc, s[78:79], v[5:6]
	v_and_b32_sdwa v23, v3, s96 dst_sel:DWORD dst_unused:UNUSED_PAD src0_sel:BYTE_3 src1_sel:DWORD
                                        ; implicit-def: $vgpr20
	s_and_saveexec_b64 s[28:29], vcc
	s_xor_b64 s[34:35], exec, s[28:29]
	s_cbranch_execz .LBB4_13977
; %bb.13968:                            ;   in Loop: Header=BB4_12002 Depth=3
	v_mov_b32_e32 v20, 0
	v_cmp_ne_u32_e32 vcc, 0, v3
	s_and_saveexec_b64 s[36:37], vcc
	s_cbranch_execz .LBB4_13976
; %bb.13969:                            ;   in Loop: Header=BB4_12002 Depth=3
	v_bfe_u32 v20, v3, 23, 8
	v_cmp_gt_u32_e64 s[28:29], s46, v20
	v_sub_u32_e32 v3, 0x71, v20
	v_cmp_eq_u32_e32 vcc, 0, v20
	v_cndmask_b32_e64 v3, 0, v3, s[28:29]
	v_mov_b32_e32 v6, 0x70
	v_cndmask_b32_e32 v27, v3, v6, vcc
	v_or_b32_e32 v5, 0x800000, v1
	v_add_u32_e32 v3, 21, v27
	v_cndmask_b32_e32 v1, v5, v1, vcc
	v_lshlrev_b64 v[5:6], v3, -1
	v_add_u32_e32 v3, 20, v27
	v_bfi_b32 v5, v5, 0, v1
	v_lshlrev_b64 v[57:58], v3, 1
	v_lshrrev_b64 v[1:2], v27, v[1:2]
	v_bfi_b32 v6, v6, 0, 0
	v_cmp_eq_u64_e64 s[28:29], v[5:6], v[57:58]
	v_mov_b32_e32 v3, v2
	v_mov_b32_e32 v2, v1
	s_and_saveexec_b64 s[38:39], s[28:29]
; %bb.13970:                            ;   in Loop: Header=BB4_12002 Depth=3
	v_bfe_u32 v2, v1, 21, 1
	v_add_co_u32_e64 v2, s[28:29], v1, v2
	v_add_co_u32_e64 v2, s[28:29], -1, v2
; %bb.13971:                            ;   in Loop: Header=BB4_12002 Depth=3
	s_or_b64 exec, exec, s[38:39]
	v_add_u32_e32 v3, 0xffffff81, v20
	v_mov_b32_e32 v5, 0xffffff82
	v_cndmask_b32_e32 v3, v3, v5, vcc
	v_lshrrev_b32_e32 v5, 23, v1
	v_add3_u32 v27, v27, v3, v5
	v_add_u32_e32 v20, 14, v27
	v_and_b32_e32 v2, 0x1fffff, v2
	v_add_u32_e32 v1, v2, v1
	v_mov_b32_e32 v2, v17
	v_cmp_ne_u32_e32 vcc, 0, v20
                                        ; implicit-def: $vgpr3
	s_and_saveexec_b64 s[28:29], vcc
	s_xor_b64 s[28:29], exec, s[28:29]
; %bb.13972:                            ;   in Loop: Header=BB4_12002 Depth=3
	v_cmp_lt_u64_e32 vcc, s[88:89], v[1:2]
	v_add_u32_e32 v3, 15, v27
	v_cndmask_b32_e64 v5, 0, 1, vcc
	v_lshrrev_b64 v[1:2], v5, v[1:2]
	v_cndmask_b32_e32 v3, v20, v3, vcc
; %bb.13973:                            ;   in Loop: Header=BB4_12002 Depth=3
	s_andn2_saveexec_b64 s[28:29], s[28:29]
; %bb.13974:                            ;   in Loop: Header=BB4_12002 Depth=3
	v_bfe_u32 v3, v1, 23, 1
; %bb.13975:                            ;   in Loop: Header=BB4_12002 Depth=3
	s_or_b64 exec, exec, s[28:29]
	v_lshrrev_b64 v[1:2], 21, v[1:2]
	v_cmp_gt_i32_e32 vcc, 32, v3
	v_cndmask_b32_e32 v2, 0, v2, vcc
	v_cndmask_b32_e32 v1, 3, v1, vcc
	v_cmp_eq_u64_e64 s[28:29], 0, v[1:2]
	v_min_i32_e32 v2, 31, v3
	v_lshlrev_b32_e32 v2, 2, v2
	v_cmp_eq_u32_e32 vcc, 0, v3
	v_and_b32_e32 v2, 0xfc, v2
	v_and_or_b32 v1, v1, 3, v2
	s_and_b64 s[28:29], vcc, s[28:29]
	v_cndmask_b32_e64 v1, v1, 0, s[28:29]
	v_or_b32_e32 v20, v1, v23
.LBB4_13976:                            ;   in Loop: Header=BB4_12002 Depth=3
	s_or_b64 exec, exec, s[36:37]
                                        ; implicit-def: $vgpr23
.LBB4_13977:                            ;   in Loop: Header=BB4_12002 Depth=3
	s_andn2_saveexec_b64 s[28:29], s[34:35]
; %bb.13978:                            ;   in Loop: Header=BB4_12002 Depth=3
	v_or_b32_e32 v20, 0x7b, v23
; %bb.13979:                            ;   in Loop: Header=BB4_12002 Depth=3
	s_or_b64 exec, exec, s[28:29]
                                        ; implicit-def: $vgpr3
                                        ; implicit-def: $vgpr1_vgpr2
.LBB4_13980:                            ;   in Loop: Header=BB4_12002 Depth=3
	s_andn2_saveexec_b64 s[28:29], s[30:31]
	s_cbranch_execz .LBB4_13986
; %bb.13981:                            ;   in Loop: Header=BB4_12002 Depth=3
	v_cmp_ne_u64_e32 vcc, 0, v[1:2]
                                        ; implicit-def: $vgpr20
	s_and_saveexec_b64 s[30:31], vcc
	s_xor_b64 vcc, exec, s[30:31]
; %bb.13982:                            ;   in Loop: Header=BB4_12002 Depth=3
	v_or_b32_sdwa v20, v3, s47 dst_sel:DWORD dst_unused:UNUSED_PAD src0_sel:BYTE_3 src1_sel:DWORD
                                        ; implicit-def: $vgpr3
; %bb.13983:                            ;   in Loop: Header=BB4_12002 Depth=3
	s_andn2_saveexec_b64 s[30:31], vcc
; %bb.13984:                            ;   in Loop: Header=BB4_12002 Depth=3
	v_cmp_lt_i32_e32 vcc, -1, v3
	v_bfrev_b32_e32 v1, 0.5
	v_cndmask_b32_e32 v20, v1, v52, vcc
; %bb.13985:                            ;   in Loop: Header=BB4_12002 Depth=3
	s_or_b64 exec, exec, s[30:31]
.LBB4_13986:                            ;   in Loop: Header=BB4_12002 Depth=3
	s_or_b64 exec, exec, s[28:29]
	v_and_b32_sdwa v23, v0, s87 dst_sel:DWORD dst_unused:UNUSED_PAD src0_sel:WORD_1 src1_sel:DWORD
	v_lshrrev_b32_e32 v1, 16, v0
	v_cmp_ne_u16_e32 vcc, 0, v23
	v_mov_b32_e32 v2, 0
	v_mov_b32_e32 v3, 0
	s_and_saveexec_b64 s[28:29], vcc
	s_cbranch_execz .LBB4_13994
; %bb.13987:                            ;   in Loop: Header=BB4_12002 Depth=3
	v_cmp_ne_u16_e32 vcc, s96, v23
	v_bfrev_b32_e32 v3, 1
	s_and_saveexec_b64 s[30:31], vcc
	s_cbranch_execz .LBB4_13993
; %bb.13988:                            ;   in Loop: Header=BB4_12002 Depth=3
	v_and_b32_e32 v3, 0x7c0000, v0
	v_bfe_u32 v23, v0, 16, 2
	v_cmp_ne_u32_e32 vcc, s44, v3
                                        ; implicit-def: $vgpr3
	s_and_saveexec_b64 s[34:35], vcc
	s_xor_b64 s[34:35], exec, s[34:35]
	s_cbranch_execz .LBB4_13990
; %bb.13989:                            ;   in Loop: Header=BB4_12002 Depth=3
	v_ffbh_u32_e32 v5, v23
	v_min_u32_e32 v27, 32, v5
	v_subrev_u32_e32 v5, 29, v27
	v_lshlrev_b64 v[5:6], v5, v[1:2]
	v_bfe_u32 v3, v0, 18, 5
	v_sub_u32_e32 v1, 30, v27
	v_and_b32_e32 v5, 3, v5
	v_cmp_eq_u32_e32 vcc, 0, v3
	v_cndmask_b32_e32 v1, v3, v1, vcc
	v_cndmask_b32_e32 v3, v23, v5, vcc
	v_lshlrev_b32_e32 v5, 8, v0
	v_and_b32_e32 v5, 0x80000000, v5
	v_lshl_add_u32 v1, v1, 23, v5
	v_lshl_or_b32 v1, v3, 21, v1
	v_add_u32_e32 v3, 0x38000000, v1
                                        ; implicit-def: $vgpr23
                                        ; implicit-def: $vgpr1
.LBB4_13990:                            ;   in Loop: Header=BB4_12002 Depth=3
	s_andn2_saveexec_b64 s[34:35], s[34:35]
; %bb.13991:                            ;   in Loop: Header=BB4_12002 Depth=3
	v_mov_b32_e32 v3, -1
	v_cmp_gt_i16_sdwa vcc, sext(v1), v3 src0_sel:BYTE_0 src1_sel:DWORD
	v_mov_b32_e32 v1, 0xff800000
	v_mov_b32_e32 v3, 0x7f800000
	v_cndmask_b32_e32 v1, v1, v3, vcc
	v_cmp_eq_u32_e32 vcc, 0, v23
	v_mov_b32_e32 v3, 0x7f800001
	v_cndmask_b32_e32 v3, v3, v1, vcc
; %bb.13992:                            ;   in Loop: Header=BB4_12002 Depth=3
	s_or_b64 exec, exec, s[34:35]
.LBB4_13993:                            ;   in Loop: Header=BB4_12002 Depth=3
	s_or_b64 exec, exec, s[30:31]
.LBB4_13994:                            ;   in Loop: Header=BB4_12002 Depth=3
	s_or_b64 exec, exec, s[28:29]
	v_lshrrev_b32_e32 v1, 16, v11
	v_cmp_ne_u16_sdwa vcc, v1, v17 src0_sel:BYTE_0 src1_sel:DWORD
	s_and_saveexec_b64 s[28:29], vcc
	s_cbranch_execz .LBB4_14002
; %bb.13995:                            ;   in Loop: Header=BB4_12002 Depth=3
	v_cmp_ne_u16_sdwa vcc, v1, s96 src0_sel:BYTE_0 src1_sel:DWORD
	v_bfrev_b32_e32 v2, 1
	s_and_saveexec_b64 s[30:31], vcc
	s_cbranch_execz .LBB4_14001
; %bb.13996:                            ;   in Loop: Header=BB4_12002 Depth=3
	v_and_b32_e32 v2, 0x7c0000, v11
	v_bfe_u32 v23, v11, 16, 2
	v_cmp_ne_u32_e32 vcc, s44, v2
                                        ; implicit-def: $vgpr2
	s_and_saveexec_b64 s[34:35], vcc
	s_xor_b64 s[34:35], exec, s[34:35]
	s_cbranch_execz .LBB4_13998
; %bb.13997:                            ;   in Loop: Header=BB4_12002 Depth=3
	v_ffbh_u32_e32 v2, v23
	v_min_u32_e32 v6, 32, v2
	v_subrev_u32_e32 v2, 29, v6
	v_bfe_u32 v5, v11, 18, 5
	v_lshlrev_b64 v[1:2], v2, v[1:2]
	v_sub_u32_e32 v2, 30, v6
	v_cmp_eq_u32_e32 vcc, 0, v5
	v_cndmask_b32_e32 v2, v5, v2, vcc
	v_lshlrev_b32_e32 v5, 8, v11
	v_and_b32_e32 v1, 3, v1
	v_and_b32_e32 v5, 0x80000000, v5
	v_cndmask_b32_e32 v1, v23, v1, vcc
	v_lshl_add_u32 v2, v2, 23, v5
	v_lshl_or_b32 v1, v1, 21, v2
	v_add_u32_e32 v2, 0x38000000, v1
                                        ; implicit-def: $vgpr23
                                        ; implicit-def: $vgpr1
.LBB4_13998:                            ;   in Loop: Header=BB4_12002 Depth=3
	s_andn2_saveexec_b64 s[34:35], s[34:35]
; %bb.13999:                            ;   in Loop: Header=BB4_12002 Depth=3
	v_mov_b32_e32 v2, -1
	v_cmp_gt_i16_sdwa vcc, sext(v1), v2 src0_sel:BYTE_0 src1_sel:DWORD
	v_mov_b32_e32 v1, 0xff800000
	v_mov_b32_e32 v2, 0x7f800000
	v_cndmask_b32_e32 v1, v1, v2, vcc
	v_cmp_eq_u32_e32 vcc, 0, v23
	v_mov_b32_e32 v2, 0x7f800001
	v_cndmask_b32_e32 v2, v2, v1, vcc
; %bb.14000:                            ;   in Loop: Header=BB4_12002 Depth=3
	s_or_b64 exec, exec, s[34:35]
.LBB4_14001:                            ;   in Loop: Header=BB4_12002 Depth=3
	s_or_b64 exec, exec, s[30:31]
.LBB4_14002:                            ;   in Loop: Header=BB4_12002 Depth=3
	s_or_b64 exec, exec, s[28:29]
	v_add_f32_e32 v27, v3, v2
	v_and_b32_e32 v2, 0x7f800000, v27
	v_mov_b32_e32 v3, v17
	v_cmp_ne_u64_e32 vcc, s[76:77], v[2:3]
	v_and_b32_e32 v1, 0x7fffff, v27
	v_mov_b32_e32 v2, v17
                                        ; implicit-def: $vgpr3
	s_and_saveexec_b64 s[28:29], vcc
	s_xor_b64 s[30:31], exec, s[28:29]
	s_cbranch_execz .LBB4_14016
; %bb.14003:                            ;   in Loop: Header=BB4_12002 Depth=3
	v_and_b32_e32 v5, 0x7fffffff, v27
	v_mov_b32_e32 v6, v17
	v_cmp_gt_u64_e32 vcc, s[78:79], v[5:6]
	v_and_b32_sdwa v23, v27, s96 dst_sel:DWORD dst_unused:UNUSED_PAD src0_sel:BYTE_3 src1_sel:DWORD
                                        ; implicit-def: $vgpr3
	s_and_saveexec_b64 s[28:29], vcc
	s_xor_b64 s[34:35], exec, s[28:29]
	s_cbranch_execz .LBB4_14013
; %bb.14004:                            ;   in Loop: Header=BB4_12002 Depth=3
	v_mov_b32_e32 v3, 0
	v_cmp_ne_u32_e32 vcc, 0, v27
	s_and_saveexec_b64 s[36:37], vcc
	s_cbranch_execz .LBB4_14012
; %bb.14005:                            ;   in Loop: Header=BB4_12002 Depth=3
	v_bfe_u32 v27, v27, 23, 8
	v_cmp_gt_u32_e64 s[28:29], s46, v27
	v_sub_u32_e32 v3, 0x71, v27
	v_cmp_eq_u32_e32 vcc, 0, v27
	v_cndmask_b32_e64 v3, 0, v3, s[28:29]
	v_mov_b32_e32 v6, 0x70
	v_cndmask_b32_e32 v33, v3, v6, vcc
	v_or_b32_e32 v5, 0x800000, v1
	v_add_u32_e32 v3, 21, v33
	v_cndmask_b32_e32 v1, v5, v1, vcc
	v_lshlrev_b64 v[5:6], v3, -1
	v_add_u32_e32 v3, 20, v33
	v_bfi_b32 v5, v5, 0, v1
	v_lshlrev_b64 v[57:58], v3, 1
	v_lshrrev_b64 v[1:2], v33, v[1:2]
	v_bfi_b32 v6, v6, 0, 0
	v_cmp_eq_u64_e64 s[28:29], v[5:6], v[57:58]
	v_mov_b32_e32 v3, v2
	v_mov_b32_e32 v2, v1
	s_and_saveexec_b64 s[38:39], s[28:29]
; %bb.14006:                            ;   in Loop: Header=BB4_12002 Depth=3
	v_bfe_u32 v2, v1, 21, 1
	v_add_co_u32_e64 v2, s[28:29], v1, v2
	v_add_co_u32_e64 v2, s[28:29], -1, v2
; %bb.14007:                            ;   in Loop: Header=BB4_12002 Depth=3
	s_or_b64 exec, exec, s[38:39]
	v_add_u32_e32 v3, 0xffffff81, v27
	v_mov_b32_e32 v5, 0xffffff82
	v_cndmask_b32_e32 v3, v3, v5, vcc
	v_lshrrev_b32_e32 v5, 23, v1
	v_add3_u32 v33, v33, v3, v5
	v_add_u32_e32 v27, 14, v33
	v_and_b32_e32 v2, 0x1fffff, v2
	v_add_u32_e32 v1, v2, v1
	v_mov_b32_e32 v2, v17
	v_cmp_ne_u32_e32 vcc, 0, v27
                                        ; implicit-def: $vgpr3
	s_and_saveexec_b64 s[28:29], vcc
	s_xor_b64 s[28:29], exec, s[28:29]
; %bb.14008:                            ;   in Loop: Header=BB4_12002 Depth=3
	v_cmp_lt_u64_e32 vcc, s[88:89], v[1:2]
	v_add_u32_e32 v3, 15, v33
	v_cndmask_b32_e64 v5, 0, 1, vcc
	v_lshrrev_b64 v[1:2], v5, v[1:2]
	v_cndmask_b32_e32 v3, v27, v3, vcc
; %bb.14009:                            ;   in Loop: Header=BB4_12002 Depth=3
	s_andn2_saveexec_b64 s[28:29], s[28:29]
; %bb.14010:                            ;   in Loop: Header=BB4_12002 Depth=3
	v_bfe_u32 v3, v1, 23, 1
; %bb.14011:                            ;   in Loop: Header=BB4_12002 Depth=3
	s_or_b64 exec, exec, s[28:29]
	v_lshrrev_b64 v[1:2], 21, v[1:2]
	v_cmp_gt_i32_e32 vcc, 32, v3
	v_cndmask_b32_e32 v2, 0, v2, vcc
	v_cndmask_b32_e32 v1, 3, v1, vcc
	v_cmp_eq_u64_e64 s[28:29], 0, v[1:2]
	v_min_i32_e32 v2, 31, v3
	v_lshlrev_b32_e32 v2, 2, v2
	v_cmp_eq_u32_e32 vcc, 0, v3
	v_and_b32_e32 v2, 0xfc, v2
	v_and_or_b32 v1, v1, 3, v2
	s_and_b64 s[28:29], vcc, s[28:29]
	v_cndmask_b32_e64 v1, v1, 0, s[28:29]
	v_or_b32_e32 v3, v1, v23
.LBB4_14012:                            ;   in Loop: Header=BB4_12002 Depth=3
	s_or_b64 exec, exec, s[36:37]
                                        ; implicit-def: $vgpr23
.LBB4_14013:                            ;   in Loop: Header=BB4_12002 Depth=3
	s_andn2_saveexec_b64 s[28:29], s[34:35]
; %bb.14014:                            ;   in Loop: Header=BB4_12002 Depth=3
	v_or_b32_e32 v3, 0x7b, v23
; %bb.14015:                            ;   in Loop: Header=BB4_12002 Depth=3
	s_or_b64 exec, exec, s[28:29]
                                        ; implicit-def: $vgpr27
                                        ; implicit-def: $vgpr1_vgpr2
.LBB4_14016:                            ;   in Loop: Header=BB4_12002 Depth=3
	s_andn2_saveexec_b64 s[28:29], s[30:31]
	s_cbranch_execz .LBB4_14022
; %bb.14017:                            ;   in Loop: Header=BB4_12002 Depth=3
	v_cmp_ne_u64_e32 vcc, 0, v[1:2]
                                        ; implicit-def: $vgpr3
	s_and_saveexec_b64 s[30:31], vcc
	s_xor_b64 vcc, exec, s[30:31]
; %bb.14018:                            ;   in Loop: Header=BB4_12002 Depth=3
	v_or_b32_sdwa v3, v27, s47 dst_sel:DWORD dst_unused:UNUSED_PAD src0_sel:BYTE_3 src1_sel:DWORD
                                        ; implicit-def: $vgpr27
; %bb.14019:                            ;   in Loop: Header=BB4_12002 Depth=3
	s_andn2_saveexec_b64 s[30:31], vcc
; %bb.14020:                            ;   in Loop: Header=BB4_12002 Depth=3
	v_cmp_lt_i32_e32 vcc, -1, v27
	v_bfrev_b32_e32 v1, 0.5
	v_cndmask_b32_e32 v3, v1, v52, vcc
; %bb.14021:                            ;   in Loop: Header=BB4_12002 Depth=3
	s_or_b64 exec, exec, s[30:31]
.LBB4_14022:                            ;   in Loop: Header=BB4_12002 Depth=3
	s_or_b64 exec, exec, s[28:29]
	v_cmp_lt_u32_e32 vcc, s57, v0
	v_mov_b32_e32 v2, 0
	v_mov_b32_e32 v23, 0
	s_and_saveexec_b64 s[28:29], vcc
	s_cbranch_execz .LBB4_14030
; %bb.14023:                            ;   in Loop: Header=BB4_12002 Depth=3
	v_lshrrev_b32_e32 v1, 24, v0
	v_cmp_ne_u32_e32 vcc, s96, v1
	v_bfrev_b32_e32 v23, 1
	s_and_saveexec_b64 s[30:31], vcc
	s_cbranch_execz .LBB4_14029
; %bb.14024:                            ;   in Loop: Header=BB4_12002 Depth=3
	v_and_b32_e32 v5, 0x7c000000, v0
	v_bfe_u32 v27, v0, 24, 2
	v_cmp_ne_u32_e32 vcc, s45, v5
                                        ; implicit-def: $vgpr23
	s_and_saveexec_b64 s[34:35], vcc
	s_xor_b64 s[34:35], exec, s[34:35]
	s_cbranch_execz .LBB4_14026
; %bb.14025:                            ;   in Loop: Header=BB4_12002 Depth=3
	v_ffbh_u32_e32 v5, v27
	v_min_u32_e32 v28, 32, v5
	v_subrev_u32_e32 v5, 29, v28
	v_bfe_u32 v23, v0, 26, 5
	v_lshlrev_b64 v[5:6], v5, v[1:2]
	v_sub_u32_e32 v1, 30, v28
	v_cmp_eq_u32_e32 vcc, 0, v23
	v_and_b32_e32 v5, 3, v5
	v_cndmask_b32_e32 v1, v23, v1, vcc
	v_and_b32_e32 v0, 0x80000000, v0
	v_cndmask_b32_e32 v5, v27, v5, vcc
	v_lshl_add_u32 v0, v1, 23, v0
	v_lshl_or_b32 v0, v5, 21, v0
	v_add_u32_e32 v23, 0x38000000, v0
                                        ; implicit-def: $vgpr27
                                        ; implicit-def: $vgpr0_vgpr1
.LBB4_14026:                            ;   in Loop: Header=BB4_12002 Depth=3
	s_andn2_saveexec_b64 s[34:35], s[34:35]
; %bb.14027:                            ;   in Loop: Header=BB4_12002 Depth=3
	v_cmp_lt_i32_e32 vcc, -1, v0
	v_mov_b32_e32 v0, 0xff800000
	v_mov_b32_e32 v1, 0x7f800000
	v_cndmask_b32_e32 v0, v0, v1, vcc
	v_cmp_eq_u32_e32 vcc, 0, v27
	v_mov_b32_e32 v1, 0x7f800001
	v_cndmask_b32_e32 v23, v1, v0, vcc
; %bb.14028:                            ;   in Loop: Header=BB4_12002 Depth=3
	s_or_b64 exec, exec, s[34:35]
.LBB4_14029:                            ;   in Loop: Header=BB4_12002 Depth=3
	s_or_b64 exec, exec, s[30:31]
.LBB4_14030:                            ;   in Loop: Header=BB4_12002 Depth=3
	s_or_b64 exec, exec, s[28:29]
	v_cmp_lt_u64_e32 vcc, s[56:57], v[10:11]
	s_and_saveexec_b64 s[28:29], vcc
	s_cbranch_execz .LBB4_14038
; %bb.14031:                            ;   in Loop: Header=BB4_12002 Depth=3
	v_lshrrev_b32_e32 v0, 24, v11
	v_cmp_ne_u32_e32 vcc, s96, v0
	v_bfrev_b32_e32 v2, 1
	s_and_saveexec_b64 s[30:31], vcc
	s_cbranch_execz .LBB4_14037
; %bb.14032:                            ;   in Loop: Header=BB4_12002 Depth=3
	v_and_b32_e32 v2, 0x7c000000, v11
	v_bfe_u32 v1, v11, 24, 2
	v_cmp_ne_u32_e32 vcc, s45, v2
                                        ; implicit-def: $vgpr2
	s_and_saveexec_b64 s[34:35], vcc
	s_xor_b64 s[34:35], exec, s[34:35]
	s_cbranch_execz .LBB4_14034
; %bb.14033:                            ;   in Loop: Header=BB4_12002 Depth=3
	v_ffbh_u32_e32 v5, v1
	v_min_u32_e32 v10, 32, v5
	v_subrev_u32_e32 v5, 29, v10
	v_bfe_u32 v2, v11, 26, 5
	v_lshlrev_b64 v[5:6], v5, v[0:1]
	v_sub_u32_e32 v0, 30, v10
	v_cmp_eq_u32_e32 vcc, 0, v2
	v_and_b32_e32 v5, 3, v5
	v_cndmask_b32_e32 v0, v2, v0, vcc
	v_and_b32_e32 v2, 0x80000000, v11
	v_cndmask_b32_e32 v1, v1, v5, vcc
	v_lshl_add_u32 v0, v0, 23, v2
	v_lshl_or_b32 v0, v1, 21, v0
	v_add_u32_e32 v2, 0x38000000, v0
                                        ; implicit-def: $vgpr1
                                        ; implicit-def: $vgpr10_vgpr11
.LBB4_14034:                            ;   in Loop: Header=BB4_12002 Depth=3
	s_andn2_saveexec_b64 s[34:35], s[34:35]
; %bb.14035:                            ;   in Loop: Header=BB4_12002 Depth=3
	v_cmp_lt_i64_e32 vcc, -1, v[10:11]
	v_mov_b32_e32 v0, 0xff800000
	v_mov_b32_e32 v2, 0x7f800000
	v_cndmask_b32_e32 v0, v0, v2, vcc
	v_cmp_eq_u32_e32 vcc, 0, v1
	v_mov_b32_e32 v1, 0x7f800001
	v_cndmask_b32_e32 v2, v1, v0, vcc
; %bb.14036:                            ;   in Loop: Header=BB4_12002 Depth=3
	s_or_b64 exec, exec, s[34:35]
.LBB4_14037:                            ;   in Loop: Header=BB4_12002 Depth=3
	s_or_b64 exec, exec, s[30:31]
.LBB4_14038:                            ;   in Loop: Header=BB4_12002 Depth=3
	s_or_b64 exec, exec, s[28:29]
	v_add_f32_e32 v11, v23, v2
	v_and_b32_e32 v1, 0x7f800000, v11
	v_mov_b32_e32 v2, v17
	v_cmp_ne_u64_e32 vcc, s[76:77], v[1:2]
	v_and_b32_e32 v0, 0x7fffff, v11
	v_mov_b32_e32 v1, v17
                                        ; implicit-def: $vgpr2
	s_and_saveexec_b64 s[28:29], vcc
	s_xor_b64 s[30:31], exec, s[28:29]
	s_cbranch_execz .LBB4_14052
; %bb.14039:                            ;   in Loop: Header=BB4_12002 Depth=3
	v_and_b32_e32 v5, 0x7fffffff, v11
	v_mov_b32_e32 v6, v17
	v_cmp_gt_u64_e32 vcc, s[78:79], v[5:6]
	v_and_b32_sdwa v10, v11, s96 dst_sel:DWORD dst_unused:UNUSED_PAD src0_sel:BYTE_3 src1_sel:DWORD
                                        ; implicit-def: $vgpr2
	s_and_saveexec_b64 s[28:29], vcc
	s_xor_b64 s[34:35], exec, s[28:29]
	s_cbranch_execz .LBB4_14049
; %bb.14040:                            ;   in Loop: Header=BB4_12002 Depth=3
	v_mov_b32_e32 v2, 0
	v_cmp_ne_u32_e32 vcc, 0, v11
	s_and_saveexec_b64 s[36:37], vcc
	s_cbranch_execz .LBB4_14048
; %bb.14041:                            ;   in Loop: Header=BB4_12002 Depth=3
	v_bfe_u32 v11, v11, 23, 8
	v_cmp_gt_u32_e64 s[28:29], s46, v11
	v_sub_u32_e32 v2, 0x71, v11
	v_cmp_eq_u32_e32 vcc, 0, v11
	v_cndmask_b32_e64 v2, 0, v2, s[28:29]
	v_mov_b32_e32 v6, 0x70
	v_cndmask_b32_e32 v23, v2, v6, vcc
	v_or_b32_e32 v5, 0x800000, v0
	v_add_u32_e32 v2, 21, v23
	v_cndmask_b32_e32 v0, v5, v0, vcc
	v_lshlrev_b64 v[5:6], v2, -1
	v_add_u32_e32 v2, 20, v23
	v_bfi_b32 v5, v5, 0, v0
	v_lshlrev_b64 v[57:58], v2, 1
	v_lshrrev_b64 v[0:1], v23, v[0:1]
	v_bfi_b32 v6, v6, 0, 0
	v_cmp_eq_u64_e64 s[28:29], v[5:6], v[57:58]
	v_mov_b32_e32 v2, v1
	v_mov_b32_e32 v1, v0
	s_and_saveexec_b64 s[38:39], s[28:29]
; %bb.14042:                            ;   in Loop: Header=BB4_12002 Depth=3
	v_bfe_u32 v1, v0, 21, 1
	v_add_co_u32_e64 v1, s[28:29], v0, v1
	v_add_co_u32_e64 v1, s[28:29], -1, v1
; %bb.14043:                            ;   in Loop: Header=BB4_12002 Depth=3
	s_or_b64 exec, exec, s[38:39]
	v_add_u32_e32 v2, 0xffffff81, v11
	v_mov_b32_e32 v5, 0xffffff82
	v_cndmask_b32_e32 v2, v2, v5, vcc
	v_lshrrev_b32_e32 v5, 23, v0
	v_add3_u32 v23, v23, v2, v5
	v_add_u32_e32 v11, 14, v23
	v_and_b32_e32 v1, 0x1fffff, v1
	v_add_u32_e32 v0, v1, v0
	v_mov_b32_e32 v1, v17
	v_cmp_ne_u32_e32 vcc, 0, v11
                                        ; implicit-def: $vgpr2
	s_and_saveexec_b64 s[28:29], vcc
	s_xor_b64 s[28:29], exec, s[28:29]
; %bb.14044:                            ;   in Loop: Header=BB4_12002 Depth=3
	v_cmp_lt_u64_e32 vcc, s[88:89], v[0:1]
	v_add_u32_e32 v2, 15, v23
	v_cndmask_b32_e64 v5, 0, 1, vcc
	v_lshrrev_b64 v[0:1], v5, v[0:1]
	v_cndmask_b32_e32 v2, v11, v2, vcc
; %bb.14045:                            ;   in Loop: Header=BB4_12002 Depth=3
	s_andn2_saveexec_b64 s[28:29], s[28:29]
; %bb.14046:                            ;   in Loop: Header=BB4_12002 Depth=3
	v_bfe_u32 v2, v0, 23, 1
; %bb.14047:                            ;   in Loop: Header=BB4_12002 Depth=3
	s_or_b64 exec, exec, s[28:29]
	v_lshrrev_b64 v[0:1], 21, v[0:1]
	v_cmp_gt_i32_e32 vcc, 32, v2
	v_cndmask_b32_e32 v1, 0, v1, vcc
	v_cndmask_b32_e32 v0, 3, v0, vcc
	v_cmp_eq_u64_e64 s[28:29], 0, v[0:1]
	v_min_i32_e32 v1, 31, v2
	v_lshlrev_b32_e32 v1, 2, v1
	v_cmp_eq_u32_e32 vcc, 0, v2
	v_and_b32_e32 v1, 0xfc, v1
	v_and_or_b32 v0, v0, 3, v1
	s_and_b64 s[28:29], vcc, s[28:29]
	v_cndmask_b32_e64 v0, v0, 0, s[28:29]
	v_or_b32_e32 v2, v0, v10
.LBB4_14048:                            ;   in Loop: Header=BB4_12002 Depth=3
	s_or_b64 exec, exec, s[36:37]
                                        ; implicit-def: $vgpr10
.LBB4_14049:                            ;   in Loop: Header=BB4_12002 Depth=3
	s_andn2_saveexec_b64 s[28:29], s[34:35]
; %bb.14050:                            ;   in Loop: Header=BB4_12002 Depth=3
	v_or_b32_e32 v2, 0x7b, v10
; %bb.14051:                            ;   in Loop: Header=BB4_12002 Depth=3
	s_or_b64 exec, exec, s[28:29]
                                        ; implicit-def: $vgpr11
                                        ; implicit-def: $vgpr0_vgpr1
.LBB4_14052:                            ;   in Loop: Header=BB4_12002 Depth=3
	s_andn2_saveexec_b64 s[28:29], s[30:31]
	s_cbranch_execz .LBB4_12001
; %bb.14053:                            ;   in Loop: Header=BB4_12002 Depth=3
	v_cmp_ne_u64_e32 vcc, 0, v[0:1]
                                        ; implicit-def: $vgpr2
	s_and_saveexec_b64 s[30:31], vcc
	s_xor_b64 vcc, exec, s[30:31]
; %bb.14054:                            ;   in Loop: Header=BB4_12002 Depth=3
	v_or_b32_sdwa v2, v11, s47 dst_sel:DWORD dst_unused:UNUSED_PAD src0_sel:BYTE_3 src1_sel:DWORD
                                        ; implicit-def: $vgpr11
; %bb.14055:                            ;   in Loop: Header=BB4_12002 Depth=3
	s_andn2_saveexec_b64 s[30:31], vcc
	s_cbranch_execz .LBB4_12000
; %bb.14056:                            ;   in Loop: Header=BB4_12002 Depth=3
	v_cmp_lt_i32_e32 vcc, -1, v11
	v_bfrev_b32_e32 v0, 0.5
	v_cndmask_b32_e32 v2, v0, v52, vcc
	s_branch .LBB4_12000
.LBB4_14057:                            ;   in Loop: Header=BB4_7595 Depth=2
	s_or_b64 exec, exec, s[40:41]
	buffer_load_dword v47, off, s[0:3], s33 offset:236 ; 4-byte Folded Reload
.LBB4_14058:                            ;   in Loop: Header=BB4_7595 Depth=2
	s_or_b64 exec, exec, s[42:43]
	buffer_load_dword v0, off, s[0:3], s33 offset:204 ; 4-byte Folded Reload
	v_lshlrev_b32_e32 v5, 11, v48
	s_mov_b64 s[28:29], 0
	v_mov_b32_e32 v29, 0
                                        ; implicit-def: $vgpr23
                                        ; implicit-def: $vgpr2
	s_waitcnt vmcnt(0)
	v_cmp_ne_u32_e32 vcc, v0, v5
	s_and_saveexec_b64 s[30:31], vcc
	s_cbranch_execz .LBB4_15064
; %bb.14059:                            ;   in Loop: Header=BB4_7595 Depth=2
	buffer_load_dword v0, off, s[0:3], s33 offset:204 ; 4-byte Folded Reload
	buffer_load_dword v2, off, s[0:3], s33 offset:340 ; 4-byte Folded Reload
	s_waitcnt vmcnt(0)
	v_sub_u32_e32 v1, v0, v5
	v_lshlrev_b32_e32 v0, 6, v4
	v_sub_u32_e32 v0, v2, v0
	v_ashrrev_i32_e32 v2, 31, v0
	v_lshrrev_b32_e32 v2, 26, v2
	v_add_u32_e32 v2, v0, v2
	v_ashrrev_i32_e32 v3, 6, v2
	v_and_b32_e32 v2, 0xffffffc0, v2
	v_sub_u32_e32 v6, v0, v2
	v_ashrrev_i32_e32 v2, 31, v1
	v_lshrrev_b32_e32 v2, 22, v2
	v_add_u32_e32 v2, v1, v2
	v_and_b32_e32 v7, 0xfffffc00, v2
	v_lshlrev_b32_e32 v0, 4, v6
	v_sub_u32_e32 v16, v1, v7
	v_lshl_add_u32 v0, v3, 10, v0
	v_ashrrev_i32_e32 v4, 10, v2
	v_cmp_lt_i32_e64 s[28:29], 15, v16
	v_sub_u32_e32 v19, v1, v0
	v_addc_co_u32_e64 v1, vcc, 0, v4, s[28:29]
	v_sub_u32_e32 v18, v1, v3
	v_cmp_lt_i32_e32 vcc, 15, v19
	s_and_saveexec_b64 s[34:35], vcc
	s_cbranch_execz .LBB4_15063
; %bb.14060:                            ;   in Loop: Header=BB4_7595 Depth=2
	v_add_u32_e32 v2, v0, v5
	s_trap 2
	ds_read_b64 v[0:1], v0
	buffer_load_dword v8, off, s[0:3], s33 offset:212 ; 4-byte Folded Reload
	buffer_load_dword v9, off, s[0:3], s33 offset:216 ; 4-byte Folded Reload
	v_ashrrev_i32_e32 v3, 31, v2
	s_waitcnt lgkmcnt(0)
	v_readfirstlane_b32 s42, v0
	s_bfe_i32 s38, s42, 0x80000
	s_and_b32 s43, s42, 3
	s_bfe_u32 s40, s42, 0x50002
	s_and_b32 s41, s42, 0x7c
	s_cmpk_eq_i32 s41, 0x7c
	s_flbit_i32_b32 s41, s43
	s_waitcnt vmcnt(1)
	v_add_co_u32_e32 v12, vcc, v2, v8
	s_waitcnt vmcnt(0)
	v_addc_co_u32_e32 v13, vcc, v3, v9, vcc
	buffer_load_dword v8, off, s[0:3], s33 offset:228 ; 4-byte Folded Reload
	buffer_load_dword v9, off, s[0:3], s33 offset:232 ; 4-byte Folded Reload
	v_add_co_u32_e32 v14, vcc, v0, v2
	v_addc_co_u32_e32 v15, vcc, v1, v3, vcc
	s_waitcnt vmcnt(1)
	v_add_co_u32_e32 v42, vcc, v2, v8
	s_waitcnt vmcnt(0)
	v_addc_co_u32_e32 v43, vcc, v3, v9, vcc
	s_cselect_b64 vcc, -1, 0
	s_min_u32 s41, s41, 32
	s_sub_i32 s36, s41, 29
	v_lshlrev_b64 v[0:1], s36, v[0:1]
	s_sub_i32 s41, 30, s41
	s_cmp_eq_u32 s40, 0
	v_and_b32_e32 v0, 3, v0
	s_cselect_b32 s36, s41, s40
	v_mov_b32_e32 v1, s43
	s_cselect_b64 s[40:41], -1, 0
	v_cndmask_b32_e64 v0, v1, v0, s[40:41]
	s_lshl_b32 s40, s42, 24
	s_and_b32 s40, s40, 0x80000000
	s_lshl_b32 s41, s36, 23
	s_add_i32 s41, s41, s40
	v_lshlrev_b32_e32 v0, 21, v0
	s_cmp_eq_u32 s43, 0
	s_sext_i32_i8 s42, s42
	v_or_b32_e32 v0, s41, v0
	s_cselect_b64 s[40:41], -1, 0
	s_cmp_gt_i32 s42, -1
	s_cselect_b64 s[42:43], -1, 0
	v_mov_b32_e32 v1, 0xff800000
	v_mov_b32_e32 v2, 0x7f800000
	v_cndmask_b32_e64 v1, v1, v2, s[42:43]
	v_mov_b32_e32 v2, 0x7f800001
	v_add_u32_e32 v0, 0x38000000, v0
	v_cndmask_b32_e64 v1, v2, v1, s[40:41]
	v_cndmask_b32_e32 v20, v0, v1, vcc
	s_mov_b64 s[36:37], 0
	s_and_b32 s52, s38, 0xff
	s_branch .LBB4_14063
.LBB4_14061:                            ;   in Loop: Header=BB4_14063 Depth=3
	s_or_b64 exec, exec, s[42:43]
.LBB4_14062:                            ;   in Loop: Header=BB4_14063 Depth=3
	s_or_b64 exec, exec, s[40:41]
	v_lshl_or_b32 v0, v36, 8, v34
	v_lshlrev_b32_e32 v1, 16, v37
	v_lshlrev_b32_e32 v8, 24, v8
	v_or3_b32 v32, v0, v1, v8
	v_lshl_or_b32 v0, v23, 8, v21
	v_lshlrev_b32_e32 v1, 16, v26
	v_lshlrev_b32_e32 v8, 24, v31
	v_or3_b32 v31, v0, v1, v8
	;; [unrolled: 4-line block ×3, first 2 shown]
	v_lshlrev_b32_e32 v0, 24, v2
	v_lshlrev_b32_e32 v1, 16, v3
	v_lshl_or_b32 v2, v22, 8, v4
	v_or3_b32 v34, v2, v1, v0
	buffer_load_dword v0, off, s[0:3], s33 offset:96 ; 4-byte Folded Reload
	s_waitcnt vmcnt(0)
	v_add_co_u32_e32 v12, vcc, v12, v0
	v_addc_co_u32_e32 v13, vcc, 0, v13, vcc
	v_add_co_u32_e32 v14, vcc, v14, v0
	v_addc_co_u32_e32 v15, vcc, 0, v15, vcc
	global_store_dwordx4 v[42:43], v[31:34], off glc slc
	v_add_co_u32_e32 v42, vcc, v42, v0
	v_sub_u32_e32 v19, v19, v0
	buffer_load_dword v0, off, s[0:3], s33 offset:92 ; 4-byte Folded Reload
	v_addc_co_u32_e32 v43, vcc, 0, v43, vcc
	v_cmp_gt_i32_e32 vcc, 16, v19
	s_or_b64 s[36:37], vcc, s[36:37]
	s_waitcnt vmcnt(0)
	v_sub_u32_e32 v18, v18, v0
	s_andn2_b64 exec, exec, s[36:37]
	s_cbranch_execz .LBB4_15062
.LBB4_14063:                            ;   Parent Loop BB4_47 Depth=1
                                        ;     Parent Loop BB4_7595 Depth=2
                                        ; =>    This Inner Loop Header: Depth=3
	s_cmpk_lt_i32 s52, 0x80
	s_cbranch_scc1 .LBB4_14067
; %bb.14064:                            ;   in Loop: Header=BB4_14063 Depth=3
	s_and_b32 s42, 0xffff, s52
	s_mov_b64 s[40:41], -1
	s_cmpk_eq_i32 s42, 0x80
	s_cbranch_scc0 .LBB4_14066
; %bb.14065:                            ;   in Loop: Header=BB4_14063 Depth=3
	s_mov_b64 s[40:41], 0
.LBB4_14066:                            ;   in Loop: Header=BB4_14063 Depth=3
	s_brev_b32 s38, 1
	s_branch .LBB4_14069
.LBB4_14067:                            ;   in Loop: Header=BB4_14063 Depth=3
	s_mov_b64 s[40:41], 0
	s_brev_b32 s38, 1
	s_cbranch_execz .LBB4_14069
; %bb.14068:                            ;   in Loop: Header=BB4_14063 Depth=3
	s_and_b32 s40, 0xffff, s52
	s_cmp_lg_u32 s40, 0
	s_mov_b32 s38, 0
	s_cselect_b64 s[40:41], -1, 0
.LBB4_14069:                            ;   in Loop: Header=BB4_14063 Depth=3
	s_andn2_b64 vcc, exec, s[40:41]
	v_mov_b32_e32 v23, s38
	s_cbranch_vccnz .LBB4_14071
; %bb.14070:                            ;   in Loop: Header=BB4_14063 Depth=3
	v_mov_b32_e32 v23, v20
.LBB4_14071:                            ;   in Loop: Header=BB4_14063 Depth=3
	global_load_dwordx4 v[8:11], v[12:13], off glc slc
	v_mov_b32_e32 v0, 0
	s_waitcnt vmcnt(0)
	v_cmp_ne_u16_sdwa s[42:43], v8, v17 src0_sel:BYTE_0 src1_sel:DWORD
	s_and_saveexec_b64 s[40:41], s[42:43]
	s_cbranch_execz .LBB4_14079
; %bb.14072:                            ;   in Loop: Header=BB4_14063 Depth=3
	v_cmp_ne_u16_sdwa vcc, sext(v8), s97 src0_sel:BYTE_0 src1_sel:DWORD
	v_bfrev_b32_e32 v0, 1
	s_and_saveexec_b64 s[42:43], vcc
	s_cbranch_execz .LBB4_14078
; %bb.14073:                            ;   in Loop: Header=BB4_14063 Depth=3
	v_and_b32_e32 v0, 0x7c, v8
	v_and_b32_e32 v1, 3, v8
	v_cmp_ne_u32_e32 vcc, s85, v0
                                        ; implicit-def: $vgpr0
	s_and_saveexec_b64 s[38:39], vcc
	s_xor_b64 s[38:39], exec, s[38:39]
	s_cbranch_execz .LBB4_14075
; %bb.14074:                            ;   in Loop: Header=BB4_14063 Depth=3
	v_ffbh_u32_e32 v2, v1
	v_min_u32_e32 v4, 32, v2
	v_subrev_u32_e32 v2, 29, v4
	v_lshlrev_b64 v[2:3], v2, v[8:9]
	v_bfe_u32 v0, v8, 2, 5
	v_and_b32_e32 v2, 3, v2
	v_cmp_eq_u32_e32 vcc, 0, v0
	v_sub_u32_e32 v3, 30, v4
	v_cndmask_b32_e32 v1, v1, v2, vcc
	v_lshlrev_b32_e32 v2, 24, v8
	v_cndmask_b32_e32 v0, v0, v3, vcc
	v_and_b32_e32 v2, 0x80000000, v2
	v_lshl_add_u32 v0, v0, 23, v2
	v_lshl_or_b32 v0, v1, 21, v0
	v_add_u32_e32 v0, 0x38000000, v0
                                        ; implicit-def: $vgpr1
.LBB4_14075:                            ;   in Loop: Header=BB4_14063 Depth=3
	s_andn2_saveexec_b64 s[38:39], s[38:39]
; %bb.14076:                            ;   in Loop: Header=BB4_14063 Depth=3
	v_mov_b32_e32 v0, -1
	v_cmp_gt_i16_sdwa vcc, sext(v8), v0 src0_sel:BYTE_0 src1_sel:DWORD
	v_mov_b32_e32 v0, 0xff800000
	v_mov_b32_e32 v2, 0x7f800000
	v_cndmask_b32_e32 v0, v0, v2, vcc
	v_cmp_eq_u32_e32 vcc, 0, v1
	v_mov_b32_e32 v1, 0x7f800001
	v_cndmask_b32_e32 v0, v1, v0, vcc
; %bb.14077:                            ;   in Loop: Header=BB4_14063 Depth=3
	s_or_b64 exec, exec, s[38:39]
.LBB4_14078:                            ;   in Loop: Header=BB4_14063 Depth=3
	s_or_b64 exec, exec, s[42:43]
.LBB4_14079:                            ;   in Loop: Header=BB4_14063 Depth=3
	s_or_b64 exec, exec, s[40:41]
	v_mul_f32_e32 v2, v23, v0
	v_and_b32_e32 v3, 0x7f800000, v2
	v_mov_b32_e32 v4, v17
	v_cmp_ne_u64_e32 vcc, s[76:77], v[3:4]
	v_and_b32_e32 v0, 0x7fffff, v2
	v_mov_b32_e32 v1, v17
                                        ; implicit-def: $vgpr21
	s_and_saveexec_b64 s[40:41], vcc
	s_xor_b64 s[42:43], exec, s[40:41]
	s_cbranch_execz .LBB4_14093
; %bb.14080:                            ;   in Loop: Header=BB4_14063 Depth=3
	v_and_b32_e32 v3, 0x7fffffff, v2
	v_mov_b32_e32 v4, v17
	v_cmp_gt_u64_e32 vcc, s[78:79], v[3:4]
	v_and_b32_sdwa v3, v2, s96 dst_sel:DWORD dst_unused:UNUSED_PAD src0_sel:BYTE_3 src1_sel:DWORD
                                        ; implicit-def: $vgpr21
	s_and_saveexec_b64 s[40:41], vcc
	s_xor_b64 s[38:39], exec, s[40:41]
	s_cbranch_execz .LBB4_14090
; %bb.14081:                            ;   in Loop: Header=BB4_14063 Depth=3
	v_mov_b32_e32 v21, 0
	v_cmp_ne_u32_e32 vcc, 0, v2
	s_and_saveexec_b64 s[48:49], vcc
	s_cbranch_execz .LBB4_14089
; %bb.14082:                            ;   in Loop: Header=BB4_14063 Depth=3
	v_bfe_u32 v4, v2, 23, 8
	v_cmp_gt_u32_e64 s[40:41], s46, v4
	v_sub_u32_e32 v2, 0x71, v4
	v_cmp_eq_u32_e32 vcc, 0, v4
	v_cndmask_b32_e64 v2, 0, v2, s[40:41]
	v_mov_b32_e32 v21, 0x70
	v_cndmask_b32_e32 v21, v2, v21, vcc
	v_add_u32_e32 v2, 21, v21
	v_or_b32_e32 v22, 0x800000, v0
	v_lshlrev_b64 v[24:25], v2, -1
	v_cndmask_b32_e32 v0, v22, v0, vcc
	v_add_u32_e32 v2, 20, v21
	v_bfi_b32 v24, v24, 0, v0
	v_lshlrev_b64 v[26:27], v2, 1
	v_lshrrev_b64 v[0:1], v21, v[0:1]
	v_bfi_b32 v25, v25, 0, 0
	v_cmp_eq_u64_e64 s[40:41], v[24:25], v[26:27]
	v_mov_b32_e32 v2, v1
	v_mov_b32_e32 v1, v0
	s_and_saveexec_b64 s[50:51], s[40:41]
; %bb.14083:                            ;   in Loop: Header=BB4_14063 Depth=3
	v_bfe_u32 v1, v0, 21, 1
	v_add_co_u32_e64 v1, s[40:41], v0, v1
	v_add_co_u32_e64 v1, s[40:41], -1, v1
; %bb.14084:                            ;   in Loop: Header=BB4_14063 Depth=3
	s_or_b64 exec, exec, s[50:51]
	v_add_u32_e32 v2, 0xffffff81, v4
	v_mov_b32_e32 v4, 0xffffff82
	v_cndmask_b32_e32 v2, v2, v4, vcc
	v_lshrrev_b32_e32 v4, 23, v0
	v_add3_u32 v21, v21, v2, v4
	v_add_u32_e32 v4, 14, v21
	v_and_b32_e32 v1, 0x1fffff, v1
	v_add_u32_e32 v0, v1, v0
	v_mov_b32_e32 v1, v17
	v_cmp_ne_u32_e32 vcc, 0, v4
                                        ; implicit-def: $vgpr2
	s_and_saveexec_b64 s[40:41], vcc
	s_xor_b64 s[40:41], exec, s[40:41]
; %bb.14085:                            ;   in Loop: Header=BB4_14063 Depth=3
	v_cmp_lt_u64_e32 vcc, s[88:89], v[0:1]
	v_add_u32_e32 v2, 15, v21
	v_cndmask_b32_e32 v2, v4, v2, vcc
	v_cndmask_b32_e64 v4, 0, 1, vcc
	v_lshrrev_b64 v[0:1], v4, v[0:1]
; %bb.14086:                            ;   in Loop: Header=BB4_14063 Depth=3
	s_andn2_saveexec_b64 s[40:41], s[40:41]
; %bb.14087:                            ;   in Loop: Header=BB4_14063 Depth=3
	v_bfe_u32 v2, v0, 23, 1
; %bb.14088:                            ;   in Loop: Header=BB4_14063 Depth=3
	s_or_b64 exec, exec, s[40:41]
	v_lshrrev_b64 v[0:1], 21, v[0:1]
	v_cmp_gt_i32_e32 vcc, 32, v2
	v_cndmask_b32_e32 v1, 0, v1, vcc
	v_cndmask_b32_e32 v0, 3, v0, vcc
	v_cmp_eq_u64_e64 s[40:41], 0, v[0:1]
	v_min_i32_e32 v1, 31, v2
	v_lshlrev_b32_e32 v1, 2, v1
	v_cmp_eq_u32_e32 vcc, 0, v2
	v_and_b32_e32 v1, 0xfc, v1
	v_and_or_b32 v0, v0, 3, v1
	s_and_b64 s[40:41], vcc, s[40:41]
	v_cndmask_b32_e64 v0, v0, 0, s[40:41]
	v_or_b32_e32 v21, v0, v3
.LBB4_14089:                            ;   in Loop: Header=BB4_14063 Depth=3
	s_or_b64 exec, exec, s[48:49]
                                        ; implicit-def: $vgpr3
.LBB4_14090:                            ;   in Loop: Header=BB4_14063 Depth=3
	s_andn2_saveexec_b64 s[40:41], s[38:39]
; %bb.14091:                            ;   in Loop: Header=BB4_14063 Depth=3
	v_or_b32_e32 v21, 0x7b, v3
; %bb.14092:                            ;   in Loop: Header=BB4_14063 Depth=3
	s_or_b64 exec, exec, s[40:41]
                                        ; implicit-def: $vgpr2
                                        ; implicit-def: $vgpr0_vgpr1
.LBB4_14093:                            ;   in Loop: Header=BB4_14063 Depth=3
	s_andn2_saveexec_b64 s[40:41], s[42:43]
	s_cbranch_execz .LBB4_14099
; %bb.14094:                            ;   in Loop: Header=BB4_14063 Depth=3
	v_cmp_ne_u64_e32 vcc, 0, v[0:1]
                                        ; implicit-def: $vgpr21
	s_and_saveexec_b64 s[42:43], vcc
	s_xor_b64 s[42:43], exec, s[42:43]
; %bb.14095:                            ;   in Loop: Header=BB4_14063 Depth=3
	v_or_b32_sdwa v21, v2, s47 dst_sel:DWORD dst_unused:UNUSED_PAD src0_sel:BYTE_3 src1_sel:DWORD
                                        ; implicit-def: $vgpr2
; %bb.14096:                            ;   in Loop: Header=BB4_14063 Depth=3
	s_andn2_saveexec_b64 s[42:43], s[42:43]
; %bb.14097:                            ;   in Loop: Header=BB4_14063 Depth=3
	v_cmp_lt_i32_e32 vcc, -1, v2
	v_bfrev_b32_e32 v0, 0.5
	v_cndmask_b32_e32 v21, v0, v52, vcc
; %bb.14098:                            ;   in Loop: Header=BB4_14063 Depth=3
	s_or_b64 exec, exec, s[42:43]
.LBB4_14099:                            ;   in Loop: Header=BB4_14063 Depth=3
	s_or_b64 exec, exec, s[40:41]
	v_lshrrev_b16_e32 v0, 8, v8
	v_cmp_ne_u16_e32 vcc, 0, v0
	v_mov_b32_e32 v1, 0
	s_and_saveexec_b64 s[40:41], vcc
	s_cbranch_execz .LBB4_14107
; %bb.14100:                            ;   in Loop: Header=BB4_14063 Depth=3
	v_cmp_ne_u16_e32 vcc, s96, v0
	v_bfrev_b32_e32 v1, 1
	s_and_saveexec_b64 s[42:43], vcc
	s_cbranch_execz .LBB4_14106
; %bb.14101:                            ;   in Loop: Header=BB4_14063 Depth=3
	v_and_b32_e32 v1, 0x7c, v0
	v_and_b32_e32 v2, 3, v0
	v_cmp_ne_u32_e32 vcc, s85, v1
                                        ; implicit-def: $vgpr1
	s_and_saveexec_b64 s[38:39], vcc
	s_xor_b64 s[38:39], exec, s[38:39]
	s_cbranch_execz .LBB4_14103
; %bb.14102:                            ;   in Loop: Header=BB4_14063 Depth=3
	v_ffbh_u32_e32 v4, v2
	v_min_u32_e32 v4, 32, v4
	v_mov_b32_e32 v1, v17
	v_subrev_u32_e32 v22, 29, v4
	v_bfe_u32 v3, v0, 2, 5
	v_lshlrev_b64 v[0:1], v22, v[0:1]
	v_cmp_eq_u32_e32 vcc, 0, v3
	v_and_b32_e32 v0, 3, v0
	v_sub_u32_e32 v1, 30, v4
	v_cndmask_b32_e32 v0, v2, v0, vcc
	v_lshlrev_b32_e32 v2, 16, v8
	v_cndmask_b32_e32 v1, v3, v1, vcc
	v_and_b32_e32 v2, 0x80000000, v2
	v_lshl_add_u32 v1, v1, 23, v2
	v_lshl_or_b32 v0, v0, 21, v1
	v_add_u32_e32 v1, 0x38000000, v0
                                        ; implicit-def: $vgpr2
.LBB4_14103:                            ;   in Loop: Header=BB4_14063 Depth=3
	s_andn2_saveexec_b64 s[38:39], s[38:39]
; %bb.14104:                            ;   in Loop: Header=BB4_14063 Depth=3
	v_cmp_lt_i16_e32 vcc, -1, v8
	v_mov_b32_e32 v0, 0xff800000
	v_mov_b32_e32 v1, 0x7f800000
	v_cndmask_b32_e32 v0, v0, v1, vcc
	v_cmp_eq_u32_e32 vcc, 0, v2
	v_mov_b32_e32 v1, 0x7f800001
	v_cndmask_b32_e32 v1, v1, v0, vcc
; %bb.14105:                            ;   in Loop: Header=BB4_14063 Depth=3
	s_or_b64 exec, exec, s[38:39]
.LBB4_14106:                            ;   in Loop: Header=BB4_14063 Depth=3
	s_or_b64 exec, exec, s[42:43]
.LBB4_14107:                            ;   in Loop: Header=BB4_14063 Depth=3
	s_or_b64 exec, exec, s[40:41]
	v_mul_f32_e32 v2, v23, v1
	v_and_b32_e32 v3, 0x7f800000, v2
	v_mov_b32_e32 v4, v17
	v_cmp_ne_u64_e32 vcc, s[76:77], v[3:4]
	v_and_b32_e32 v0, 0x7fffff, v2
	v_mov_b32_e32 v1, v17
                                        ; implicit-def: $vgpr26
	s_and_saveexec_b64 s[40:41], vcc
	s_xor_b64 s[42:43], exec, s[40:41]
	s_cbranch_execz .LBB4_14121
; %bb.14108:                            ;   in Loop: Header=BB4_14063 Depth=3
	v_and_b32_e32 v3, 0x7fffffff, v2
	v_mov_b32_e32 v4, v17
	v_cmp_gt_u64_e32 vcc, s[78:79], v[3:4]
	v_and_b32_sdwa v3, v2, s96 dst_sel:DWORD dst_unused:UNUSED_PAD src0_sel:BYTE_3 src1_sel:DWORD
                                        ; implicit-def: $vgpr26
	s_and_saveexec_b64 s[40:41], vcc
	s_xor_b64 s[38:39], exec, s[40:41]
	s_cbranch_execz .LBB4_14118
; %bb.14109:                            ;   in Loop: Header=BB4_14063 Depth=3
	v_mov_b32_e32 v26, 0
	v_cmp_ne_u32_e32 vcc, 0, v2
	s_and_saveexec_b64 s[48:49], vcc
	s_cbranch_execz .LBB4_14117
; %bb.14110:                            ;   in Loop: Header=BB4_14063 Depth=3
	v_bfe_u32 v4, v2, 23, 8
	v_cmp_gt_u32_e64 s[40:41], s46, v4
	v_sub_u32_e32 v2, 0x71, v4
	v_cmp_eq_u32_e32 vcc, 0, v4
	v_cndmask_b32_e64 v2, 0, v2, s[40:41]
	v_mov_b32_e32 v22, 0x70
	v_cndmask_b32_e32 v22, v2, v22, vcc
	v_or_b32_e32 v24, 0x800000, v0
	v_add_u32_e32 v2, 21, v22
	v_cndmask_b32_e32 v0, v24, v0, vcc
	v_lshlrev_b64 v[24:25], v2, -1
	v_add_u32_e32 v2, 20, v22
	v_bfi_b32 v24, v24, 0, v0
	v_lshlrev_b64 v[26:27], v2, 1
	v_lshrrev_b64 v[0:1], v22, v[0:1]
	v_bfi_b32 v25, v25, 0, 0
	v_cmp_eq_u64_e64 s[40:41], v[24:25], v[26:27]
	v_mov_b32_e32 v2, v1
	v_mov_b32_e32 v1, v0
	s_and_saveexec_b64 s[50:51], s[40:41]
; %bb.14111:                            ;   in Loop: Header=BB4_14063 Depth=3
	v_bfe_u32 v1, v0, 21, 1
	v_add_co_u32_e64 v1, s[40:41], v0, v1
	v_add_co_u32_e64 v1, s[40:41], -1, v1
; %bb.14112:                            ;   in Loop: Header=BB4_14063 Depth=3
	s_or_b64 exec, exec, s[50:51]
	v_add_u32_e32 v2, 0xffffff81, v4
	v_mov_b32_e32 v4, 0xffffff82
	v_cndmask_b32_e32 v2, v2, v4, vcc
	v_lshrrev_b32_e32 v4, 23, v0
	v_add3_u32 v22, v22, v2, v4
	v_add_u32_e32 v4, 14, v22
	v_and_b32_e32 v1, 0x1fffff, v1
	v_add_u32_e32 v0, v1, v0
	v_mov_b32_e32 v1, v17
	v_cmp_ne_u32_e32 vcc, 0, v4
                                        ; implicit-def: $vgpr2
	s_and_saveexec_b64 s[40:41], vcc
	s_xor_b64 s[40:41], exec, s[40:41]
; %bb.14113:                            ;   in Loop: Header=BB4_14063 Depth=3
	v_cmp_lt_u64_e32 vcc, s[88:89], v[0:1]
	v_add_u32_e32 v2, 15, v22
	v_cndmask_b32_e32 v2, v4, v2, vcc
	v_cndmask_b32_e64 v4, 0, 1, vcc
	v_lshrrev_b64 v[0:1], v4, v[0:1]
; %bb.14114:                            ;   in Loop: Header=BB4_14063 Depth=3
	s_andn2_saveexec_b64 s[40:41], s[40:41]
; %bb.14115:                            ;   in Loop: Header=BB4_14063 Depth=3
	v_bfe_u32 v2, v0, 23, 1
; %bb.14116:                            ;   in Loop: Header=BB4_14063 Depth=3
	s_or_b64 exec, exec, s[40:41]
	v_lshrrev_b64 v[0:1], 21, v[0:1]
	v_cmp_gt_i32_e32 vcc, 32, v2
	v_cndmask_b32_e32 v1, 0, v1, vcc
	v_cndmask_b32_e32 v0, 3, v0, vcc
	v_cmp_eq_u64_e64 s[40:41], 0, v[0:1]
	v_min_i32_e32 v1, 31, v2
	v_lshlrev_b32_e32 v1, 2, v1
	v_cmp_eq_u32_e32 vcc, 0, v2
	v_and_b32_e32 v1, 0xfc, v1
	v_and_or_b32 v0, v0, 3, v1
	s_and_b64 s[40:41], vcc, s[40:41]
	v_cndmask_b32_e64 v0, v0, 0, s[40:41]
	v_or_b32_e32 v26, v0, v3
.LBB4_14117:                            ;   in Loop: Header=BB4_14063 Depth=3
	s_or_b64 exec, exec, s[48:49]
                                        ; implicit-def: $vgpr3
.LBB4_14118:                            ;   in Loop: Header=BB4_14063 Depth=3
	s_andn2_saveexec_b64 s[40:41], s[38:39]
; %bb.14119:                            ;   in Loop: Header=BB4_14063 Depth=3
	v_or_b32_e32 v26, 0x7b, v3
; %bb.14120:                            ;   in Loop: Header=BB4_14063 Depth=3
	s_or_b64 exec, exec, s[40:41]
                                        ; implicit-def: $vgpr2
                                        ; implicit-def: $vgpr0_vgpr1
.LBB4_14121:                            ;   in Loop: Header=BB4_14063 Depth=3
	s_andn2_saveexec_b64 s[40:41], s[42:43]
	s_cbranch_execz .LBB4_14127
; %bb.14122:                            ;   in Loop: Header=BB4_14063 Depth=3
	v_cmp_ne_u64_e32 vcc, 0, v[0:1]
                                        ; implicit-def: $vgpr26
	s_and_saveexec_b64 s[42:43], vcc
	s_xor_b64 s[42:43], exec, s[42:43]
; %bb.14123:                            ;   in Loop: Header=BB4_14063 Depth=3
	v_or_b32_sdwa v26, v2, s47 dst_sel:DWORD dst_unused:UNUSED_PAD src0_sel:BYTE_3 src1_sel:DWORD
                                        ; implicit-def: $vgpr2
; %bb.14124:                            ;   in Loop: Header=BB4_14063 Depth=3
	s_andn2_saveexec_b64 s[42:43], s[42:43]
; %bb.14125:                            ;   in Loop: Header=BB4_14063 Depth=3
	v_cmp_lt_i32_e32 vcc, -1, v2
	v_bfrev_b32_e32 v0, 0.5
	v_cndmask_b32_e32 v26, v0, v52, vcc
; %bb.14126:                            ;   in Loop: Header=BB4_14063 Depth=3
	s_or_b64 exec, exec, s[42:43]
.LBB4_14127:                            ;   in Loop: Header=BB4_14063 Depth=3
	s_or_b64 exec, exec, s[40:41]
	v_lshrrev_b32_e32 v0, 16, v8
	v_cmp_ne_u16_sdwa s[42:43], v0, v17 src0_sel:BYTE_0 src1_sel:DWORD
	v_mov_b32_e32 v1, 0
	s_and_saveexec_b64 s[40:41], s[42:43]
	s_cbranch_execz .LBB4_14135
; %bb.14128:                            ;   in Loop: Header=BB4_14063 Depth=3
	v_cmp_ne_u16_sdwa vcc, v0, s96 src0_sel:BYTE_0 src1_sel:DWORD
	v_bfrev_b32_e32 v1, 1
	s_and_saveexec_b64 s[42:43], vcc
	s_cbranch_execz .LBB4_14134
; %bb.14129:                            ;   in Loop: Header=BB4_14063 Depth=3
	v_and_b32_e32 v1, 0x7c0000, v8
	v_bfe_u32 v2, v8, 16, 2
	v_cmp_ne_u32_e32 vcc, s44, v1
                                        ; implicit-def: $vgpr1
	s_and_saveexec_b64 s[38:39], vcc
	s_xor_b64 s[38:39], exec, s[38:39]
	s_cbranch_execz .LBB4_14131
; %bb.14130:                            ;   in Loop: Header=BB4_14063 Depth=3
	v_ffbh_u32_e32 v1, v2
	v_min_u32_e32 v4, 32, v1
	v_subrev_u32_e32 v1, 29, v4
	v_lshlrev_b64 v[0:1], v1, v[0:1]
	v_bfe_u32 v3, v8, 18, 5
	v_and_b32_e32 v0, 3, v0
	v_cmp_eq_u32_e32 vcc, 0, v3
	v_sub_u32_e32 v1, 30, v4
	v_cndmask_b32_e32 v0, v2, v0, vcc
	v_lshlrev_b32_e32 v2, 8, v8
	v_cndmask_b32_e32 v1, v3, v1, vcc
	v_and_b32_e32 v2, 0x80000000, v2
	v_lshl_add_u32 v1, v1, 23, v2
	v_lshl_or_b32 v0, v0, 21, v1
	v_add_u32_e32 v1, 0x38000000, v0
                                        ; implicit-def: $vgpr2
                                        ; implicit-def: $vgpr0
.LBB4_14131:                            ;   in Loop: Header=BB4_14063 Depth=3
	s_andn2_saveexec_b64 s[38:39], s[38:39]
; %bb.14132:                            ;   in Loop: Header=BB4_14063 Depth=3
	v_mov_b32_e32 v1, -1
	v_cmp_gt_i16_sdwa vcc, sext(v0), v1 src0_sel:BYTE_0 src1_sel:DWORD
	v_mov_b32_e32 v0, 0xff800000
	v_mov_b32_e32 v1, 0x7f800000
	v_cndmask_b32_e32 v0, v0, v1, vcc
	v_cmp_eq_u32_e32 vcc, 0, v2
	v_mov_b32_e32 v1, 0x7f800001
	v_cndmask_b32_e32 v1, v1, v0, vcc
; %bb.14133:                            ;   in Loop: Header=BB4_14063 Depth=3
	s_or_b64 exec, exec, s[38:39]
.LBB4_14134:                            ;   in Loop: Header=BB4_14063 Depth=3
	s_or_b64 exec, exec, s[42:43]
.LBB4_14135:                            ;   in Loop: Header=BB4_14063 Depth=3
	s_or_b64 exec, exec, s[40:41]
	v_mul_f32_e32 v2, v23, v1
	v_and_b32_e32 v3, 0x7f800000, v2
	v_mov_b32_e32 v4, v17
	v_cmp_ne_u64_e32 vcc, s[76:77], v[3:4]
	v_and_b32_e32 v0, 0x7fffff, v2
	v_mov_b32_e32 v1, v17
                                        ; implicit-def: $vgpr31
	s_and_saveexec_b64 s[40:41], vcc
	s_xor_b64 s[42:43], exec, s[40:41]
	s_cbranch_execz .LBB4_14149
; %bb.14136:                            ;   in Loop: Header=BB4_14063 Depth=3
	v_and_b32_e32 v3, 0x7fffffff, v2
	v_mov_b32_e32 v4, v17
	v_cmp_gt_u64_e32 vcc, s[78:79], v[3:4]
	v_and_b32_sdwa v3, v2, s96 dst_sel:DWORD dst_unused:UNUSED_PAD src0_sel:BYTE_3 src1_sel:DWORD
                                        ; implicit-def: $vgpr31
	s_and_saveexec_b64 s[40:41], vcc
	s_xor_b64 s[38:39], exec, s[40:41]
	s_cbranch_execz .LBB4_14146
; %bb.14137:                            ;   in Loop: Header=BB4_14063 Depth=3
	v_mov_b32_e32 v31, 0
	v_cmp_ne_u32_e32 vcc, 0, v2
	s_and_saveexec_b64 s[48:49], vcc
	s_cbranch_execz .LBB4_14145
; %bb.14138:                            ;   in Loop: Header=BB4_14063 Depth=3
	v_bfe_u32 v4, v2, 23, 8
	v_cmp_gt_u32_e64 s[40:41], s46, v4
	v_sub_u32_e32 v2, 0x71, v4
	v_cmp_eq_u32_e32 vcc, 0, v4
	v_cndmask_b32_e64 v2, 0, v2, s[40:41]
	v_mov_b32_e32 v22, 0x70
	v_cndmask_b32_e32 v22, v2, v22, vcc
	v_or_b32_e32 v24, 0x800000, v0
	v_add_u32_e32 v2, 21, v22
	v_cndmask_b32_e32 v0, v24, v0, vcc
	v_lshlrev_b64 v[24:25], v2, -1
	v_add_u32_e32 v2, 20, v22
	v_bfi_b32 v24, v24, 0, v0
	v_lshlrev_b64 v[30:31], v2, 1
	v_lshrrev_b64 v[0:1], v22, v[0:1]
	v_bfi_b32 v25, v25, 0, 0
	v_cmp_eq_u64_e64 s[40:41], v[24:25], v[30:31]
	v_mov_b32_e32 v2, v1
	v_mov_b32_e32 v1, v0
	s_and_saveexec_b64 s[50:51], s[40:41]
; %bb.14139:                            ;   in Loop: Header=BB4_14063 Depth=3
	v_bfe_u32 v1, v0, 21, 1
	v_add_co_u32_e64 v1, s[40:41], v0, v1
	v_add_co_u32_e64 v1, s[40:41], -1, v1
; %bb.14140:                            ;   in Loop: Header=BB4_14063 Depth=3
	s_or_b64 exec, exec, s[50:51]
	v_add_u32_e32 v2, 0xffffff81, v4
	v_mov_b32_e32 v4, 0xffffff82
	v_cndmask_b32_e32 v2, v2, v4, vcc
	v_lshrrev_b32_e32 v4, 23, v0
	v_add3_u32 v22, v22, v2, v4
	v_add_u32_e32 v4, 14, v22
	v_and_b32_e32 v1, 0x1fffff, v1
	v_add_u32_e32 v0, v1, v0
	v_mov_b32_e32 v1, v17
	v_cmp_ne_u32_e32 vcc, 0, v4
                                        ; implicit-def: $vgpr2
	s_and_saveexec_b64 s[40:41], vcc
	s_xor_b64 s[40:41], exec, s[40:41]
; %bb.14141:                            ;   in Loop: Header=BB4_14063 Depth=3
	v_cmp_lt_u64_e32 vcc, s[88:89], v[0:1]
	v_add_u32_e32 v2, 15, v22
	v_cndmask_b32_e32 v2, v4, v2, vcc
	v_cndmask_b32_e64 v4, 0, 1, vcc
	v_lshrrev_b64 v[0:1], v4, v[0:1]
; %bb.14142:                            ;   in Loop: Header=BB4_14063 Depth=3
	s_andn2_saveexec_b64 s[40:41], s[40:41]
; %bb.14143:                            ;   in Loop: Header=BB4_14063 Depth=3
	v_bfe_u32 v2, v0, 23, 1
; %bb.14144:                            ;   in Loop: Header=BB4_14063 Depth=3
	s_or_b64 exec, exec, s[40:41]
	v_lshrrev_b64 v[0:1], 21, v[0:1]
	v_cmp_gt_i32_e32 vcc, 32, v2
	v_cndmask_b32_e32 v1, 0, v1, vcc
	v_cndmask_b32_e32 v0, 3, v0, vcc
	v_cmp_eq_u64_e64 s[40:41], 0, v[0:1]
	v_min_i32_e32 v1, 31, v2
	v_lshlrev_b32_e32 v1, 2, v1
	v_cmp_eq_u32_e32 vcc, 0, v2
	v_and_b32_e32 v1, 0xfc, v1
	v_and_or_b32 v0, v0, 3, v1
	s_and_b64 s[40:41], vcc, s[40:41]
	v_cndmask_b32_e64 v0, v0, 0, s[40:41]
	v_or_b32_e32 v31, v0, v3
.LBB4_14145:                            ;   in Loop: Header=BB4_14063 Depth=3
	s_or_b64 exec, exec, s[48:49]
                                        ; implicit-def: $vgpr3
.LBB4_14146:                            ;   in Loop: Header=BB4_14063 Depth=3
	s_andn2_saveexec_b64 s[40:41], s[38:39]
; %bb.14147:                            ;   in Loop: Header=BB4_14063 Depth=3
	v_or_b32_e32 v31, 0x7b, v3
; %bb.14148:                            ;   in Loop: Header=BB4_14063 Depth=3
	s_or_b64 exec, exec, s[40:41]
                                        ; implicit-def: $vgpr2
                                        ; implicit-def: $vgpr0_vgpr1
.LBB4_14149:                            ;   in Loop: Header=BB4_14063 Depth=3
	s_andn2_saveexec_b64 s[40:41], s[42:43]
	s_cbranch_execz .LBB4_14155
; %bb.14150:                            ;   in Loop: Header=BB4_14063 Depth=3
	v_cmp_ne_u64_e32 vcc, 0, v[0:1]
                                        ; implicit-def: $vgpr31
	s_and_saveexec_b64 s[42:43], vcc
	s_xor_b64 s[42:43], exec, s[42:43]
; %bb.14151:                            ;   in Loop: Header=BB4_14063 Depth=3
	v_or_b32_sdwa v31, v2, s47 dst_sel:DWORD dst_unused:UNUSED_PAD src0_sel:BYTE_3 src1_sel:DWORD
                                        ; implicit-def: $vgpr2
; %bb.14152:                            ;   in Loop: Header=BB4_14063 Depth=3
	s_andn2_saveexec_b64 s[42:43], s[42:43]
; %bb.14153:                            ;   in Loop: Header=BB4_14063 Depth=3
	v_cmp_lt_i32_e32 vcc, -1, v2
	v_bfrev_b32_e32 v0, 0.5
	v_cndmask_b32_e32 v31, v0, v52, vcc
; %bb.14154:                            ;   in Loop: Header=BB4_14063 Depth=3
	s_or_b64 exec, exec, s[42:43]
.LBB4_14155:                            ;   in Loop: Header=BB4_14063 Depth=3
	s_or_b64 exec, exec, s[40:41]
	v_cmp_lt_u32_e32 vcc, s57, v8
	v_mov_b32_e32 v1, 0
	s_and_saveexec_b64 s[40:41], vcc
	s_cbranch_execz .LBB4_14163
; %bb.14156:                            ;   in Loop: Header=BB4_14063 Depth=3
	v_lshrrev_b32_e32 v0, 24, v8
	v_cmp_ne_u32_e32 vcc, s96, v0
	v_bfrev_b32_e32 v1, 1
	s_and_saveexec_b64 s[42:43], vcc
	s_cbranch_execz .LBB4_14162
; %bb.14157:                            ;   in Loop: Header=BB4_14063 Depth=3
	v_and_b32_e32 v1, 0x7c000000, v8
	v_bfe_u32 v2, v8, 24, 2
	v_cmp_ne_u32_e32 vcc, s45, v1
                                        ; implicit-def: $vgpr1
	s_and_saveexec_b64 s[38:39], vcc
	s_xor_b64 s[38:39], exec, s[38:39]
	s_cbranch_execz .LBB4_14159
; %bb.14158:                            ;   in Loop: Header=BB4_14063 Depth=3
	v_ffbh_u32_e32 v1, v2
	v_min_u32_e32 v4, 32, v1
	v_subrev_u32_e32 v1, 29, v4
	v_lshlrev_b64 v[0:1], v1, v[0:1]
	v_bfe_u32 v3, v8, 26, 5
	v_sub_u32_e32 v1, 30, v4
	v_and_b32_e32 v0, 3, v0
	v_cmp_eq_u32_e32 vcc, 0, v3
	v_cndmask_b32_e32 v1, v3, v1, vcc
	v_cndmask_b32_e32 v0, v2, v0, vcc
	v_and_b32_e32 v2, 0x80000000, v8
	v_lshl_add_u32 v1, v1, 23, v2
	v_lshl_or_b32 v0, v0, 21, v1
	v_add_u32_e32 v1, 0x38000000, v0
                                        ; implicit-def: $vgpr2
.LBB4_14159:                            ;   in Loop: Header=BB4_14063 Depth=3
	s_andn2_saveexec_b64 s[38:39], s[38:39]
; %bb.14160:                            ;   in Loop: Header=BB4_14063 Depth=3
	v_cmp_lt_i32_e32 vcc, -1, v8
	v_mov_b32_e32 v0, 0xff800000
	v_mov_b32_e32 v1, 0x7f800000
	v_cndmask_b32_e32 v0, v0, v1, vcc
	v_cmp_eq_u32_e32 vcc, 0, v2
	v_mov_b32_e32 v1, 0x7f800001
	v_cndmask_b32_e32 v1, v1, v0, vcc
; %bb.14161:                            ;   in Loop: Header=BB4_14063 Depth=3
	s_or_b64 exec, exec, s[38:39]
.LBB4_14162:                            ;   in Loop: Header=BB4_14063 Depth=3
	s_or_b64 exec, exec, s[42:43]
.LBB4_14163:                            ;   in Loop: Header=BB4_14063 Depth=3
	s_or_b64 exec, exec, s[40:41]
	v_mul_f32_e32 v2, v23, v1
	v_and_b32_e32 v3, 0x7f800000, v2
	v_mov_b32_e32 v4, v17
	v_cmp_ne_u64_e32 vcc, s[76:77], v[3:4]
	v_and_b32_e32 v0, 0x7fffff, v2
	v_mov_b32_e32 v1, v17
                                        ; implicit-def: $vgpr38
	s_and_saveexec_b64 s[40:41], vcc
	s_xor_b64 s[42:43], exec, s[40:41]
	s_cbranch_execz .LBB4_14177
; %bb.14164:                            ;   in Loop: Header=BB4_14063 Depth=3
	v_and_b32_e32 v3, 0x7fffffff, v2
	v_mov_b32_e32 v4, v17
	v_cmp_gt_u64_e32 vcc, s[78:79], v[3:4]
	v_and_b32_sdwa v3, v2, s96 dst_sel:DWORD dst_unused:UNUSED_PAD src0_sel:BYTE_3 src1_sel:DWORD
                                        ; implicit-def: $vgpr38
	s_and_saveexec_b64 s[40:41], vcc
	s_xor_b64 s[38:39], exec, s[40:41]
	s_cbranch_execz .LBB4_14174
; %bb.14165:                            ;   in Loop: Header=BB4_14063 Depth=3
	v_mov_b32_e32 v38, 0
	v_cmp_ne_u32_e32 vcc, 0, v2
	s_and_saveexec_b64 s[48:49], vcc
	s_cbranch_execz .LBB4_14173
; %bb.14166:                            ;   in Loop: Header=BB4_14063 Depth=3
	v_bfe_u32 v4, v2, 23, 8
	v_cmp_gt_u32_e64 s[40:41], s46, v4
	v_sub_u32_e32 v2, 0x71, v4
	v_cmp_eq_u32_e32 vcc, 0, v4
	v_cndmask_b32_e64 v2, 0, v2, s[40:41]
	v_mov_b32_e32 v22, 0x70
	v_cndmask_b32_e32 v22, v2, v22, vcc
	v_or_b32_e32 v24, 0x800000, v0
	v_add_u32_e32 v2, 21, v22
	v_cndmask_b32_e32 v0, v24, v0, vcc
	v_lshlrev_b64 v[24:25], v2, -1
	v_add_u32_e32 v2, 20, v22
	v_bfi_b32 v24, v24, 0, v0
	v_lshlrev_b64 v[32:33], v2, 1
	v_lshrrev_b64 v[0:1], v22, v[0:1]
	v_bfi_b32 v25, v25, 0, 0
	v_cmp_eq_u64_e64 s[40:41], v[24:25], v[32:33]
	v_mov_b32_e32 v2, v1
	v_mov_b32_e32 v1, v0
	s_and_saveexec_b64 s[50:51], s[40:41]
; %bb.14167:                            ;   in Loop: Header=BB4_14063 Depth=3
	v_bfe_u32 v1, v0, 21, 1
	v_add_co_u32_e64 v1, s[40:41], v0, v1
	v_add_co_u32_e64 v1, s[40:41], -1, v1
; %bb.14168:                            ;   in Loop: Header=BB4_14063 Depth=3
	s_or_b64 exec, exec, s[50:51]
	v_add_u32_e32 v2, 0xffffff81, v4
	v_mov_b32_e32 v4, 0xffffff82
	v_cndmask_b32_e32 v2, v2, v4, vcc
	v_lshrrev_b32_e32 v4, 23, v0
	v_add3_u32 v22, v22, v2, v4
	v_add_u32_e32 v4, 14, v22
	v_and_b32_e32 v1, 0x1fffff, v1
	v_add_u32_e32 v0, v1, v0
	v_mov_b32_e32 v1, v17
	v_cmp_ne_u32_e32 vcc, 0, v4
                                        ; implicit-def: $vgpr2
	s_and_saveexec_b64 s[40:41], vcc
	s_xor_b64 s[40:41], exec, s[40:41]
; %bb.14169:                            ;   in Loop: Header=BB4_14063 Depth=3
	v_cmp_lt_u64_e32 vcc, s[88:89], v[0:1]
	v_add_u32_e32 v2, 15, v22
	v_cndmask_b32_e32 v2, v4, v2, vcc
	v_cndmask_b32_e64 v4, 0, 1, vcc
	v_lshrrev_b64 v[0:1], v4, v[0:1]
; %bb.14170:                            ;   in Loop: Header=BB4_14063 Depth=3
	s_andn2_saveexec_b64 s[40:41], s[40:41]
; %bb.14171:                            ;   in Loop: Header=BB4_14063 Depth=3
	v_bfe_u32 v2, v0, 23, 1
; %bb.14172:                            ;   in Loop: Header=BB4_14063 Depth=3
	s_or_b64 exec, exec, s[40:41]
	v_lshrrev_b64 v[0:1], 21, v[0:1]
	v_cmp_gt_i32_e32 vcc, 32, v2
	v_cndmask_b32_e32 v1, 0, v1, vcc
	v_cndmask_b32_e32 v0, 3, v0, vcc
	v_cmp_eq_u64_e64 s[40:41], 0, v[0:1]
	v_min_i32_e32 v1, 31, v2
	v_lshlrev_b32_e32 v1, 2, v1
	v_cmp_eq_u32_e32 vcc, 0, v2
	v_and_b32_e32 v1, 0xfc, v1
	v_and_or_b32 v0, v0, 3, v1
	s_and_b64 s[40:41], vcc, s[40:41]
	v_cndmask_b32_e64 v0, v0, 0, s[40:41]
	v_or_b32_e32 v38, v0, v3
.LBB4_14173:                            ;   in Loop: Header=BB4_14063 Depth=3
	s_or_b64 exec, exec, s[48:49]
                                        ; implicit-def: $vgpr3
.LBB4_14174:                            ;   in Loop: Header=BB4_14063 Depth=3
	s_andn2_saveexec_b64 s[40:41], s[38:39]
; %bb.14175:                            ;   in Loop: Header=BB4_14063 Depth=3
	v_or_b32_e32 v38, 0x7b, v3
; %bb.14176:                            ;   in Loop: Header=BB4_14063 Depth=3
	s_or_b64 exec, exec, s[40:41]
                                        ; implicit-def: $vgpr2
                                        ; implicit-def: $vgpr0_vgpr1
.LBB4_14177:                            ;   in Loop: Header=BB4_14063 Depth=3
	s_andn2_saveexec_b64 s[40:41], s[42:43]
	s_cbranch_execz .LBB4_14183
; %bb.14178:                            ;   in Loop: Header=BB4_14063 Depth=3
	v_cmp_ne_u64_e32 vcc, 0, v[0:1]
                                        ; implicit-def: $vgpr38
	s_and_saveexec_b64 s[42:43], vcc
	s_xor_b64 s[42:43], exec, s[42:43]
; %bb.14179:                            ;   in Loop: Header=BB4_14063 Depth=3
	v_or_b32_sdwa v38, v2, s47 dst_sel:DWORD dst_unused:UNUSED_PAD src0_sel:BYTE_3 src1_sel:DWORD
                                        ; implicit-def: $vgpr2
; %bb.14180:                            ;   in Loop: Header=BB4_14063 Depth=3
	s_andn2_saveexec_b64 s[42:43], s[42:43]
; %bb.14181:                            ;   in Loop: Header=BB4_14063 Depth=3
	v_cmp_lt_i32_e32 vcc, -1, v2
	v_bfrev_b32_e32 v0, 0.5
	v_cndmask_b32_e32 v38, v0, v52, vcc
; %bb.14182:                            ;   in Loop: Header=BB4_14063 Depth=3
	s_or_b64 exec, exec, s[42:43]
.LBB4_14183:                            ;   in Loop: Header=BB4_14063 Depth=3
	s_or_b64 exec, exec, s[40:41]
	v_mov_b32_e32 v0, v9
	v_mov_b32_e32 v1, v17
	v_cmp_ne_u16_sdwa s[42:43], v9, v17 src0_sel:BYTE_0 src1_sel:DWORD
	v_mov_b32_e32 v2, 0
	s_and_saveexec_b64 s[40:41], s[42:43]
	s_cbranch_execz .LBB4_14191
; %bb.14184:                            ;   in Loop: Header=BB4_14063 Depth=3
	v_cmp_ne_u16_sdwa vcc, v9, s96 src0_sel:BYTE_0 src1_sel:DWORD
	v_bfrev_b32_e32 v2, 1
	s_and_saveexec_b64 s[42:43], vcc
	s_cbranch_execz .LBB4_14190
; %bb.14185:                            ;   in Loop: Header=BB4_14063 Depth=3
	v_and_b32_e32 v2, 0x7c, v9
	v_and_b32_e32 v3, 3, v9
	v_cmp_ne_u32_e32 vcc, s85, v2
                                        ; implicit-def: $vgpr2
	s_and_saveexec_b64 s[38:39], vcc
	s_xor_b64 s[38:39], exec, s[38:39]
	s_cbranch_execz .LBB4_14187
; %bb.14186:                            ;   in Loop: Header=BB4_14063 Depth=3
	v_ffbh_u32_e32 v2, v3
	v_min_u32_e32 v22, 32, v2
	v_subrev_u32_e32 v2, 29, v22
	v_lshlrev_b64 v[1:2], v2, v[0:1]
	v_bfe_u32 v4, v9, 2, 5
	v_and_b32_e32 v1, 3, v1
	v_cmp_eq_u32_e32 vcc, 0, v4
	v_sub_u32_e32 v2, 30, v22
	v_cndmask_b32_e32 v1, v3, v1, vcc
	v_lshlrev_b32_e32 v3, 24, v9
	v_cndmask_b32_e32 v2, v4, v2, vcc
	v_and_b32_e32 v3, 0x80000000, v3
	v_lshl_add_u32 v2, v2, 23, v3
	v_lshl_or_b32 v1, v1, 21, v2
	v_add_u32_e32 v2, 0x38000000, v1
                                        ; implicit-def: $vgpr3
.LBB4_14187:                            ;   in Loop: Header=BB4_14063 Depth=3
	s_andn2_saveexec_b64 s[38:39], s[38:39]
; %bb.14188:                            ;   in Loop: Header=BB4_14063 Depth=3
	v_mov_b32_e32 v1, -1
	v_cmp_gt_i16_sdwa vcc, sext(v9), v1 src0_sel:BYTE_0 src1_sel:DWORD
	v_mov_b32_e32 v1, 0xff800000
	v_mov_b32_e32 v2, 0x7f800000
	v_cndmask_b32_e32 v1, v1, v2, vcc
	v_cmp_eq_u32_e32 vcc, 0, v3
	v_mov_b32_e32 v2, 0x7f800001
	v_cndmask_b32_e32 v2, v2, v1, vcc
; %bb.14189:                            ;   in Loop: Header=BB4_14063 Depth=3
	s_or_b64 exec, exec, s[38:39]
.LBB4_14190:                            ;   in Loop: Header=BB4_14063 Depth=3
	s_or_b64 exec, exec, s[42:43]
.LBB4_14191:                            ;   in Loop: Header=BB4_14063 Depth=3
	s_or_b64 exec, exec, s[40:41]
	v_mul_f32_e32 v3, v23, v2
	v_and_b32_e32 v24, 0x7f800000, v3
	v_mov_b32_e32 v25, v17
	v_cmp_ne_u64_e32 vcc, s[76:77], v[24:25]
	v_and_b32_e32 v1, 0x7fffff, v3
	v_mov_b32_e32 v2, v17
                                        ; implicit-def: $vgpr4
	s_and_saveexec_b64 s[40:41], vcc
	s_xor_b64 s[42:43], exec, s[40:41]
	s_cbranch_execz .LBB4_14205
; %bb.14192:                            ;   in Loop: Header=BB4_14063 Depth=3
	v_and_b32_e32 v24, 0x7fffffff, v3
	v_mov_b32_e32 v25, v17
	v_cmp_gt_u64_e32 vcc, s[78:79], v[24:25]
	v_and_b32_sdwa v22, v3, s96 dst_sel:DWORD dst_unused:UNUSED_PAD src0_sel:BYTE_3 src1_sel:DWORD
                                        ; implicit-def: $vgpr4
	s_and_saveexec_b64 s[40:41], vcc
	s_xor_b64 s[38:39], exec, s[40:41]
	s_cbranch_execz .LBB4_14202
; %bb.14193:                            ;   in Loop: Header=BB4_14063 Depth=3
	v_mov_b32_e32 v4, 0
	v_cmp_ne_u32_e32 vcc, 0, v3
	s_and_saveexec_b64 s[48:49], vcc
	s_cbranch_execz .LBB4_14201
; %bb.14194:                            ;   in Loop: Header=BB4_14063 Depth=3
	v_bfe_u32 v4, v3, 23, 8
	v_cmp_gt_u32_e64 s[40:41], s46, v4
	v_sub_u32_e32 v3, 0x71, v4
	v_cmp_eq_u32_e32 vcc, 0, v4
	v_cndmask_b32_e64 v3, 0, v3, s[40:41]
	v_mov_b32_e32 v24, 0x70
	v_cndmask_b32_e32 v24, v3, v24, vcc
	v_add_u32_e32 v3, 21, v24
	v_or_b32_e32 v25, 0x800000, v1
	v_lshlrev_b64 v[32:33], v3, -1
	v_cndmask_b32_e32 v1, v25, v1, vcc
	v_add_u32_e32 v3, 20, v24
	v_bfi_b32 v32, v32, 0, v1
	v_lshlrev_b64 v[34:35], v3, 1
	v_lshrrev_b64 v[1:2], v24, v[1:2]
	v_bfi_b32 v33, v33, 0, 0
	v_cmp_eq_u64_e64 s[40:41], v[32:33], v[34:35]
	v_mov_b32_e32 v3, v2
	v_mov_b32_e32 v2, v1
	s_and_saveexec_b64 s[50:51], s[40:41]
; %bb.14195:                            ;   in Loop: Header=BB4_14063 Depth=3
	v_bfe_u32 v2, v1, 21, 1
	v_add_co_u32_e64 v2, s[40:41], v1, v2
	v_add_co_u32_e64 v2, s[40:41], -1, v2
; %bb.14196:                            ;   in Loop: Header=BB4_14063 Depth=3
	s_or_b64 exec, exec, s[50:51]
	v_add_u32_e32 v3, 0xffffff81, v4
	v_mov_b32_e32 v4, 0xffffff82
	v_cndmask_b32_e32 v3, v3, v4, vcc
	v_lshrrev_b32_e32 v4, 23, v1
	v_add3_u32 v24, v24, v3, v4
	v_add_u32_e32 v4, 14, v24
	v_and_b32_e32 v2, 0x1fffff, v2
	v_add_u32_e32 v1, v2, v1
	v_mov_b32_e32 v2, v17
	v_cmp_ne_u32_e32 vcc, 0, v4
                                        ; implicit-def: $vgpr3
	s_and_saveexec_b64 s[40:41], vcc
	s_xor_b64 s[40:41], exec, s[40:41]
; %bb.14197:                            ;   in Loop: Header=BB4_14063 Depth=3
	v_cmp_lt_u64_e32 vcc, s[88:89], v[1:2]
	v_add_u32_e32 v3, 15, v24
	v_cndmask_b32_e32 v3, v4, v3, vcc
	v_cndmask_b32_e64 v4, 0, 1, vcc
	v_lshrrev_b64 v[1:2], v4, v[1:2]
; %bb.14198:                            ;   in Loop: Header=BB4_14063 Depth=3
	s_andn2_saveexec_b64 s[40:41], s[40:41]
; %bb.14199:                            ;   in Loop: Header=BB4_14063 Depth=3
	v_bfe_u32 v3, v1, 23, 1
; %bb.14200:                            ;   in Loop: Header=BB4_14063 Depth=3
	s_or_b64 exec, exec, s[40:41]
	v_lshrrev_b64 v[1:2], 21, v[1:2]
	v_cmp_gt_i32_e32 vcc, 32, v3
	v_cndmask_b32_e32 v2, 0, v2, vcc
	v_cndmask_b32_e32 v1, 3, v1, vcc
	v_cmp_eq_u64_e64 s[40:41], 0, v[1:2]
	v_min_i32_e32 v2, 31, v3
	v_lshlrev_b32_e32 v2, 2, v2
	v_cmp_eq_u32_e32 vcc, 0, v3
	v_and_b32_e32 v2, 0xfc, v2
	v_and_or_b32 v1, v1, 3, v2
	s_and_b64 s[40:41], vcc, s[40:41]
	v_cndmask_b32_e64 v1, v1, 0, s[40:41]
	v_or_b32_e32 v4, v1, v22
.LBB4_14201:                            ;   in Loop: Header=BB4_14063 Depth=3
	s_or_b64 exec, exec, s[48:49]
                                        ; implicit-def: $vgpr22
.LBB4_14202:                            ;   in Loop: Header=BB4_14063 Depth=3
	s_andn2_saveexec_b64 s[40:41], s[38:39]
; %bb.14203:                            ;   in Loop: Header=BB4_14063 Depth=3
	v_or_b32_e32 v4, 0x7b, v22
; %bb.14204:                            ;   in Loop: Header=BB4_14063 Depth=3
	s_or_b64 exec, exec, s[40:41]
                                        ; implicit-def: $vgpr3
                                        ; implicit-def: $vgpr1_vgpr2
.LBB4_14205:                            ;   in Loop: Header=BB4_14063 Depth=3
	s_andn2_saveexec_b64 s[40:41], s[42:43]
	s_cbranch_execz .LBB4_14211
; %bb.14206:                            ;   in Loop: Header=BB4_14063 Depth=3
	v_cmp_ne_u64_e32 vcc, 0, v[1:2]
                                        ; implicit-def: $vgpr4
	s_and_saveexec_b64 s[42:43], vcc
	s_xor_b64 s[42:43], exec, s[42:43]
; %bb.14207:                            ;   in Loop: Header=BB4_14063 Depth=3
	v_or_b32_sdwa v4, v3, s47 dst_sel:DWORD dst_unused:UNUSED_PAD src0_sel:BYTE_3 src1_sel:DWORD
                                        ; implicit-def: $vgpr3
; %bb.14208:                            ;   in Loop: Header=BB4_14063 Depth=3
	s_andn2_saveexec_b64 s[42:43], s[42:43]
; %bb.14209:                            ;   in Loop: Header=BB4_14063 Depth=3
	v_cmp_lt_i32_e32 vcc, -1, v3
	v_bfrev_b32_e32 v1, 0.5
	v_cndmask_b32_e32 v4, v1, v52, vcc
; %bb.14210:                            ;   in Loop: Header=BB4_14063 Depth=3
	s_or_b64 exec, exec, s[42:43]
.LBB4_14211:                            ;   in Loop: Header=BB4_14063 Depth=3
	s_or_b64 exec, exec, s[40:41]
	v_lshrrev_b16_e32 v1, 8, v0
	v_cmp_ne_u16_e32 vcc, 0, v1
	v_mov_b32_e32 v2, 0
	s_and_saveexec_b64 s[40:41], vcc
	s_cbranch_execz .LBB4_14219
; %bb.14212:                            ;   in Loop: Header=BB4_14063 Depth=3
	v_cmp_ne_u16_e32 vcc, s96, v1
	v_bfrev_b32_e32 v2, 1
	s_and_saveexec_b64 s[42:43], vcc
	s_cbranch_execz .LBB4_14218
; %bb.14213:                            ;   in Loop: Header=BB4_14063 Depth=3
	v_and_b32_e32 v2, 0x7c, v1
	v_and_b32_e32 v3, 3, v1
	v_cmp_ne_u32_e32 vcc, s85, v2
                                        ; implicit-def: $vgpr2
	s_and_saveexec_b64 s[38:39], vcc
	s_xor_b64 s[38:39], exec, s[38:39]
	s_cbranch_execz .LBB4_14215
; %bb.14214:                            ;   in Loop: Header=BB4_14063 Depth=3
	v_ffbh_u32_e32 v24, v3
	v_min_u32_e32 v24, 32, v24
	v_mov_b32_e32 v2, v17
	v_subrev_u32_e32 v25, 29, v24
	v_bfe_u32 v22, v1, 2, 5
	v_lshlrev_b64 v[1:2], v25, v[1:2]
	v_sub_u32_e32 v2, 30, v24
	v_cmp_eq_u32_e32 vcc, 0, v22
	v_lshlrev_b32_e32 v0, 16, v0
	v_and_b32_e32 v1, 3, v1
	v_cndmask_b32_e32 v2, v22, v2, vcc
	v_and_b32_e32 v0, 0x80000000, v0
	v_cndmask_b32_e32 v1, v3, v1, vcc
	v_lshl_add_u32 v0, v2, 23, v0
	v_lshl_or_b32 v0, v1, 21, v0
	v_add_u32_e32 v2, 0x38000000, v0
                                        ; implicit-def: $vgpr3
                                        ; implicit-def: $vgpr0_vgpr1
.LBB4_14215:                            ;   in Loop: Header=BB4_14063 Depth=3
	s_andn2_saveexec_b64 s[38:39], s[38:39]
; %bb.14216:                            ;   in Loop: Header=BB4_14063 Depth=3
	v_cmp_lt_i16_e32 vcc, -1, v0
	v_mov_b32_e32 v0, 0xff800000
	v_mov_b32_e32 v1, 0x7f800000
	v_cndmask_b32_e32 v0, v0, v1, vcc
	v_cmp_eq_u32_e32 vcc, 0, v3
	v_mov_b32_e32 v1, 0x7f800001
	v_cndmask_b32_e32 v2, v1, v0, vcc
; %bb.14217:                            ;   in Loop: Header=BB4_14063 Depth=3
	s_or_b64 exec, exec, s[38:39]
.LBB4_14218:                            ;   in Loop: Header=BB4_14063 Depth=3
	s_or_b64 exec, exec, s[42:43]
.LBB4_14219:                            ;   in Loop: Header=BB4_14063 Depth=3
	s_or_b64 exec, exec, s[40:41]
	v_mul_f32_e32 v2, v23, v2
	v_and_b32_e32 v24, 0x7f800000, v2
	v_mov_b32_e32 v25, v17
	v_cmp_ne_u64_e32 vcc, s[76:77], v[24:25]
	v_and_b32_e32 v0, 0x7fffff, v2
	v_mov_b32_e32 v1, v17
                                        ; implicit-def: $vgpr34
	s_and_saveexec_b64 s[40:41], vcc
	s_xor_b64 s[42:43], exec, s[40:41]
	s_cbranch_execz .LBB4_14233
; %bb.14220:                            ;   in Loop: Header=BB4_14063 Depth=3
	v_and_b32_e32 v24, 0x7fffffff, v2
	v_mov_b32_e32 v25, v17
	v_cmp_gt_u64_e32 vcc, s[78:79], v[24:25]
	v_and_b32_sdwa v3, v2, s96 dst_sel:DWORD dst_unused:UNUSED_PAD src0_sel:BYTE_3 src1_sel:DWORD
                                        ; implicit-def: $vgpr34
	s_and_saveexec_b64 s[40:41], vcc
	s_xor_b64 s[38:39], exec, s[40:41]
	s_cbranch_execz .LBB4_14230
; %bb.14221:                            ;   in Loop: Header=BB4_14063 Depth=3
	v_mov_b32_e32 v34, 0
	v_cmp_ne_u32_e32 vcc, 0, v2
	s_and_saveexec_b64 s[48:49], vcc
	s_cbranch_execz .LBB4_14229
; %bb.14222:                            ;   in Loop: Header=BB4_14063 Depth=3
	v_bfe_u32 v22, v2, 23, 8
	v_cmp_gt_u32_e64 s[40:41], s46, v22
	v_sub_u32_e32 v2, 0x71, v22
	v_cmp_eq_u32_e32 vcc, 0, v22
	v_cndmask_b32_e64 v2, 0, v2, s[40:41]
	v_mov_b32_e32 v24, 0x70
	v_cndmask_b32_e32 v24, v2, v24, vcc
	v_add_u32_e32 v2, 21, v24
	v_or_b32_e32 v25, 0x800000, v0
	v_lshlrev_b64 v[32:33], v2, -1
	v_cndmask_b32_e32 v0, v25, v0, vcc
	v_add_u32_e32 v2, 20, v24
	v_bfi_b32 v32, v32, 0, v0
	v_lshlrev_b64 v[34:35], v2, 1
	v_lshrrev_b64 v[0:1], v24, v[0:1]
	v_bfi_b32 v33, v33, 0, 0
	v_cmp_eq_u64_e64 s[40:41], v[32:33], v[34:35]
	v_mov_b32_e32 v2, v1
	v_mov_b32_e32 v1, v0
	s_and_saveexec_b64 s[50:51], s[40:41]
; %bb.14223:                            ;   in Loop: Header=BB4_14063 Depth=3
	v_bfe_u32 v1, v0, 21, 1
	v_add_co_u32_e64 v1, s[40:41], v0, v1
	v_add_co_u32_e64 v1, s[40:41], -1, v1
; %bb.14224:                            ;   in Loop: Header=BB4_14063 Depth=3
	s_or_b64 exec, exec, s[50:51]
	v_add_u32_e32 v2, 0xffffff81, v22
	v_mov_b32_e32 v22, 0xffffff82
	v_cndmask_b32_e32 v2, v2, v22, vcc
	v_lshrrev_b32_e32 v22, 23, v0
	v_add3_u32 v24, v24, v2, v22
	v_add_u32_e32 v22, 14, v24
	v_and_b32_e32 v1, 0x1fffff, v1
	v_add_u32_e32 v0, v1, v0
	v_mov_b32_e32 v1, v17
	v_cmp_ne_u32_e32 vcc, 0, v22
                                        ; implicit-def: $vgpr2
	s_and_saveexec_b64 s[40:41], vcc
	s_xor_b64 s[40:41], exec, s[40:41]
; %bb.14225:                            ;   in Loop: Header=BB4_14063 Depth=3
	v_cmp_lt_u64_e32 vcc, s[88:89], v[0:1]
	v_add_u32_e32 v2, 15, v24
	v_cndmask_b32_e32 v2, v22, v2, vcc
	v_cndmask_b32_e64 v22, 0, 1, vcc
	v_lshrrev_b64 v[0:1], v22, v[0:1]
; %bb.14226:                            ;   in Loop: Header=BB4_14063 Depth=3
	s_andn2_saveexec_b64 s[40:41], s[40:41]
; %bb.14227:                            ;   in Loop: Header=BB4_14063 Depth=3
	v_bfe_u32 v2, v0, 23, 1
; %bb.14228:                            ;   in Loop: Header=BB4_14063 Depth=3
	s_or_b64 exec, exec, s[40:41]
	v_lshrrev_b64 v[0:1], 21, v[0:1]
	v_cmp_gt_i32_e32 vcc, 32, v2
	v_cndmask_b32_e32 v1, 0, v1, vcc
	v_cndmask_b32_e32 v0, 3, v0, vcc
	v_cmp_eq_u64_e64 s[40:41], 0, v[0:1]
	v_min_i32_e32 v1, 31, v2
	v_lshlrev_b32_e32 v1, 2, v1
	v_cmp_eq_u32_e32 vcc, 0, v2
	v_and_b32_e32 v1, 0xfc, v1
	v_and_or_b32 v0, v0, 3, v1
	s_and_b64 s[40:41], vcc, s[40:41]
	v_cndmask_b32_e64 v0, v0, 0, s[40:41]
	v_or_b32_e32 v34, v0, v3
.LBB4_14229:                            ;   in Loop: Header=BB4_14063 Depth=3
	s_or_b64 exec, exec, s[48:49]
                                        ; implicit-def: $vgpr3
.LBB4_14230:                            ;   in Loop: Header=BB4_14063 Depth=3
	s_andn2_saveexec_b64 s[40:41], s[38:39]
; %bb.14231:                            ;   in Loop: Header=BB4_14063 Depth=3
	v_or_b32_e32 v34, 0x7b, v3
; %bb.14232:                            ;   in Loop: Header=BB4_14063 Depth=3
	s_or_b64 exec, exec, s[40:41]
                                        ; implicit-def: $vgpr2
                                        ; implicit-def: $vgpr0_vgpr1
.LBB4_14233:                            ;   in Loop: Header=BB4_14063 Depth=3
	s_andn2_saveexec_b64 s[40:41], s[42:43]
	s_cbranch_execz .LBB4_14239
; %bb.14234:                            ;   in Loop: Header=BB4_14063 Depth=3
	v_cmp_ne_u64_e32 vcc, 0, v[0:1]
                                        ; implicit-def: $vgpr34
	s_and_saveexec_b64 s[42:43], vcc
	s_xor_b64 s[42:43], exec, s[42:43]
; %bb.14235:                            ;   in Loop: Header=BB4_14063 Depth=3
	v_or_b32_sdwa v34, v2, s47 dst_sel:DWORD dst_unused:UNUSED_PAD src0_sel:BYTE_3 src1_sel:DWORD
                                        ; implicit-def: $vgpr2
; %bb.14236:                            ;   in Loop: Header=BB4_14063 Depth=3
	s_andn2_saveexec_b64 s[42:43], s[42:43]
; %bb.14237:                            ;   in Loop: Header=BB4_14063 Depth=3
	v_cmp_lt_i32_e32 vcc, -1, v2
	v_bfrev_b32_e32 v0, 0.5
	v_cndmask_b32_e32 v34, v0, v52, vcc
; %bb.14238:                            ;   in Loop: Header=BB4_14063 Depth=3
	s_or_b64 exec, exec, s[42:43]
.LBB4_14239:                            ;   in Loop: Header=BB4_14063 Depth=3
	s_or_b64 exec, exec, s[40:41]
	v_lshrrev_b32_e32 v0, 16, v9
	v_cmp_ne_u16_sdwa s[42:43], v0, v17 src0_sel:BYTE_0 src1_sel:DWORD
	v_mov_b32_e32 v1, 0
	s_and_saveexec_b64 s[40:41], s[42:43]
	s_cbranch_execz .LBB4_14247
; %bb.14240:                            ;   in Loop: Header=BB4_14063 Depth=3
	v_cmp_ne_u16_sdwa vcc, v0, s96 src0_sel:BYTE_0 src1_sel:DWORD
	v_bfrev_b32_e32 v1, 1
	s_and_saveexec_b64 s[42:43], vcc
	s_cbranch_execz .LBB4_14246
; %bb.14241:                            ;   in Loop: Header=BB4_14063 Depth=3
	v_and_b32_e32 v1, 0x7c0000, v9
	v_bfe_u32 v2, v9, 16, 2
	v_cmp_ne_u32_e32 vcc, s44, v1
                                        ; implicit-def: $vgpr1
	s_and_saveexec_b64 s[38:39], vcc
	s_xor_b64 s[38:39], exec, s[38:39]
	s_cbranch_execz .LBB4_14243
; %bb.14242:                            ;   in Loop: Header=BB4_14063 Depth=3
	v_ffbh_u32_e32 v1, v2
	v_min_u32_e32 v22, 32, v1
	v_subrev_u32_e32 v1, 29, v22
	v_lshlrev_b64 v[0:1], v1, v[0:1]
	v_bfe_u32 v3, v9, 18, 5
	v_and_b32_e32 v0, 3, v0
	v_cmp_eq_u32_e32 vcc, 0, v3
	v_sub_u32_e32 v1, 30, v22
	v_cndmask_b32_e32 v0, v2, v0, vcc
	v_lshlrev_b32_e32 v2, 8, v9
	v_cndmask_b32_e32 v1, v3, v1, vcc
	v_and_b32_e32 v2, 0x80000000, v2
	v_lshl_add_u32 v1, v1, 23, v2
	v_lshl_or_b32 v0, v0, 21, v1
	v_add_u32_e32 v1, 0x38000000, v0
                                        ; implicit-def: $vgpr2
                                        ; implicit-def: $vgpr0
.LBB4_14243:                            ;   in Loop: Header=BB4_14063 Depth=3
	s_andn2_saveexec_b64 s[38:39], s[38:39]
; %bb.14244:                            ;   in Loop: Header=BB4_14063 Depth=3
	v_mov_b32_e32 v1, -1
	v_cmp_gt_i16_sdwa vcc, sext(v0), v1 src0_sel:BYTE_0 src1_sel:DWORD
	v_mov_b32_e32 v0, 0xff800000
	v_mov_b32_e32 v1, 0x7f800000
	v_cndmask_b32_e32 v0, v0, v1, vcc
	v_cmp_eq_u32_e32 vcc, 0, v2
	v_mov_b32_e32 v1, 0x7f800001
	v_cndmask_b32_e32 v1, v1, v0, vcc
; %bb.14245:                            ;   in Loop: Header=BB4_14063 Depth=3
	s_or_b64 exec, exec, s[38:39]
.LBB4_14246:                            ;   in Loop: Header=BB4_14063 Depth=3
	s_or_b64 exec, exec, s[42:43]
.LBB4_14247:                            ;   in Loop: Header=BB4_14063 Depth=3
	s_or_b64 exec, exec, s[40:41]
	v_mul_f32_e32 v2, v23, v1
	v_and_b32_e32 v24, 0x7f800000, v2
	v_mov_b32_e32 v25, v17
	v_cmp_ne_u64_e32 vcc, s[76:77], v[24:25]
	v_and_b32_e32 v0, 0x7fffff, v2
	v_mov_b32_e32 v1, v17
                                        ; implicit-def: $vgpr36
	s_and_saveexec_b64 s[40:41], vcc
	s_xor_b64 s[42:43], exec, s[40:41]
	s_cbranch_execz .LBB4_14261
; %bb.14248:                            ;   in Loop: Header=BB4_14063 Depth=3
	v_and_b32_e32 v24, 0x7fffffff, v2
	v_mov_b32_e32 v25, v17
	v_cmp_gt_u64_e32 vcc, s[78:79], v[24:25]
	v_and_b32_sdwa v3, v2, s96 dst_sel:DWORD dst_unused:UNUSED_PAD src0_sel:BYTE_3 src1_sel:DWORD
                                        ; implicit-def: $vgpr36
	s_and_saveexec_b64 s[40:41], vcc
	s_xor_b64 s[38:39], exec, s[40:41]
	s_cbranch_execz .LBB4_14258
; %bb.14249:                            ;   in Loop: Header=BB4_14063 Depth=3
	v_mov_b32_e32 v36, 0
	v_cmp_ne_u32_e32 vcc, 0, v2
	s_and_saveexec_b64 s[48:49], vcc
	s_cbranch_execz .LBB4_14257
; %bb.14250:                            ;   in Loop: Header=BB4_14063 Depth=3
	v_bfe_u32 v22, v2, 23, 8
	v_cmp_gt_u32_e64 s[40:41], s46, v22
	v_sub_u32_e32 v2, 0x71, v22
	v_cmp_eq_u32_e32 vcc, 0, v22
	v_cndmask_b32_e64 v2, 0, v2, s[40:41]
	v_mov_b32_e32 v24, 0x70
	v_cndmask_b32_e32 v24, v2, v24, vcc
	v_add_u32_e32 v2, 21, v24
	v_or_b32_e32 v25, 0x800000, v0
	v_lshlrev_b64 v[32:33], v2, -1
	v_cndmask_b32_e32 v0, v25, v0, vcc
	v_add_u32_e32 v2, 20, v24
	v_bfi_b32 v32, v32, 0, v0
	v_lshlrev_b64 v[35:36], v2, 1
	v_lshrrev_b64 v[0:1], v24, v[0:1]
	v_bfi_b32 v33, v33, 0, 0
	v_cmp_eq_u64_e64 s[40:41], v[32:33], v[35:36]
	v_mov_b32_e32 v2, v1
	v_mov_b32_e32 v1, v0
	s_and_saveexec_b64 s[50:51], s[40:41]
; %bb.14251:                            ;   in Loop: Header=BB4_14063 Depth=3
	v_bfe_u32 v1, v0, 21, 1
	v_add_co_u32_e64 v1, s[40:41], v0, v1
	v_add_co_u32_e64 v1, s[40:41], -1, v1
; %bb.14252:                            ;   in Loop: Header=BB4_14063 Depth=3
	s_or_b64 exec, exec, s[50:51]
	v_add_u32_e32 v2, 0xffffff81, v22
	v_mov_b32_e32 v22, 0xffffff82
	v_cndmask_b32_e32 v2, v2, v22, vcc
	v_lshrrev_b32_e32 v22, 23, v0
	v_add3_u32 v24, v24, v2, v22
	v_add_u32_e32 v22, 14, v24
	v_and_b32_e32 v1, 0x1fffff, v1
	v_add_u32_e32 v0, v1, v0
	v_mov_b32_e32 v1, v17
	v_cmp_ne_u32_e32 vcc, 0, v22
                                        ; implicit-def: $vgpr2
	s_and_saveexec_b64 s[40:41], vcc
	s_xor_b64 s[40:41], exec, s[40:41]
; %bb.14253:                            ;   in Loop: Header=BB4_14063 Depth=3
	v_cmp_lt_u64_e32 vcc, s[88:89], v[0:1]
	v_add_u32_e32 v2, 15, v24
	v_cndmask_b32_e32 v2, v22, v2, vcc
	v_cndmask_b32_e64 v22, 0, 1, vcc
	v_lshrrev_b64 v[0:1], v22, v[0:1]
; %bb.14254:                            ;   in Loop: Header=BB4_14063 Depth=3
	s_andn2_saveexec_b64 s[40:41], s[40:41]
; %bb.14255:                            ;   in Loop: Header=BB4_14063 Depth=3
	v_bfe_u32 v2, v0, 23, 1
; %bb.14256:                            ;   in Loop: Header=BB4_14063 Depth=3
	s_or_b64 exec, exec, s[40:41]
	v_lshrrev_b64 v[0:1], 21, v[0:1]
	v_cmp_gt_i32_e32 vcc, 32, v2
	v_cndmask_b32_e32 v1, 0, v1, vcc
	v_cndmask_b32_e32 v0, 3, v0, vcc
	v_cmp_eq_u64_e64 s[40:41], 0, v[0:1]
	v_min_i32_e32 v1, 31, v2
	v_lshlrev_b32_e32 v1, 2, v1
	v_cmp_eq_u32_e32 vcc, 0, v2
	v_and_b32_e32 v1, 0xfc, v1
	v_and_or_b32 v0, v0, 3, v1
	s_and_b64 s[40:41], vcc, s[40:41]
	v_cndmask_b32_e64 v0, v0, 0, s[40:41]
	v_or_b32_e32 v36, v0, v3
.LBB4_14257:                            ;   in Loop: Header=BB4_14063 Depth=3
	s_or_b64 exec, exec, s[48:49]
                                        ; implicit-def: $vgpr3
.LBB4_14258:                            ;   in Loop: Header=BB4_14063 Depth=3
	s_andn2_saveexec_b64 s[40:41], s[38:39]
; %bb.14259:                            ;   in Loop: Header=BB4_14063 Depth=3
	v_or_b32_e32 v36, 0x7b, v3
; %bb.14260:                            ;   in Loop: Header=BB4_14063 Depth=3
	s_or_b64 exec, exec, s[40:41]
                                        ; implicit-def: $vgpr2
                                        ; implicit-def: $vgpr0_vgpr1
.LBB4_14261:                            ;   in Loop: Header=BB4_14063 Depth=3
	s_andn2_saveexec_b64 s[40:41], s[42:43]
	s_cbranch_execz .LBB4_14267
; %bb.14262:                            ;   in Loop: Header=BB4_14063 Depth=3
	v_cmp_ne_u64_e32 vcc, 0, v[0:1]
                                        ; implicit-def: $vgpr36
	s_and_saveexec_b64 s[42:43], vcc
	s_xor_b64 s[42:43], exec, s[42:43]
; %bb.14263:                            ;   in Loop: Header=BB4_14063 Depth=3
	v_or_b32_sdwa v36, v2, s47 dst_sel:DWORD dst_unused:UNUSED_PAD src0_sel:BYTE_3 src1_sel:DWORD
                                        ; implicit-def: $vgpr2
; %bb.14264:                            ;   in Loop: Header=BB4_14063 Depth=3
	s_andn2_saveexec_b64 s[42:43], s[42:43]
; %bb.14265:                            ;   in Loop: Header=BB4_14063 Depth=3
	v_cmp_lt_i32_e32 vcc, -1, v2
	v_bfrev_b32_e32 v0, 0.5
	v_cndmask_b32_e32 v36, v0, v52, vcc
; %bb.14266:                            ;   in Loop: Header=BB4_14063 Depth=3
	s_or_b64 exec, exec, s[42:43]
.LBB4_14267:                            ;   in Loop: Header=BB4_14063 Depth=3
	s_or_b64 exec, exec, s[40:41]
	v_cmp_lt_u64_e32 vcc, s[56:57], v[8:9]
	v_mov_b32_e32 v1, 0
	s_and_saveexec_b64 s[40:41], vcc
	s_cbranch_execz .LBB4_14275
; %bb.14268:                            ;   in Loop: Header=BB4_14063 Depth=3
	v_lshrrev_b32_e32 v0, 24, v9
	v_cmp_ne_u32_e32 vcc, s96, v0
	v_bfrev_b32_e32 v1, 1
	s_and_saveexec_b64 s[42:43], vcc
	s_cbranch_execz .LBB4_14274
; %bb.14269:                            ;   in Loop: Header=BB4_14063 Depth=3
	v_and_b32_e32 v1, 0x7c000000, v9
	v_bfe_u32 v2, v9, 24, 2
	v_cmp_ne_u32_e32 vcc, s45, v1
                                        ; implicit-def: $vgpr1
	s_and_saveexec_b64 s[38:39], vcc
	s_xor_b64 s[38:39], exec, s[38:39]
	s_cbranch_execz .LBB4_14271
; %bb.14270:                            ;   in Loop: Header=BB4_14063 Depth=3
	v_ffbh_u32_e32 v1, v2
	v_min_u32_e32 v22, 32, v1
	v_subrev_u32_e32 v1, 29, v22
	v_lshlrev_b64 v[0:1], v1, v[0:1]
	v_bfe_u32 v3, v9, 26, 5
	v_sub_u32_e32 v1, 30, v22
	v_and_b32_e32 v0, 3, v0
	v_cmp_eq_u32_e32 vcc, 0, v3
	v_cndmask_b32_e32 v1, v3, v1, vcc
	v_cndmask_b32_e32 v0, v2, v0, vcc
	v_and_b32_e32 v2, 0x80000000, v9
	v_lshl_add_u32 v1, v1, 23, v2
	v_lshl_or_b32 v0, v0, 21, v1
	v_add_u32_e32 v1, 0x38000000, v0
                                        ; implicit-def: $vgpr2
.LBB4_14271:                            ;   in Loop: Header=BB4_14063 Depth=3
	s_andn2_saveexec_b64 s[38:39], s[38:39]
; %bb.14272:                            ;   in Loop: Header=BB4_14063 Depth=3
	v_cmp_lt_i64_e32 vcc, -1, v[8:9]
	v_mov_b32_e32 v0, 0xff800000
	v_mov_b32_e32 v1, 0x7f800000
	v_cndmask_b32_e32 v0, v0, v1, vcc
	v_cmp_eq_u32_e32 vcc, 0, v2
	v_mov_b32_e32 v1, 0x7f800001
	v_cndmask_b32_e32 v1, v1, v0, vcc
; %bb.14273:                            ;   in Loop: Header=BB4_14063 Depth=3
	s_or_b64 exec, exec, s[38:39]
.LBB4_14274:                            ;   in Loop: Header=BB4_14063 Depth=3
	s_or_b64 exec, exec, s[42:43]
.LBB4_14275:                            ;   in Loop: Header=BB4_14063 Depth=3
	s_or_b64 exec, exec, s[40:41]
	v_mul_f32_e32 v2, v23, v1
	v_and_b32_e32 v8, 0x7f800000, v2
	v_mov_b32_e32 v9, v17
	v_cmp_ne_u64_e32 vcc, s[76:77], v[8:9]
	v_and_b32_e32 v0, 0x7fffff, v2
	v_mov_b32_e32 v1, v17
                                        ; implicit-def: $vgpr37
	s_and_saveexec_b64 s[40:41], vcc
	s_xor_b64 s[42:43], exec, s[40:41]
	s_cbranch_execz .LBB4_14289
; %bb.14276:                            ;   in Loop: Header=BB4_14063 Depth=3
	v_and_b32_e32 v8, 0x7fffffff, v2
	v_mov_b32_e32 v9, v17
	v_cmp_gt_u64_e32 vcc, s[78:79], v[8:9]
	v_and_b32_sdwa v3, v2, s96 dst_sel:DWORD dst_unused:UNUSED_PAD src0_sel:BYTE_3 src1_sel:DWORD
                                        ; implicit-def: $vgpr37
	s_and_saveexec_b64 s[40:41], vcc
	s_xor_b64 s[38:39], exec, s[40:41]
	s_cbranch_execz .LBB4_14286
; %bb.14277:                            ;   in Loop: Header=BB4_14063 Depth=3
	v_mov_b32_e32 v37, 0
	v_cmp_ne_u32_e32 vcc, 0, v2
	s_and_saveexec_b64 s[48:49], vcc
	s_cbranch_execz .LBB4_14285
; %bb.14278:                            ;   in Loop: Header=BB4_14063 Depth=3
	v_bfe_u32 v8, v2, 23, 8
	v_cmp_gt_u32_e64 s[40:41], s46, v8
	v_sub_u32_e32 v2, 0x71, v8
	v_cmp_eq_u32_e32 vcc, 0, v8
	v_cndmask_b32_e64 v2, 0, v2, s[40:41]
	v_mov_b32_e32 v9, 0x70
	v_cndmask_b32_e32 v9, v2, v9, vcc
	v_add_u32_e32 v2, 21, v9
	v_or_b32_e32 v22, 0x800000, v0
	v_lshlrev_b64 v[24:25], v2, -1
	v_cndmask_b32_e32 v0, v22, v0, vcc
	v_add_u32_e32 v2, 20, v9
	v_bfi_b32 v24, v24, 0, v0
	v_lshlrev_b64 v[32:33], v2, 1
	v_lshrrev_b64 v[0:1], v9, v[0:1]
	v_bfi_b32 v25, v25, 0, 0
	v_cmp_eq_u64_e64 s[40:41], v[24:25], v[32:33]
	v_mov_b32_e32 v2, v1
	v_mov_b32_e32 v1, v0
	s_and_saveexec_b64 s[50:51], s[40:41]
; %bb.14279:                            ;   in Loop: Header=BB4_14063 Depth=3
	v_bfe_u32 v1, v0, 21, 1
	v_add_co_u32_e64 v1, s[40:41], v0, v1
	v_add_co_u32_e64 v1, s[40:41], -1, v1
; %bb.14280:                            ;   in Loop: Header=BB4_14063 Depth=3
	s_or_b64 exec, exec, s[50:51]
	v_add_u32_e32 v2, 0xffffff81, v8
	v_mov_b32_e32 v8, 0xffffff82
	v_cndmask_b32_e32 v2, v2, v8, vcc
	v_lshrrev_b32_e32 v8, 23, v0
	v_add3_u32 v9, v9, v2, v8
	v_add_u32_e32 v8, 14, v9
	v_and_b32_e32 v1, 0x1fffff, v1
	v_add_u32_e32 v0, v1, v0
	v_mov_b32_e32 v1, v17
	v_cmp_ne_u32_e32 vcc, 0, v8
                                        ; implicit-def: $vgpr2
	s_and_saveexec_b64 s[40:41], vcc
	s_xor_b64 s[40:41], exec, s[40:41]
; %bb.14281:                            ;   in Loop: Header=BB4_14063 Depth=3
	v_cmp_lt_u64_e32 vcc, s[88:89], v[0:1]
	v_add_u32_e32 v2, 15, v9
	v_cndmask_b32_e32 v2, v8, v2, vcc
	v_cndmask_b32_e64 v8, 0, 1, vcc
	v_lshrrev_b64 v[0:1], v8, v[0:1]
; %bb.14282:                            ;   in Loop: Header=BB4_14063 Depth=3
	s_andn2_saveexec_b64 s[40:41], s[40:41]
; %bb.14283:                            ;   in Loop: Header=BB4_14063 Depth=3
	v_bfe_u32 v2, v0, 23, 1
; %bb.14284:                            ;   in Loop: Header=BB4_14063 Depth=3
	s_or_b64 exec, exec, s[40:41]
	v_lshrrev_b64 v[0:1], 21, v[0:1]
	v_cmp_gt_i32_e32 vcc, 32, v2
	v_cndmask_b32_e32 v1, 0, v1, vcc
	v_cndmask_b32_e32 v0, 3, v0, vcc
	v_cmp_eq_u64_e64 s[40:41], 0, v[0:1]
	v_min_i32_e32 v1, 31, v2
	v_lshlrev_b32_e32 v1, 2, v1
	v_cmp_eq_u32_e32 vcc, 0, v2
	v_and_b32_e32 v1, 0xfc, v1
	v_and_or_b32 v0, v0, 3, v1
	s_and_b64 s[40:41], vcc, s[40:41]
	v_cndmask_b32_e64 v0, v0, 0, s[40:41]
	v_or_b32_e32 v37, v0, v3
.LBB4_14285:                            ;   in Loop: Header=BB4_14063 Depth=3
	s_or_b64 exec, exec, s[48:49]
                                        ; implicit-def: $vgpr3
.LBB4_14286:                            ;   in Loop: Header=BB4_14063 Depth=3
	s_andn2_saveexec_b64 s[40:41], s[38:39]
; %bb.14287:                            ;   in Loop: Header=BB4_14063 Depth=3
	v_or_b32_e32 v37, 0x7b, v3
; %bb.14288:                            ;   in Loop: Header=BB4_14063 Depth=3
	s_or_b64 exec, exec, s[40:41]
                                        ; implicit-def: $vgpr2
                                        ; implicit-def: $vgpr0_vgpr1
.LBB4_14289:                            ;   in Loop: Header=BB4_14063 Depth=3
	s_andn2_saveexec_b64 s[40:41], s[42:43]
	s_cbranch_execz .LBB4_14295
; %bb.14290:                            ;   in Loop: Header=BB4_14063 Depth=3
	v_cmp_ne_u64_e32 vcc, 0, v[0:1]
                                        ; implicit-def: $vgpr37
	s_and_saveexec_b64 s[42:43], vcc
	s_xor_b64 s[42:43], exec, s[42:43]
; %bb.14291:                            ;   in Loop: Header=BB4_14063 Depth=3
	v_or_b32_sdwa v37, v2, s47 dst_sel:DWORD dst_unused:UNUSED_PAD src0_sel:BYTE_3 src1_sel:DWORD
                                        ; implicit-def: $vgpr2
; %bb.14292:                            ;   in Loop: Header=BB4_14063 Depth=3
	s_andn2_saveexec_b64 s[42:43], s[42:43]
; %bb.14293:                            ;   in Loop: Header=BB4_14063 Depth=3
	v_cmp_lt_i32_e32 vcc, -1, v2
	v_bfrev_b32_e32 v0, 0.5
	v_cndmask_b32_e32 v37, v0, v52, vcc
; %bb.14294:                            ;   in Loop: Header=BB4_14063 Depth=3
	s_or_b64 exec, exec, s[42:43]
.LBB4_14295:                            ;   in Loop: Header=BB4_14063 Depth=3
	s_or_b64 exec, exec, s[40:41]
	v_cmp_ne_u16_sdwa s[42:43], v10, v17 src0_sel:BYTE_0 src1_sel:DWORD
	v_mov_b32_e32 v0, 0
	s_and_saveexec_b64 s[40:41], s[42:43]
	s_cbranch_execz .LBB4_14303
; %bb.14296:                            ;   in Loop: Header=BB4_14063 Depth=3
	v_cmp_ne_u16_sdwa vcc, sext(v10), s97 src0_sel:BYTE_0 src1_sel:DWORD
	v_bfrev_b32_e32 v0, 1
	s_and_saveexec_b64 s[42:43], vcc
	s_cbranch_execz .LBB4_14302
; %bb.14297:                            ;   in Loop: Header=BB4_14063 Depth=3
	v_and_b32_e32 v0, 0x7c, v10
	v_and_b32_e32 v1, 3, v10
	v_cmp_ne_u32_e32 vcc, s85, v0
                                        ; implicit-def: $vgpr0
	s_and_saveexec_b64 s[38:39], vcc
	s_xor_b64 s[38:39], exec, s[38:39]
	s_cbranch_execz .LBB4_14299
; %bb.14298:                            ;   in Loop: Header=BB4_14063 Depth=3
	v_ffbh_u32_e32 v2, v1
	v_min_u32_e32 v8, 32, v2
	v_subrev_u32_e32 v2, 29, v8
	v_lshlrev_b64 v[2:3], v2, v[10:11]
	v_bfe_u32 v0, v10, 2, 5
	v_and_b32_e32 v2, 3, v2
	v_cmp_eq_u32_e32 vcc, 0, v0
	v_sub_u32_e32 v3, 30, v8
	v_cndmask_b32_e32 v1, v1, v2, vcc
	v_lshlrev_b32_e32 v2, 24, v10
	v_cndmask_b32_e32 v0, v0, v3, vcc
	v_and_b32_e32 v2, 0x80000000, v2
	v_lshl_add_u32 v0, v0, 23, v2
	v_lshl_or_b32 v0, v1, 21, v0
	v_add_u32_e32 v0, 0x38000000, v0
                                        ; implicit-def: $vgpr1
.LBB4_14299:                            ;   in Loop: Header=BB4_14063 Depth=3
	s_andn2_saveexec_b64 s[38:39], s[38:39]
; %bb.14300:                            ;   in Loop: Header=BB4_14063 Depth=3
	v_mov_b32_e32 v0, -1
	v_cmp_gt_i16_sdwa vcc, sext(v10), v0 src0_sel:BYTE_0 src1_sel:DWORD
	v_mov_b32_e32 v0, 0xff800000
	v_mov_b32_e32 v2, 0x7f800000
	v_cndmask_b32_e32 v0, v0, v2, vcc
	v_cmp_eq_u32_e32 vcc, 0, v1
	v_mov_b32_e32 v1, 0x7f800001
	v_cndmask_b32_e32 v0, v1, v0, vcc
; %bb.14301:                            ;   in Loop: Header=BB4_14063 Depth=3
	s_or_b64 exec, exec, s[38:39]
.LBB4_14302:                            ;   in Loop: Header=BB4_14063 Depth=3
	s_or_b64 exec, exec, s[42:43]
.LBB4_14303:                            ;   in Loop: Header=BB4_14063 Depth=3
	s_or_b64 exec, exec, s[40:41]
	v_mul_f32_e32 v2, v23, v0
	v_and_b32_e32 v8, 0x7f800000, v2
	v_mov_b32_e32 v9, v17
	v_cmp_ne_u64_e32 vcc, s[76:77], v[8:9]
	v_and_b32_e32 v0, 0x7fffff, v2
	v_mov_b32_e32 v1, v17
                                        ; implicit-def: $vgpr24
	s_and_saveexec_b64 s[40:41], vcc
	s_xor_b64 s[42:43], exec, s[40:41]
	s_cbranch_execz .LBB4_14317
; %bb.14304:                            ;   in Loop: Header=BB4_14063 Depth=3
	v_and_b32_e32 v8, 0x7fffffff, v2
	v_mov_b32_e32 v9, v17
	v_cmp_gt_u64_e32 vcc, s[78:79], v[8:9]
	v_and_b32_sdwa v3, v2, s96 dst_sel:DWORD dst_unused:UNUSED_PAD src0_sel:BYTE_3 src1_sel:DWORD
                                        ; implicit-def: $vgpr24
	s_and_saveexec_b64 s[40:41], vcc
	s_xor_b64 s[38:39], exec, s[40:41]
	s_cbranch_execz .LBB4_14314
; %bb.14305:                            ;   in Loop: Header=BB4_14063 Depth=3
	v_mov_b32_e32 v24, 0
	v_cmp_ne_u32_e32 vcc, 0, v2
	s_and_saveexec_b64 s[48:49], vcc
	s_cbranch_execz .LBB4_14313
; %bb.14306:                            ;   in Loop: Header=BB4_14063 Depth=3
	v_bfe_u32 v8, v2, 23, 8
	v_cmp_gt_u32_e64 s[40:41], s46, v8
	v_sub_u32_e32 v2, 0x71, v8
	v_cmp_eq_u32_e32 vcc, 0, v8
	v_cndmask_b32_e64 v2, 0, v2, s[40:41]
	v_mov_b32_e32 v9, 0x70
	v_cndmask_b32_e32 v9, v2, v9, vcc
	v_add_u32_e32 v2, 21, v9
	v_or_b32_e32 v22, 0x800000, v0
	v_lshlrev_b64 v[24:25], v2, -1
	v_cndmask_b32_e32 v0, v22, v0, vcc
	v_add_u32_e32 v2, 20, v9
	v_bfi_b32 v24, v24, 0, v0
	v_lshlrev_b64 v[32:33], v2, 1
	v_lshrrev_b64 v[0:1], v9, v[0:1]
	v_bfi_b32 v25, v25, 0, 0
	v_cmp_eq_u64_e64 s[40:41], v[24:25], v[32:33]
	v_mov_b32_e32 v2, v1
	v_mov_b32_e32 v1, v0
	s_and_saveexec_b64 s[50:51], s[40:41]
; %bb.14307:                            ;   in Loop: Header=BB4_14063 Depth=3
	v_bfe_u32 v1, v0, 21, 1
	v_add_co_u32_e64 v1, s[40:41], v0, v1
	v_add_co_u32_e64 v1, s[40:41], -1, v1
; %bb.14308:                            ;   in Loop: Header=BB4_14063 Depth=3
	s_or_b64 exec, exec, s[50:51]
	v_add_u32_e32 v2, 0xffffff81, v8
	v_mov_b32_e32 v8, 0xffffff82
	v_cndmask_b32_e32 v2, v2, v8, vcc
	v_lshrrev_b32_e32 v8, 23, v0
	v_add3_u32 v9, v9, v2, v8
	v_add_u32_e32 v8, 14, v9
	v_and_b32_e32 v1, 0x1fffff, v1
	v_add_u32_e32 v0, v1, v0
	v_mov_b32_e32 v1, v17
	v_cmp_ne_u32_e32 vcc, 0, v8
                                        ; implicit-def: $vgpr2
	s_and_saveexec_b64 s[40:41], vcc
	s_xor_b64 s[40:41], exec, s[40:41]
; %bb.14309:                            ;   in Loop: Header=BB4_14063 Depth=3
	v_cmp_lt_u64_e32 vcc, s[88:89], v[0:1]
	v_add_u32_e32 v2, 15, v9
	v_cndmask_b32_e32 v2, v8, v2, vcc
	v_cndmask_b32_e64 v8, 0, 1, vcc
	v_lshrrev_b64 v[0:1], v8, v[0:1]
; %bb.14310:                            ;   in Loop: Header=BB4_14063 Depth=3
	s_andn2_saveexec_b64 s[40:41], s[40:41]
; %bb.14311:                            ;   in Loop: Header=BB4_14063 Depth=3
	v_bfe_u32 v2, v0, 23, 1
; %bb.14312:                            ;   in Loop: Header=BB4_14063 Depth=3
	s_or_b64 exec, exec, s[40:41]
	v_lshrrev_b64 v[0:1], 21, v[0:1]
	v_cmp_gt_i32_e32 vcc, 32, v2
	v_cndmask_b32_e32 v1, 0, v1, vcc
	v_cndmask_b32_e32 v0, 3, v0, vcc
	v_cmp_eq_u64_e64 s[40:41], 0, v[0:1]
	v_min_i32_e32 v1, 31, v2
	v_lshlrev_b32_e32 v1, 2, v1
	v_cmp_eq_u32_e32 vcc, 0, v2
	v_and_b32_e32 v1, 0xfc, v1
	v_and_or_b32 v0, v0, 3, v1
	s_and_b64 s[40:41], vcc, s[40:41]
	v_cndmask_b32_e64 v0, v0, 0, s[40:41]
	v_or_b32_e32 v24, v0, v3
.LBB4_14313:                            ;   in Loop: Header=BB4_14063 Depth=3
	s_or_b64 exec, exec, s[48:49]
                                        ; implicit-def: $vgpr3
.LBB4_14314:                            ;   in Loop: Header=BB4_14063 Depth=3
	s_andn2_saveexec_b64 s[40:41], s[38:39]
; %bb.14315:                            ;   in Loop: Header=BB4_14063 Depth=3
	v_or_b32_e32 v24, 0x7b, v3
; %bb.14316:                            ;   in Loop: Header=BB4_14063 Depth=3
	s_or_b64 exec, exec, s[40:41]
                                        ; implicit-def: $vgpr2
                                        ; implicit-def: $vgpr0_vgpr1
.LBB4_14317:                            ;   in Loop: Header=BB4_14063 Depth=3
	s_andn2_saveexec_b64 s[40:41], s[42:43]
	s_cbranch_execz .LBB4_14323
; %bb.14318:                            ;   in Loop: Header=BB4_14063 Depth=3
	v_cmp_ne_u64_e32 vcc, 0, v[0:1]
                                        ; implicit-def: $vgpr24
	s_and_saveexec_b64 s[42:43], vcc
	s_xor_b64 s[42:43], exec, s[42:43]
; %bb.14319:                            ;   in Loop: Header=BB4_14063 Depth=3
	v_or_b32_sdwa v24, v2, s47 dst_sel:DWORD dst_unused:UNUSED_PAD src0_sel:BYTE_3 src1_sel:DWORD
                                        ; implicit-def: $vgpr2
; %bb.14320:                            ;   in Loop: Header=BB4_14063 Depth=3
	s_andn2_saveexec_b64 s[42:43], s[42:43]
; %bb.14321:                            ;   in Loop: Header=BB4_14063 Depth=3
	v_cmp_lt_i32_e32 vcc, -1, v2
	v_bfrev_b32_e32 v0, 0.5
	v_cndmask_b32_e32 v24, v0, v52, vcc
; %bb.14322:                            ;   in Loop: Header=BB4_14063 Depth=3
	s_or_b64 exec, exec, s[42:43]
.LBB4_14323:                            ;   in Loop: Header=BB4_14063 Depth=3
	s_or_b64 exec, exec, s[40:41]
	v_lshrrev_b16_e32 v0, 8, v10
	v_cmp_ne_u16_e32 vcc, 0, v0
	v_mov_b32_e32 v1, 0
	s_and_saveexec_b64 s[40:41], vcc
	s_cbranch_execz .LBB4_14331
; %bb.14324:                            ;   in Loop: Header=BB4_14063 Depth=3
	v_cmp_ne_u16_e32 vcc, s96, v0
	v_bfrev_b32_e32 v1, 1
	s_and_saveexec_b64 s[42:43], vcc
	s_cbranch_execz .LBB4_14330
; %bb.14325:                            ;   in Loop: Header=BB4_14063 Depth=3
	v_and_b32_e32 v1, 0x7c, v0
	v_and_b32_e32 v2, 3, v0
	v_cmp_ne_u32_e32 vcc, s85, v1
                                        ; implicit-def: $vgpr1
	s_and_saveexec_b64 s[38:39], vcc
	s_xor_b64 s[38:39], exec, s[38:39]
	s_cbranch_execz .LBB4_14327
; %bb.14326:                            ;   in Loop: Header=BB4_14063 Depth=3
	v_ffbh_u32_e32 v8, v2
	v_min_u32_e32 v8, 32, v8
	v_mov_b32_e32 v1, v17
	v_subrev_u32_e32 v9, 29, v8
	v_bfe_u32 v3, v0, 2, 5
	v_lshlrev_b64 v[0:1], v9, v[0:1]
	v_cmp_eq_u32_e32 vcc, 0, v3
	v_and_b32_e32 v0, 3, v0
	v_sub_u32_e32 v1, 30, v8
	v_cndmask_b32_e32 v0, v2, v0, vcc
	v_lshlrev_b32_e32 v2, 16, v10
	v_cndmask_b32_e32 v1, v3, v1, vcc
	v_and_b32_e32 v2, 0x80000000, v2
	v_lshl_add_u32 v1, v1, 23, v2
	v_lshl_or_b32 v0, v0, 21, v1
	v_add_u32_e32 v1, 0x38000000, v0
                                        ; implicit-def: $vgpr2
.LBB4_14327:                            ;   in Loop: Header=BB4_14063 Depth=3
	s_andn2_saveexec_b64 s[38:39], s[38:39]
; %bb.14328:                            ;   in Loop: Header=BB4_14063 Depth=3
	v_cmp_lt_i16_e32 vcc, -1, v10
	v_mov_b32_e32 v0, 0xff800000
	v_mov_b32_e32 v1, 0x7f800000
	v_cndmask_b32_e32 v0, v0, v1, vcc
	v_cmp_eq_u32_e32 vcc, 0, v2
	v_mov_b32_e32 v1, 0x7f800001
	v_cndmask_b32_e32 v1, v1, v0, vcc
; %bb.14329:                            ;   in Loop: Header=BB4_14063 Depth=3
	s_or_b64 exec, exec, s[38:39]
.LBB4_14330:                            ;   in Loop: Header=BB4_14063 Depth=3
	s_or_b64 exec, exec, s[42:43]
.LBB4_14331:                            ;   in Loop: Header=BB4_14063 Depth=3
	s_or_b64 exec, exec, s[40:41]
	v_mul_f32_e32 v2, v23, v1
	v_and_b32_e32 v8, 0x7f800000, v2
	v_mov_b32_e32 v9, v17
	v_cmp_ne_u64_e32 vcc, s[76:77], v[8:9]
	v_and_b32_e32 v0, 0x7fffff, v2
	v_mov_b32_e32 v1, v17
                                        ; implicit-def: $vgpr30
	s_and_saveexec_b64 s[40:41], vcc
	s_xor_b64 s[42:43], exec, s[40:41]
	s_cbranch_execz .LBB4_14345
; %bb.14332:                            ;   in Loop: Header=BB4_14063 Depth=3
	v_and_b32_e32 v8, 0x7fffffff, v2
	v_mov_b32_e32 v9, v17
	v_cmp_gt_u64_e32 vcc, s[78:79], v[8:9]
	v_and_b32_sdwa v3, v2, s96 dst_sel:DWORD dst_unused:UNUSED_PAD src0_sel:BYTE_3 src1_sel:DWORD
                                        ; implicit-def: $vgpr30
	s_and_saveexec_b64 s[40:41], vcc
	s_xor_b64 s[38:39], exec, s[40:41]
	s_cbranch_execz .LBB4_14342
; %bb.14333:                            ;   in Loop: Header=BB4_14063 Depth=3
	v_mov_b32_e32 v30, 0
	v_cmp_ne_u32_e32 vcc, 0, v2
	s_and_saveexec_b64 s[48:49], vcc
	s_cbranch_execz .LBB4_14341
; %bb.14334:                            ;   in Loop: Header=BB4_14063 Depth=3
	v_bfe_u32 v8, v2, 23, 8
	v_cmp_gt_u32_e64 s[40:41], s46, v8
	v_sub_u32_e32 v2, 0x71, v8
	v_cmp_eq_u32_e32 vcc, 0, v8
	v_cndmask_b32_e64 v2, 0, v2, s[40:41]
	v_mov_b32_e32 v9, 0x70
	v_cndmask_b32_e32 v9, v2, v9, vcc
	v_add_u32_e32 v2, 21, v9
	v_or_b32_e32 v22, 0x800000, v0
	v_lshlrev_b64 v[32:33], v2, -1
	v_cndmask_b32_e32 v0, v22, v0, vcc
	v_add_u32_e32 v2, 20, v9
	v_bfi_b32 v32, v32, 0, v0
	v_lshlrev_b64 v[50:51], v2, 1
	v_lshrrev_b64 v[0:1], v9, v[0:1]
	v_bfi_b32 v33, v33, 0, 0
	v_cmp_eq_u64_e64 s[40:41], v[32:33], v[50:51]
	v_mov_b32_e32 v2, v1
	v_mov_b32_e32 v1, v0
	s_and_saveexec_b64 s[50:51], s[40:41]
; %bb.14335:                            ;   in Loop: Header=BB4_14063 Depth=3
	v_bfe_u32 v1, v0, 21, 1
	v_add_co_u32_e64 v1, s[40:41], v0, v1
	v_add_co_u32_e64 v1, s[40:41], -1, v1
; %bb.14336:                            ;   in Loop: Header=BB4_14063 Depth=3
	s_or_b64 exec, exec, s[50:51]
	v_add_u32_e32 v2, 0xffffff81, v8
	v_mov_b32_e32 v8, 0xffffff82
	v_cndmask_b32_e32 v2, v2, v8, vcc
	v_lshrrev_b32_e32 v8, 23, v0
	v_add3_u32 v9, v9, v2, v8
	v_add_u32_e32 v8, 14, v9
	v_and_b32_e32 v1, 0x1fffff, v1
	v_add_u32_e32 v0, v1, v0
	v_mov_b32_e32 v1, v17
	v_cmp_ne_u32_e32 vcc, 0, v8
                                        ; implicit-def: $vgpr2
	s_and_saveexec_b64 s[40:41], vcc
	s_xor_b64 s[40:41], exec, s[40:41]
; %bb.14337:                            ;   in Loop: Header=BB4_14063 Depth=3
	v_cmp_lt_u64_e32 vcc, s[88:89], v[0:1]
	v_add_u32_e32 v2, 15, v9
	v_cndmask_b32_e32 v2, v8, v2, vcc
	v_cndmask_b32_e64 v8, 0, 1, vcc
	v_lshrrev_b64 v[0:1], v8, v[0:1]
; %bb.14338:                            ;   in Loop: Header=BB4_14063 Depth=3
	s_andn2_saveexec_b64 s[40:41], s[40:41]
; %bb.14339:                            ;   in Loop: Header=BB4_14063 Depth=3
	v_bfe_u32 v2, v0, 23, 1
; %bb.14340:                            ;   in Loop: Header=BB4_14063 Depth=3
	s_or_b64 exec, exec, s[40:41]
	v_lshrrev_b64 v[0:1], 21, v[0:1]
	v_cmp_gt_i32_e32 vcc, 32, v2
	v_cndmask_b32_e32 v1, 0, v1, vcc
	v_cndmask_b32_e32 v0, 3, v0, vcc
	v_cmp_eq_u64_e64 s[40:41], 0, v[0:1]
	v_min_i32_e32 v1, 31, v2
	v_lshlrev_b32_e32 v1, 2, v1
	v_cmp_eq_u32_e32 vcc, 0, v2
	v_and_b32_e32 v1, 0xfc, v1
	v_and_or_b32 v0, v0, 3, v1
	s_and_b64 s[40:41], vcc, s[40:41]
	v_cndmask_b32_e64 v0, v0, 0, s[40:41]
	v_or_b32_e32 v30, v0, v3
.LBB4_14341:                            ;   in Loop: Header=BB4_14063 Depth=3
	s_or_b64 exec, exec, s[48:49]
                                        ; implicit-def: $vgpr3
.LBB4_14342:                            ;   in Loop: Header=BB4_14063 Depth=3
	s_andn2_saveexec_b64 s[40:41], s[38:39]
; %bb.14343:                            ;   in Loop: Header=BB4_14063 Depth=3
	v_or_b32_e32 v30, 0x7b, v3
; %bb.14344:                            ;   in Loop: Header=BB4_14063 Depth=3
	s_or_b64 exec, exec, s[40:41]
                                        ; implicit-def: $vgpr2
                                        ; implicit-def: $vgpr0_vgpr1
.LBB4_14345:                            ;   in Loop: Header=BB4_14063 Depth=3
	s_andn2_saveexec_b64 s[40:41], s[42:43]
	s_cbranch_execz .LBB4_14351
; %bb.14346:                            ;   in Loop: Header=BB4_14063 Depth=3
	v_cmp_ne_u64_e32 vcc, 0, v[0:1]
                                        ; implicit-def: $vgpr30
	s_and_saveexec_b64 s[42:43], vcc
	s_xor_b64 s[42:43], exec, s[42:43]
; %bb.14347:                            ;   in Loop: Header=BB4_14063 Depth=3
	v_or_b32_sdwa v30, v2, s47 dst_sel:DWORD dst_unused:UNUSED_PAD src0_sel:BYTE_3 src1_sel:DWORD
                                        ; implicit-def: $vgpr2
; %bb.14348:                            ;   in Loop: Header=BB4_14063 Depth=3
	s_andn2_saveexec_b64 s[42:43], s[42:43]
; %bb.14349:                            ;   in Loop: Header=BB4_14063 Depth=3
	v_cmp_lt_i32_e32 vcc, -1, v2
	v_bfrev_b32_e32 v0, 0.5
	v_cndmask_b32_e32 v30, v0, v52, vcc
; %bb.14350:                            ;   in Loop: Header=BB4_14063 Depth=3
	s_or_b64 exec, exec, s[42:43]
.LBB4_14351:                            ;   in Loop: Header=BB4_14063 Depth=3
	s_or_b64 exec, exec, s[40:41]
	v_lshrrev_b32_e32 v0, 16, v10
	v_cmp_ne_u16_sdwa s[42:43], v0, v17 src0_sel:BYTE_0 src1_sel:DWORD
	v_mov_b32_e32 v1, 0
	s_and_saveexec_b64 s[40:41], s[42:43]
	s_cbranch_execz .LBB4_14359
; %bb.14352:                            ;   in Loop: Header=BB4_14063 Depth=3
	v_cmp_ne_u16_sdwa vcc, v0, s96 src0_sel:BYTE_0 src1_sel:DWORD
	v_bfrev_b32_e32 v1, 1
	s_and_saveexec_b64 s[42:43], vcc
	s_cbranch_execz .LBB4_14358
; %bb.14353:                            ;   in Loop: Header=BB4_14063 Depth=3
	v_and_b32_e32 v1, 0x7c0000, v10
	v_bfe_u32 v2, v10, 16, 2
	v_cmp_ne_u32_e32 vcc, s44, v1
                                        ; implicit-def: $vgpr1
	s_and_saveexec_b64 s[38:39], vcc
	s_xor_b64 s[38:39], exec, s[38:39]
	s_cbranch_execz .LBB4_14355
; %bb.14354:                            ;   in Loop: Header=BB4_14063 Depth=3
	v_ffbh_u32_e32 v1, v2
	v_min_u32_e32 v8, 32, v1
	v_subrev_u32_e32 v1, 29, v8
	v_lshlrev_b64 v[0:1], v1, v[0:1]
	v_bfe_u32 v3, v10, 18, 5
	v_and_b32_e32 v0, 3, v0
	v_cmp_eq_u32_e32 vcc, 0, v3
	v_sub_u32_e32 v1, 30, v8
	v_cndmask_b32_e32 v0, v2, v0, vcc
	v_lshlrev_b32_e32 v2, 8, v10
	v_cndmask_b32_e32 v1, v3, v1, vcc
	v_and_b32_e32 v2, 0x80000000, v2
	v_lshl_add_u32 v1, v1, 23, v2
	v_lshl_or_b32 v0, v0, 21, v1
	v_add_u32_e32 v1, 0x38000000, v0
                                        ; implicit-def: $vgpr2
                                        ; implicit-def: $vgpr0
.LBB4_14355:                            ;   in Loop: Header=BB4_14063 Depth=3
	s_andn2_saveexec_b64 s[38:39], s[38:39]
; %bb.14356:                            ;   in Loop: Header=BB4_14063 Depth=3
	v_mov_b32_e32 v1, -1
	v_cmp_gt_i16_sdwa vcc, sext(v0), v1 src0_sel:BYTE_0 src1_sel:DWORD
	v_mov_b32_e32 v0, 0xff800000
	v_mov_b32_e32 v1, 0x7f800000
	v_cndmask_b32_e32 v0, v0, v1, vcc
	v_cmp_eq_u32_e32 vcc, 0, v2
	v_mov_b32_e32 v1, 0x7f800001
	v_cndmask_b32_e32 v1, v1, v0, vcc
; %bb.14357:                            ;   in Loop: Header=BB4_14063 Depth=3
	s_or_b64 exec, exec, s[38:39]
.LBB4_14358:                            ;   in Loop: Header=BB4_14063 Depth=3
	s_or_b64 exec, exec, s[42:43]
.LBB4_14359:                            ;   in Loop: Header=BB4_14063 Depth=3
	s_or_b64 exec, exec, s[40:41]
	v_mul_f32_e32 v2, v23, v1
	v_and_b32_e32 v8, 0x7f800000, v2
	v_mov_b32_e32 v9, v17
	v_cmp_ne_u64_e32 vcc, s[76:77], v[8:9]
	v_and_b32_e32 v0, 0x7fffff, v2
	v_mov_b32_e32 v1, v17
                                        ; implicit-def: $vgpr33
	s_and_saveexec_b64 s[40:41], vcc
	s_xor_b64 s[42:43], exec, s[40:41]
	s_cbranch_execz .LBB4_14373
; %bb.14360:                            ;   in Loop: Header=BB4_14063 Depth=3
	v_and_b32_e32 v8, 0x7fffffff, v2
	v_mov_b32_e32 v9, v17
	v_cmp_gt_u64_e32 vcc, s[78:79], v[8:9]
	v_and_b32_sdwa v3, v2, s96 dst_sel:DWORD dst_unused:UNUSED_PAD src0_sel:BYTE_3 src1_sel:DWORD
                                        ; implicit-def: $vgpr33
	s_and_saveexec_b64 s[40:41], vcc
	s_xor_b64 s[38:39], exec, s[40:41]
	s_cbranch_execz .LBB4_14370
; %bb.14361:                            ;   in Loop: Header=BB4_14063 Depth=3
	v_mov_b32_e32 v33, 0
	v_cmp_ne_u32_e32 vcc, 0, v2
	s_and_saveexec_b64 s[48:49], vcc
	s_cbranch_execz .LBB4_14369
; %bb.14362:                            ;   in Loop: Header=BB4_14063 Depth=3
	v_bfe_u32 v8, v2, 23, 8
	v_cmp_gt_u32_e64 s[40:41], s46, v8
	v_sub_u32_e32 v2, 0x71, v8
	v_cmp_eq_u32_e32 vcc, 0, v8
	v_cndmask_b32_e64 v2, 0, v2, s[40:41]
	v_mov_b32_e32 v9, 0x70
	v_cndmask_b32_e32 v9, v2, v9, vcc
	v_add_u32_e32 v2, 21, v9
	v_or_b32_e32 v22, 0x800000, v0
	v_lshlrev_b64 v[32:33], v2, -1
	v_cndmask_b32_e32 v0, v22, v0, vcc
	v_add_u32_e32 v2, 20, v9
	v_bfi_b32 v32, v32, 0, v0
	v_lshlrev_b64 v[50:51], v2, 1
	v_lshrrev_b64 v[0:1], v9, v[0:1]
	v_bfi_b32 v33, v33, 0, 0
	v_cmp_eq_u64_e64 s[40:41], v[32:33], v[50:51]
	v_mov_b32_e32 v2, v1
	v_mov_b32_e32 v1, v0
	s_and_saveexec_b64 s[50:51], s[40:41]
; %bb.14363:                            ;   in Loop: Header=BB4_14063 Depth=3
	v_bfe_u32 v1, v0, 21, 1
	v_add_co_u32_e64 v1, s[40:41], v0, v1
	v_add_co_u32_e64 v1, s[40:41], -1, v1
; %bb.14364:                            ;   in Loop: Header=BB4_14063 Depth=3
	s_or_b64 exec, exec, s[50:51]
	v_add_u32_e32 v2, 0xffffff81, v8
	v_mov_b32_e32 v8, 0xffffff82
	v_cndmask_b32_e32 v2, v2, v8, vcc
	v_lshrrev_b32_e32 v8, 23, v0
	v_add3_u32 v9, v9, v2, v8
	v_add_u32_e32 v8, 14, v9
	v_and_b32_e32 v1, 0x1fffff, v1
	v_add_u32_e32 v0, v1, v0
	v_mov_b32_e32 v1, v17
	v_cmp_ne_u32_e32 vcc, 0, v8
                                        ; implicit-def: $vgpr2
	s_and_saveexec_b64 s[40:41], vcc
	s_xor_b64 s[40:41], exec, s[40:41]
; %bb.14365:                            ;   in Loop: Header=BB4_14063 Depth=3
	v_cmp_lt_u64_e32 vcc, s[88:89], v[0:1]
	v_add_u32_e32 v2, 15, v9
	v_cndmask_b32_e32 v2, v8, v2, vcc
	v_cndmask_b32_e64 v8, 0, 1, vcc
	v_lshrrev_b64 v[0:1], v8, v[0:1]
; %bb.14366:                            ;   in Loop: Header=BB4_14063 Depth=3
	s_andn2_saveexec_b64 s[40:41], s[40:41]
; %bb.14367:                            ;   in Loop: Header=BB4_14063 Depth=3
	v_bfe_u32 v2, v0, 23, 1
; %bb.14368:                            ;   in Loop: Header=BB4_14063 Depth=3
	s_or_b64 exec, exec, s[40:41]
	v_lshrrev_b64 v[0:1], 21, v[0:1]
	v_cmp_gt_i32_e32 vcc, 32, v2
	v_cndmask_b32_e32 v1, 0, v1, vcc
	v_cndmask_b32_e32 v0, 3, v0, vcc
	v_cmp_eq_u64_e64 s[40:41], 0, v[0:1]
	v_min_i32_e32 v1, 31, v2
	v_lshlrev_b32_e32 v1, 2, v1
	v_cmp_eq_u32_e32 vcc, 0, v2
	v_and_b32_e32 v1, 0xfc, v1
	v_and_or_b32 v0, v0, 3, v1
	s_and_b64 s[40:41], vcc, s[40:41]
	v_cndmask_b32_e64 v0, v0, 0, s[40:41]
	v_or_b32_e32 v33, v0, v3
.LBB4_14369:                            ;   in Loop: Header=BB4_14063 Depth=3
	s_or_b64 exec, exec, s[48:49]
                                        ; implicit-def: $vgpr3
.LBB4_14370:                            ;   in Loop: Header=BB4_14063 Depth=3
	s_andn2_saveexec_b64 s[40:41], s[38:39]
; %bb.14371:                            ;   in Loop: Header=BB4_14063 Depth=3
	v_or_b32_e32 v33, 0x7b, v3
; %bb.14372:                            ;   in Loop: Header=BB4_14063 Depth=3
	s_or_b64 exec, exec, s[40:41]
                                        ; implicit-def: $vgpr2
                                        ; implicit-def: $vgpr0_vgpr1
.LBB4_14373:                            ;   in Loop: Header=BB4_14063 Depth=3
	s_andn2_saveexec_b64 s[40:41], s[42:43]
	s_cbranch_execz .LBB4_14379
; %bb.14374:                            ;   in Loop: Header=BB4_14063 Depth=3
	v_cmp_ne_u64_e32 vcc, 0, v[0:1]
                                        ; implicit-def: $vgpr33
	s_and_saveexec_b64 s[42:43], vcc
	s_xor_b64 s[42:43], exec, s[42:43]
; %bb.14375:                            ;   in Loop: Header=BB4_14063 Depth=3
	v_or_b32_sdwa v33, v2, s47 dst_sel:DWORD dst_unused:UNUSED_PAD src0_sel:BYTE_3 src1_sel:DWORD
                                        ; implicit-def: $vgpr2
; %bb.14376:                            ;   in Loop: Header=BB4_14063 Depth=3
	s_andn2_saveexec_b64 s[42:43], s[42:43]
; %bb.14377:                            ;   in Loop: Header=BB4_14063 Depth=3
	v_cmp_lt_i32_e32 vcc, -1, v2
	v_bfrev_b32_e32 v0, 0.5
	v_cndmask_b32_e32 v33, v0, v52, vcc
; %bb.14378:                            ;   in Loop: Header=BB4_14063 Depth=3
	s_or_b64 exec, exec, s[42:43]
.LBB4_14379:                            ;   in Loop: Header=BB4_14063 Depth=3
	s_or_b64 exec, exec, s[40:41]
	v_cmp_lt_u32_e32 vcc, s57, v10
	v_mov_b32_e32 v1, 0
	s_and_saveexec_b64 s[40:41], vcc
	s_cbranch_execz .LBB4_14387
; %bb.14380:                            ;   in Loop: Header=BB4_14063 Depth=3
	v_lshrrev_b32_e32 v0, 24, v10
	v_cmp_ne_u32_e32 vcc, s96, v0
	v_bfrev_b32_e32 v1, 1
	s_and_saveexec_b64 s[42:43], vcc
	s_cbranch_execz .LBB4_14386
; %bb.14381:                            ;   in Loop: Header=BB4_14063 Depth=3
	v_and_b32_e32 v1, 0x7c000000, v10
	v_bfe_u32 v2, v10, 24, 2
	v_cmp_ne_u32_e32 vcc, s45, v1
                                        ; implicit-def: $vgpr1
	s_and_saveexec_b64 s[38:39], vcc
	s_xor_b64 s[38:39], exec, s[38:39]
	s_cbranch_execz .LBB4_14383
; %bb.14382:                            ;   in Loop: Header=BB4_14063 Depth=3
	v_ffbh_u32_e32 v1, v2
	v_min_u32_e32 v8, 32, v1
	v_subrev_u32_e32 v1, 29, v8
	v_lshlrev_b64 v[0:1], v1, v[0:1]
	v_bfe_u32 v3, v10, 26, 5
	v_sub_u32_e32 v1, 30, v8
	v_and_b32_e32 v0, 3, v0
	v_cmp_eq_u32_e32 vcc, 0, v3
	v_cndmask_b32_e32 v1, v3, v1, vcc
	v_cndmask_b32_e32 v0, v2, v0, vcc
	v_and_b32_e32 v2, 0x80000000, v10
	v_lshl_add_u32 v1, v1, 23, v2
	v_lshl_or_b32 v0, v0, 21, v1
	v_add_u32_e32 v1, 0x38000000, v0
                                        ; implicit-def: $vgpr2
.LBB4_14383:                            ;   in Loop: Header=BB4_14063 Depth=3
	s_andn2_saveexec_b64 s[38:39], s[38:39]
; %bb.14384:                            ;   in Loop: Header=BB4_14063 Depth=3
	v_cmp_lt_i32_e32 vcc, -1, v10
	v_mov_b32_e32 v0, 0xff800000
	v_mov_b32_e32 v1, 0x7f800000
	v_cndmask_b32_e32 v0, v0, v1, vcc
	v_cmp_eq_u32_e32 vcc, 0, v2
	v_mov_b32_e32 v1, 0x7f800001
	v_cndmask_b32_e32 v1, v1, v0, vcc
; %bb.14385:                            ;   in Loop: Header=BB4_14063 Depth=3
	s_or_b64 exec, exec, s[38:39]
.LBB4_14386:                            ;   in Loop: Header=BB4_14063 Depth=3
	s_or_b64 exec, exec, s[42:43]
.LBB4_14387:                            ;   in Loop: Header=BB4_14063 Depth=3
	s_or_b64 exec, exec, s[40:41]
	v_mul_f32_e32 v2, v23, v1
	v_and_b32_e32 v8, 0x7f800000, v2
	v_mov_b32_e32 v9, v17
	v_cmp_ne_u64_e32 vcc, s[76:77], v[8:9]
	v_and_b32_e32 v0, 0x7fffff, v2
	v_mov_b32_e32 v1, v17
                                        ; implicit-def: $vgpr35
	s_and_saveexec_b64 s[40:41], vcc
	s_xor_b64 s[42:43], exec, s[40:41]
	s_cbranch_execz .LBB4_14401
; %bb.14388:                            ;   in Loop: Header=BB4_14063 Depth=3
	v_and_b32_e32 v8, 0x7fffffff, v2
	v_mov_b32_e32 v9, v17
	v_cmp_gt_u64_e32 vcc, s[78:79], v[8:9]
	v_and_b32_sdwa v3, v2, s96 dst_sel:DWORD dst_unused:UNUSED_PAD src0_sel:BYTE_3 src1_sel:DWORD
                                        ; implicit-def: $vgpr35
	s_and_saveexec_b64 s[40:41], vcc
	s_xor_b64 s[38:39], exec, s[40:41]
	s_cbranch_execz .LBB4_14398
; %bb.14389:                            ;   in Loop: Header=BB4_14063 Depth=3
	v_mov_b32_e32 v35, 0
	v_cmp_ne_u32_e32 vcc, 0, v2
	s_and_saveexec_b64 s[48:49], vcc
	s_cbranch_execz .LBB4_14397
; %bb.14390:                            ;   in Loop: Header=BB4_14063 Depth=3
	v_bfe_u32 v8, v2, 23, 8
	v_cmp_gt_u32_e64 s[40:41], s46, v8
	v_sub_u32_e32 v2, 0x71, v8
	v_cmp_eq_u32_e32 vcc, 0, v8
	v_cndmask_b32_e64 v2, 0, v2, s[40:41]
	v_mov_b32_e32 v9, 0x70
	v_cndmask_b32_e32 v9, v2, v9, vcc
	v_add_u32_e32 v2, 21, v9
	v_or_b32_e32 v22, 0x800000, v0
	v_lshlrev_b64 v[50:51], v2, -1
	v_cndmask_b32_e32 v0, v22, v0, vcc
	v_add_u32_e32 v2, 20, v9
	v_bfi_b32 v50, v50, 0, v0
	v_lshlrev_b64 v[53:54], v2, 1
	v_lshrrev_b64 v[0:1], v9, v[0:1]
	v_bfi_b32 v51, v51, 0, 0
	v_cmp_eq_u64_e64 s[40:41], v[50:51], v[53:54]
	v_mov_b32_e32 v2, v1
	v_mov_b32_e32 v1, v0
	s_and_saveexec_b64 s[50:51], s[40:41]
; %bb.14391:                            ;   in Loop: Header=BB4_14063 Depth=3
	v_bfe_u32 v1, v0, 21, 1
	v_add_co_u32_e64 v1, s[40:41], v0, v1
	v_add_co_u32_e64 v1, s[40:41], -1, v1
; %bb.14392:                            ;   in Loop: Header=BB4_14063 Depth=3
	s_or_b64 exec, exec, s[50:51]
	v_add_u32_e32 v2, 0xffffff81, v8
	v_mov_b32_e32 v8, 0xffffff82
	v_cndmask_b32_e32 v2, v2, v8, vcc
	v_lshrrev_b32_e32 v8, 23, v0
	v_add3_u32 v9, v9, v2, v8
	v_add_u32_e32 v8, 14, v9
	v_and_b32_e32 v1, 0x1fffff, v1
	v_add_u32_e32 v0, v1, v0
	v_mov_b32_e32 v1, v17
	v_cmp_ne_u32_e32 vcc, 0, v8
                                        ; implicit-def: $vgpr2
	s_and_saveexec_b64 s[40:41], vcc
	s_xor_b64 s[40:41], exec, s[40:41]
; %bb.14393:                            ;   in Loop: Header=BB4_14063 Depth=3
	v_cmp_lt_u64_e32 vcc, s[88:89], v[0:1]
	v_add_u32_e32 v2, 15, v9
	v_cndmask_b32_e32 v2, v8, v2, vcc
	v_cndmask_b32_e64 v8, 0, 1, vcc
	v_lshrrev_b64 v[0:1], v8, v[0:1]
; %bb.14394:                            ;   in Loop: Header=BB4_14063 Depth=3
	s_andn2_saveexec_b64 s[40:41], s[40:41]
; %bb.14395:                            ;   in Loop: Header=BB4_14063 Depth=3
	v_bfe_u32 v2, v0, 23, 1
; %bb.14396:                            ;   in Loop: Header=BB4_14063 Depth=3
	s_or_b64 exec, exec, s[40:41]
	v_lshrrev_b64 v[0:1], 21, v[0:1]
	v_cmp_gt_i32_e32 vcc, 32, v2
	v_cndmask_b32_e32 v1, 0, v1, vcc
	v_cndmask_b32_e32 v0, 3, v0, vcc
	v_cmp_eq_u64_e64 s[40:41], 0, v[0:1]
	v_min_i32_e32 v1, 31, v2
	v_lshlrev_b32_e32 v1, 2, v1
	v_cmp_eq_u32_e32 vcc, 0, v2
	v_and_b32_e32 v1, 0xfc, v1
	v_and_or_b32 v0, v0, 3, v1
	s_and_b64 s[40:41], vcc, s[40:41]
	v_cndmask_b32_e64 v0, v0, 0, s[40:41]
	v_or_b32_e32 v35, v0, v3
.LBB4_14397:                            ;   in Loop: Header=BB4_14063 Depth=3
	s_or_b64 exec, exec, s[48:49]
                                        ; implicit-def: $vgpr3
.LBB4_14398:                            ;   in Loop: Header=BB4_14063 Depth=3
	s_andn2_saveexec_b64 s[40:41], s[38:39]
; %bb.14399:                            ;   in Loop: Header=BB4_14063 Depth=3
	v_or_b32_e32 v35, 0x7b, v3
; %bb.14400:                            ;   in Loop: Header=BB4_14063 Depth=3
	s_or_b64 exec, exec, s[40:41]
                                        ; implicit-def: $vgpr2
                                        ; implicit-def: $vgpr0_vgpr1
.LBB4_14401:                            ;   in Loop: Header=BB4_14063 Depth=3
	s_andn2_saveexec_b64 s[40:41], s[42:43]
	s_cbranch_execz .LBB4_14407
; %bb.14402:                            ;   in Loop: Header=BB4_14063 Depth=3
	v_cmp_ne_u64_e32 vcc, 0, v[0:1]
                                        ; implicit-def: $vgpr35
	s_and_saveexec_b64 s[42:43], vcc
	s_xor_b64 s[42:43], exec, s[42:43]
; %bb.14403:                            ;   in Loop: Header=BB4_14063 Depth=3
	v_or_b32_sdwa v35, v2, s47 dst_sel:DWORD dst_unused:UNUSED_PAD src0_sel:BYTE_3 src1_sel:DWORD
                                        ; implicit-def: $vgpr2
; %bb.14404:                            ;   in Loop: Header=BB4_14063 Depth=3
	s_andn2_saveexec_b64 s[42:43], s[42:43]
; %bb.14405:                            ;   in Loop: Header=BB4_14063 Depth=3
	v_cmp_lt_i32_e32 vcc, -1, v2
	v_bfrev_b32_e32 v0, 0.5
	v_cndmask_b32_e32 v35, v0, v52, vcc
; %bb.14406:                            ;   in Loop: Header=BB4_14063 Depth=3
	s_or_b64 exec, exec, s[42:43]
.LBB4_14407:                            ;   in Loop: Header=BB4_14063 Depth=3
	s_or_b64 exec, exec, s[40:41]
	v_mov_b32_e32 v0, v11
	v_mov_b32_e32 v1, v17
	v_cmp_ne_u16_sdwa s[42:43], v11, v17 src0_sel:BYTE_0 src1_sel:DWORD
	v_mov_b32_e32 v2, 0
	s_and_saveexec_b64 s[40:41], s[42:43]
	s_cbranch_execz .LBB4_14415
; %bb.14408:                            ;   in Loop: Header=BB4_14063 Depth=3
	v_cmp_ne_u16_sdwa vcc, v11, s96 src0_sel:BYTE_0 src1_sel:DWORD
	v_bfrev_b32_e32 v2, 1
	s_and_saveexec_b64 s[42:43], vcc
	s_cbranch_execz .LBB4_14414
; %bb.14409:                            ;   in Loop: Header=BB4_14063 Depth=3
	v_and_b32_e32 v2, 0x7c, v11
	v_and_b32_e32 v3, 3, v11
	v_cmp_ne_u32_e32 vcc, s85, v2
                                        ; implicit-def: $vgpr2
	s_and_saveexec_b64 s[38:39], vcc
	s_xor_b64 s[38:39], exec, s[38:39]
	s_cbranch_execz .LBB4_14411
; %bb.14410:                            ;   in Loop: Header=BB4_14063 Depth=3
	v_ffbh_u32_e32 v2, v3
	v_min_u32_e32 v9, 32, v2
	v_subrev_u32_e32 v2, 29, v9
	v_lshlrev_b64 v[1:2], v2, v[0:1]
	v_bfe_u32 v8, v11, 2, 5
	v_and_b32_e32 v1, 3, v1
	v_cmp_eq_u32_e32 vcc, 0, v8
	v_sub_u32_e32 v2, 30, v9
	v_cndmask_b32_e32 v1, v3, v1, vcc
	v_lshlrev_b32_e32 v3, 24, v11
	v_cndmask_b32_e32 v2, v8, v2, vcc
	v_and_b32_e32 v3, 0x80000000, v3
	v_lshl_add_u32 v2, v2, 23, v3
	v_lshl_or_b32 v1, v1, 21, v2
	v_add_u32_e32 v2, 0x38000000, v1
                                        ; implicit-def: $vgpr3
.LBB4_14411:                            ;   in Loop: Header=BB4_14063 Depth=3
	s_andn2_saveexec_b64 s[38:39], s[38:39]
; %bb.14412:                            ;   in Loop: Header=BB4_14063 Depth=3
	v_mov_b32_e32 v1, -1
	v_cmp_gt_i16_sdwa vcc, sext(v11), v1 src0_sel:BYTE_0 src1_sel:DWORD
	v_mov_b32_e32 v1, 0xff800000
	v_mov_b32_e32 v2, 0x7f800000
	v_cndmask_b32_e32 v1, v1, v2, vcc
	v_cmp_eq_u32_e32 vcc, 0, v3
	v_mov_b32_e32 v2, 0x7f800001
	v_cndmask_b32_e32 v2, v2, v1, vcc
; %bb.14413:                            ;   in Loop: Header=BB4_14063 Depth=3
	s_or_b64 exec, exec, s[38:39]
.LBB4_14414:                            ;   in Loop: Header=BB4_14063 Depth=3
	s_or_b64 exec, exec, s[42:43]
.LBB4_14415:                            ;   in Loop: Header=BB4_14063 Depth=3
	s_or_b64 exec, exec, s[40:41]
	v_mul_f32_e32 v3, v23, v2
	v_and_b32_e32 v8, 0x7f800000, v3
	v_mov_b32_e32 v9, v17
	v_cmp_ne_u64_e32 vcc, s[76:77], v[8:9]
	v_and_b32_e32 v1, 0x7fffff, v3
	v_mov_b32_e32 v2, v17
                                        ; implicit-def: $vgpr22
	s_and_saveexec_b64 s[40:41], vcc
	s_xor_b64 s[42:43], exec, s[40:41]
	s_cbranch_execz .LBB4_14429
; %bb.14416:                            ;   in Loop: Header=BB4_14063 Depth=3
	v_and_b32_e32 v8, 0x7fffffff, v3
	v_mov_b32_e32 v9, v17
	v_cmp_gt_u64_e32 vcc, s[78:79], v[8:9]
	v_and_b32_sdwa v8, v3, s96 dst_sel:DWORD dst_unused:UNUSED_PAD src0_sel:BYTE_3 src1_sel:DWORD
                                        ; implicit-def: $vgpr22
	s_and_saveexec_b64 s[40:41], vcc
	s_xor_b64 s[38:39], exec, s[40:41]
	s_cbranch_execz .LBB4_14426
; %bb.14417:                            ;   in Loop: Header=BB4_14063 Depth=3
	v_mov_b32_e32 v22, 0
	v_cmp_ne_u32_e32 vcc, 0, v3
	s_and_saveexec_b64 s[48:49], vcc
	s_cbranch_execz .LBB4_14425
; %bb.14418:                            ;   in Loop: Header=BB4_14063 Depth=3
	v_bfe_u32 v9, v3, 23, 8
	v_cmp_gt_u32_e64 s[40:41], s46, v9
	v_sub_u32_e32 v3, 0x71, v9
	v_cmp_eq_u32_e32 vcc, 0, v9
	v_cndmask_b32_e64 v3, 0, v3, s[40:41]
	v_mov_b32_e32 v22, 0x70
	v_cndmask_b32_e32 v22, v3, v22, vcc
	v_add_u32_e32 v3, 21, v22
	v_or_b32_e32 v25, 0x800000, v1
	v_lshlrev_b64 v[50:51], v3, -1
	v_cndmask_b32_e32 v1, v25, v1, vcc
	v_add_u32_e32 v3, 20, v22
	v_bfi_b32 v50, v50, 0, v1
	v_lshlrev_b64 v[53:54], v3, 1
	v_lshrrev_b64 v[1:2], v22, v[1:2]
	v_bfi_b32 v51, v51, 0, 0
	v_cmp_eq_u64_e64 s[40:41], v[50:51], v[53:54]
	v_mov_b32_e32 v3, v2
	v_mov_b32_e32 v2, v1
	s_and_saveexec_b64 s[50:51], s[40:41]
; %bb.14419:                            ;   in Loop: Header=BB4_14063 Depth=3
	v_bfe_u32 v2, v1, 21, 1
	v_add_co_u32_e64 v2, s[40:41], v1, v2
	v_add_co_u32_e64 v2, s[40:41], -1, v2
; %bb.14420:                            ;   in Loop: Header=BB4_14063 Depth=3
	s_or_b64 exec, exec, s[50:51]
	v_add_u32_e32 v3, 0xffffff81, v9
	v_mov_b32_e32 v9, 0xffffff82
	v_cndmask_b32_e32 v3, v3, v9, vcc
	v_lshrrev_b32_e32 v9, 23, v1
	v_add3_u32 v22, v22, v3, v9
	v_add_u32_e32 v9, 14, v22
	v_and_b32_e32 v2, 0x1fffff, v2
	v_add_u32_e32 v1, v2, v1
	v_mov_b32_e32 v2, v17
	v_cmp_ne_u32_e32 vcc, 0, v9
                                        ; implicit-def: $vgpr3
	s_and_saveexec_b64 s[40:41], vcc
	s_xor_b64 s[40:41], exec, s[40:41]
; %bb.14421:                            ;   in Loop: Header=BB4_14063 Depth=3
	v_cmp_lt_u64_e32 vcc, s[88:89], v[1:2]
	v_add_u32_e32 v3, 15, v22
	v_cndmask_b32_e32 v3, v9, v3, vcc
	v_cndmask_b32_e64 v9, 0, 1, vcc
	v_lshrrev_b64 v[1:2], v9, v[1:2]
; %bb.14422:                            ;   in Loop: Header=BB4_14063 Depth=3
	s_andn2_saveexec_b64 s[40:41], s[40:41]
; %bb.14423:                            ;   in Loop: Header=BB4_14063 Depth=3
	v_bfe_u32 v3, v1, 23, 1
; %bb.14424:                            ;   in Loop: Header=BB4_14063 Depth=3
	s_or_b64 exec, exec, s[40:41]
	v_lshrrev_b64 v[1:2], 21, v[1:2]
	v_cmp_gt_i32_e32 vcc, 32, v3
	v_cndmask_b32_e32 v2, 0, v2, vcc
	v_cndmask_b32_e32 v1, 3, v1, vcc
	v_cmp_eq_u64_e64 s[40:41], 0, v[1:2]
	v_min_i32_e32 v2, 31, v3
	v_lshlrev_b32_e32 v2, 2, v2
	v_cmp_eq_u32_e32 vcc, 0, v3
	v_and_b32_e32 v2, 0xfc, v2
	v_and_or_b32 v1, v1, 3, v2
	s_and_b64 s[40:41], vcc, s[40:41]
	v_cndmask_b32_e64 v1, v1, 0, s[40:41]
	v_or_b32_e32 v22, v1, v8
.LBB4_14425:                            ;   in Loop: Header=BB4_14063 Depth=3
	s_or_b64 exec, exec, s[48:49]
                                        ; implicit-def: $vgpr8
.LBB4_14426:                            ;   in Loop: Header=BB4_14063 Depth=3
	s_andn2_saveexec_b64 s[40:41], s[38:39]
; %bb.14427:                            ;   in Loop: Header=BB4_14063 Depth=3
	v_or_b32_e32 v22, 0x7b, v8
; %bb.14428:                            ;   in Loop: Header=BB4_14063 Depth=3
	s_or_b64 exec, exec, s[40:41]
                                        ; implicit-def: $vgpr3
                                        ; implicit-def: $vgpr1_vgpr2
.LBB4_14429:                            ;   in Loop: Header=BB4_14063 Depth=3
	s_andn2_saveexec_b64 s[40:41], s[42:43]
	s_cbranch_execz .LBB4_14435
; %bb.14430:                            ;   in Loop: Header=BB4_14063 Depth=3
	v_cmp_ne_u64_e32 vcc, 0, v[1:2]
                                        ; implicit-def: $vgpr22
	s_and_saveexec_b64 s[42:43], vcc
	s_xor_b64 s[42:43], exec, s[42:43]
; %bb.14431:                            ;   in Loop: Header=BB4_14063 Depth=3
	v_or_b32_sdwa v22, v3, s47 dst_sel:DWORD dst_unused:UNUSED_PAD src0_sel:BYTE_3 src1_sel:DWORD
                                        ; implicit-def: $vgpr3
; %bb.14432:                            ;   in Loop: Header=BB4_14063 Depth=3
	s_andn2_saveexec_b64 s[42:43], s[42:43]
; %bb.14433:                            ;   in Loop: Header=BB4_14063 Depth=3
	v_cmp_lt_i32_e32 vcc, -1, v3
	v_bfrev_b32_e32 v1, 0.5
	v_cndmask_b32_e32 v22, v1, v52, vcc
; %bb.14434:                            ;   in Loop: Header=BB4_14063 Depth=3
	s_or_b64 exec, exec, s[42:43]
.LBB4_14435:                            ;   in Loop: Header=BB4_14063 Depth=3
	s_or_b64 exec, exec, s[40:41]
	v_lshrrev_b16_e32 v1, 8, v0
	v_cmp_ne_u16_e32 vcc, 0, v1
	v_mov_b32_e32 v2, 0
	s_and_saveexec_b64 s[40:41], vcc
	s_cbranch_execz .LBB4_14443
; %bb.14436:                            ;   in Loop: Header=BB4_14063 Depth=3
	v_cmp_ne_u16_e32 vcc, s96, v1
	v_bfrev_b32_e32 v2, 1
	s_and_saveexec_b64 s[42:43], vcc
	s_cbranch_execz .LBB4_14442
; %bb.14437:                            ;   in Loop: Header=BB4_14063 Depth=3
	v_and_b32_e32 v2, 0x7c, v1
	v_and_b32_e32 v3, 3, v1
	v_cmp_ne_u32_e32 vcc, s85, v2
                                        ; implicit-def: $vgpr2
	s_and_saveexec_b64 s[38:39], vcc
	s_xor_b64 s[38:39], exec, s[38:39]
	s_cbranch_execz .LBB4_14439
; %bb.14438:                            ;   in Loop: Header=BB4_14063 Depth=3
	v_ffbh_u32_e32 v9, v3
	v_min_u32_e32 v9, 32, v9
	v_mov_b32_e32 v2, v17
	v_subrev_u32_e32 v25, 29, v9
	v_bfe_u32 v8, v1, 2, 5
	v_lshlrev_b64 v[1:2], v25, v[1:2]
	v_sub_u32_e32 v2, 30, v9
	v_cmp_eq_u32_e32 vcc, 0, v8
	v_lshlrev_b32_e32 v0, 16, v0
	v_and_b32_e32 v1, 3, v1
	v_cndmask_b32_e32 v2, v8, v2, vcc
	v_and_b32_e32 v0, 0x80000000, v0
	v_cndmask_b32_e32 v1, v3, v1, vcc
	v_lshl_add_u32 v0, v2, 23, v0
	v_lshl_or_b32 v0, v1, 21, v0
	v_add_u32_e32 v2, 0x38000000, v0
                                        ; implicit-def: $vgpr3
                                        ; implicit-def: $vgpr0_vgpr1
.LBB4_14439:                            ;   in Loop: Header=BB4_14063 Depth=3
	s_andn2_saveexec_b64 s[38:39], s[38:39]
; %bb.14440:                            ;   in Loop: Header=BB4_14063 Depth=3
	v_cmp_lt_i16_e32 vcc, -1, v0
	v_mov_b32_e32 v0, 0xff800000
	v_mov_b32_e32 v1, 0x7f800000
	v_cndmask_b32_e32 v0, v0, v1, vcc
	v_cmp_eq_u32_e32 vcc, 0, v3
	v_mov_b32_e32 v1, 0x7f800001
	v_cndmask_b32_e32 v2, v1, v0, vcc
; %bb.14441:                            ;   in Loop: Header=BB4_14063 Depth=3
	s_or_b64 exec, exec, s[38:39]
.LBB4_14442:                            ;   in Loop: Header=BB4_14063 Depth=3
	s_or_b64 exec, exec, s[42:43]
.LBB4_14443:                            ;   in Loop: Header=BB4_14063 Depth=3
	s_or_b64 exec, exec, s[40:41]
	v_mul_f32_e32 v2, v23, v2
	v_and_b32_e32 v8, 0x7f800000, v2
	v_mov_b32_e32 v9, v17
	v_cmp_ne_u64_e32 vcc, s[76:77], v[8:9]
	v_and_b32_e32 v0, 0x7fffff, v2
	v_mov_b32_e32 v1, v17
                                        ; implicit-def: $vgpr25
	s_and_saveexec_b64 s[40:41], vcc
	s_xor_b64 s[42:43], exec, s[40:41]
	s_cbranch_execz .LBB4_14457
; %bb.14444:                            ;   in Loop: Header=BB4_14063 Depth=3
	v_and_b32_e32 v8, 0x7fffffff, v2
	v_mov_b32_e32 v9, v17
	v_cmp_gt_u64_e32 vcc, s[78:79], v[8:9]
	v_and_b32_sdwa v3, v2, s96 dst_sel:DWORD dst_unused:UNUSED_PAD src0_sel:BYTE_3 src1_sel:DWORD
                                        ; implicit-def: $vgpr25
	s_and_saveexec_b64 s[40:41], vcc
	s_xor_b64 s[38:39], exec, s[40:41]
	s_cbranch_execz .LBB4_14454
; %bb.14445:                            ;   in Loop: Header=BB4_14063 Depth=3
	v_mov_b32_e32 v25, 0
	v_cmp_ne_u32_e32 vcc, 0, v2
	s_and_saveexec_b64 s[48:49], vcc
	s_cbranch_execz .LBB4_14453
; %bb.14446:                            ;   in Loop: Header=BB4_14063 Depth=3
	v_bfe_u32 v8, v2, 23, 8
	v_cmp_gt_u32_e64 s[40:41], s46, v8
	v_sub_u32_e32 v2, 0x71, v8
	v_cmp_eq_u32_e32 vcc, 0, v8
	v_cndmask_b32_e64 v2, 0, v2, s[40:41]
	v_mov_b32_e32 v9, 0x70
	v_cndmask_b32_e32 v9, v2, v9, vcc
	v_add_u32_e32 v2, 21, v9
	v_or_b32_e32 v25, 0x800000, v0
	v_lshlrev_b64 v[50:51], v2, -1
	v_cndmask_b32_e32 v0, v25, v0, vcc
	v_add_u32_e32 v2, 20, v9
	v_bfi_b32 v50, v50, 0, v0
	v_lshlrev_b64 v[53:54], v2, 1
	v_lshrrev_b64 v[0:1], v9, v[0:1]
	v_bfi_b32 v51, v51, 0, 0
	v_cmp_eq_u64_e64 s[40:41], v[50:51], v[53:54]
	v_mov_b32_e32 v2, v1
	v_mov_b32_e32 v1, v0
	s_and_saveexec_b64 s[50:51], s[40:41]
; %bb.14447:                            ;   in Loop: Header=BB4_14063 Depth=3
	v_bfe_u32 v1, v0, 21, 1
	v_add_co_u32_e64 v1, s[40:41], v0, v1
	v_add_co_u32_e64 v1, s[40:41], -1, v1
; %bb.14448:                            ;   in Loop: Header=BB4_14063 Depth=3
	s_or_b64 exec, exec, s[50:51]
	v_add_u32_e32 v2, 0xffffff81, v8
	v_mov_b32_e32 v8, 0xffffff82
	v_cndmask_b32_e32 v2, v2, v8, vcc
	v_lshrrev_b32_e32 v8, 23, v0
	v_add3_u32 v9, v9, v2, v8
	v_add_u32_e32 v8, 14, v9
	v_and_b32_e32 v1, 0x1fffff, v1
	v_add_u32_e32 v0, v1, v0
	v_mov_b32_e32 v1, v17
	v_cmp_ne_u32_e32 vcc, 0, v8
                                        ; implicit-def: $vgpr2
	s_and_saveexec_b64 s[40:41], vcc
	s_xor_b64 s[40:41], exec, s[40:41]
; %bb.14449:                            ;   in Loop: Header=BB4_14063 Depth=3
	v_cmp_lt_u64_e32 vcc, s[88:89], v[0:1]
	v_add_u32_e32 v2, 15, v9
	v_cndmask_b32_e32 v2, v8, v2, vcc
	v_cndmask_b32_e64 v8, 0, 1, vcc
	v_lshrrev_b64 v[0:1], v8, v[0:1]
; %bb.14450:                            ;   in Loop: Header=BB4_14063 Depth=3
	s_andn2_saveexec_b64 s[40:41], s[40:41]
; %bb.14451:                            ;   in Loop: Header=BB4_14063 Depth=3
	v_bfe_u32 v2, v0, 23, 1
; %bb.14452:                            ;   in Loop: Header=BB4_14063 Depth=3
	s_or_b64 exec, exec, s[40:41]
	v_lshrrev_b64 v[0:1], 21, v[0:1]
	v_cmp_gt_i32_e32 vcc, 32, v2
	v_cndmask_b32_e32 v1, 0, v1, vcc
	v_cndmask_b32_e32 v0, 3, v0, vcc
	v_cmp_eq_u64_e64 s[40:41], 0, v[0:1]
	v_min_i32_e32 v1, 31, v2
	v_lshlrev_b32_e32 v1, 2, v1
	v_cmp_eq_u32_e32 vcc, 0, v2
	v_and_b32_e32 v1, 0xfc, v1
	v_and_or_b32 v0, v0, 3, v1
	s_and_b64 s[40:41], vcc, s[40:41]
	v_cndmask_b32_e64 v0, v0, 0, s[40:41]
	v_or_b32_e32 v25, v0, v3
.LBB4_14453:                            ;   in Loop: Header=BB4_14063 Depth=3
	s_or_b64 exec, exec, s[48:49]
                                        ; implicit-def: $vgpr3
.LBB4_14454:                            ;   in Loop: Header=BB4_14063 Depth=3
	s_andn2_saveexec_b64 s[40:41], s[38:39]
; %bb.14455:                            ;   in Loop: Header=BB4_14063 Depth=3
	v_or_b32_e32 v25, 0x7b, v3
; %bb.14456:                            ;   in Loop: Header=BB4_14063 Depth=3
	s_or_b64 exec, exec, s[40:41]
                                        ; implicit-def: $vgpr2
                                        ; implicit-def: $vgpr0_vgpr1
.LBB4_14457:                            ;   in Loop: Header=BB4_14063 Depth=3
	s_andn2_saveexec_b64 s[40:41], s[42:43]
	s_cbranch_execz .LBB4_14463
; %bb.14458:                            ;   in Loop: Header=BB4_14063 Depth=3
	v_cmp_ne_u64_e32 vcc, 0, v[0:1]
                                        ; implicit-def: $vgpr25
	s_and_saveexec_b64 s[42:43], vcc
	s_xor_b64 s[42:43], exec, s[42:43]
; %bb.14459:                            ;   in Loop: Header=BB4_14063 Depth=3
	v_or_b32_sdwa v25, v2, s47 dst_sel:DWORD dst_unused:UNUSED_PAD src0_sel:BYTE_3 src1_sel:DWORD
                                        ; implicit-def: $vgpr2
; %bb.14460:                            ;   in Loop: Header=BB4_14063 Depth=3
	s_andn2_saveexec_b64 s[42:43], s[42:43]
; %bb.14461:                            ;   in Loop: Header=BB4_14063 Depth=3
	v_cmp_lt_i32_e32 vcc, -1, v2
	v_bfrev_b32_e32 v0, 0.5
	v_cndmask_b32_e32 v25, v0, v52, vcc
; %bb.14462:                            ;   in Loop: Header=BB4_14063 Depth=3
	s_or_b64 exec, exec, s[42:43]
.LBB4_14463:                            ;   in Loop: Header=BB4_14063 Depth=3
	s_or_b64 exec, exec, s[40:41]
	v_lshrrev_b32_e32 v0, 16, v11
	v_cmp_ne_u16_sdwa s[42:43], v0, v17 src0_sel:BYTE_0 src1_sel:DWORD
	v_mov_b32_e32 v1, 0
	s_and_saveexec_b64 s[40:41], s[42:43]
	s_cbranch_execz .LBB4_14471
; %bb.14464:                            ;   in Loop: Header=BB4_14063 Depth=3
	v_cmp_ne_u16_sdwa vcc, v0, s96 src0_sel:BYTE_0 src1_sel:DWORD
	v_bfrev_b32_e32 v1, 1
	s_and_saveexec_b64 s[42:43], vcc
	s_cbranch_execz .LBB4_14470
; %bb.14465:                            ;   in Loop: Header=BB4_14063 Depth=3
	v_and_b32_e32 v1, 0x7c0000, v11
	v_bfe_u32 v2, v11, 16, 2
	v_cmp_ne_u32_e32 vcc, s44, v1
                                        ; implicit-def: $vgpr1
	s_and_saveexec_b64 s[38:39], vcc
	s_xor_b64 s[38:39], exec, s[38:39]
	s_cbranch_execz .LBB4_14467
; %bb.14466:                            ;   in Loop: Header=BB4_14063 Depth=3
	v_ffbh_u32_e32 v1, v2
	v_min_u32_e32 v8, 32, v1
	v_subrev_u32_e32 v1, 29, v8
	v_lshlrev_b64 v[0:1], v1, v[0:1]
	v_bfe_u32 v3, v11, 18, 5
	v_and_b32_e32 v0, 3, v0
	v_cmp_eq_u32_e32 vcc, 0, v3
	v_sub_u32_e32 v1, 30, v8
	v_cndmask_b32_e32 v0, v2, v0, vcc
	v_lshlrev_b32_e32 v2, 8, v11
	v_cndmask_b32_e32 v1, v3, v1, vcc
	v_and_b32_e32 v2, 0x80000000, v2
	v_lshl_add_u32 v1, v1, 23, v2
	v_lshl_or_b32 v0, v0, 21, v1
	v_add_u32_e32 v1, 0x38000000, v0
                                        ; implicit-def: $vgpr2
                                        ; implicit-def: $vgpr0
.LBB4_14467:                            ;   in Loop: Header=BB4_14063 Depth=3
	s_andn2_saveexec_b64 s[38:39], s[38:39]
; %bb.14468:                            ;   in Loop: Header=BB4_14063 Depth=3
	v_mov_b32_e32 v1, -1
	v_cmp_gt_i16_sdwa vcc, sext(v0), v1 src0_sel:BYTE_0 src1_sel:DWORD
	v_mov_b32_e32 v0, 0xff800000
	v_mov_b32_e32 v1, 0x7f800000
	v_cndmask_b32_e32 v0, v0, v1, vcc
	v_cmp_eq_u32_e32 vcc, 0, v2
	v_mov_b32_e32 v1, 0x7f800001
	v_cndmask_b32_e32 v1, v1, v0, vcc
; %bb.14469:                            ;   in Loop: Header=BB4_14063 Depth=3
	s_or_b64 exec, exec, s[38:39]
.LBB4_14470:                            ;   in Loop: Header=BB4_14063 Depth=3
	s_or_b64 exec, exec, s[42:43]
.LBB4_14471:                            ;   in Loop: Header=BB4_14063 Depth=3
	s_or_b64 exec, exec, s[40:41]
	v_mul_f32_e32 v2, v23, v1
	v_and_b32_e32 v8, 0x7f800000, v2
	v_mov_b32_e32 v9, v17
	v_cmp_ne_u64_e32 vcc, s[76:77], v[8:9]
	v_and_b32_e32 v0, 0x7fffff, v2
	v_mov_b32_e32 v1, v17
                                        ; implicit-def: $vgpr27
	s_and_saveexec_b64 s[40:41], vcc
	s_xor_b64 s[42:43], exec, s[40:41]
	s_cbranch_execz .LBB4_14485
; %bb.14472:                            ;   in Loop: Header=BB4_14063 Depth=3
	v_and_b32_e32 v8, 0x7fffffff, v2
	v_mov_b32_e32 v9, v17
	v_cmp_gt_u64_e32 vcc, s[78:79], v[8:9]
	v_and_b32_sdwa v3, v2, s96 dst_sel:DWORD dst_unused:UNUSED_PAD src0_sel:BYTE_3 src1_sel:DWORD
                                        ; implicit-def: $vgpr27
	s_and_saveexec_b64 s[40:41], vcc
	s_xor_b64 s[38:39], exec, s[40:41]
	s_cbranch_execz .LBB4_14482
; %bb.14473:                            ;   in Loop: Header=BB4_14063 Depth=3
	v_mov_b32_e32 v27, 0
	v_cmp_ne_u32_e32 vcc, 0, v2
	s_and_saveexec_b64 s[48:49], vcc
	s_cbranch_execz .LBB4_14481
; %bb.14474:                            ;   in Loop: Header=BB4_14063 Depth=3
	v_bfe_u32 v8, v2, 23, 8
	v_cmp_gt_u32_e64 s[40:41], s46, v8
	v_sub_u32_e32 v2, 0x71, v8
	v_cmp_eq_u32_e32 vcc, 0, v8
	v_cndmask_b32_e64 v2, 0, v2, s[40:41]
	v_mov_b32_e32 v9, 0x70
	v_cndmask_b32_e32 v9, v2, v9, vcc
	v_add_u32_e32 v2, 21, v9
	v_or_b32_e32 v27, 0x800000, v0
	v_lshlrev_b64 v[50:51], v2, -1
	v_cndmask_b32_e32 v0, v27, v0, vcc
	v_add_u32_e32 v2, 20, v9
	v_bfi_b32 v50, v50, 0, v0
	v_lshlrev_b64 v[53:54], v2, 1
	v_lshrrev_b64 v[0:1], v9, v[0:1]
	v_bfi_b32 v51, v51, 0, 0
	v_cmp_eq_u64_e64 s[40:41], v[50:51], v[53:54]
	v_mov_b32_e32 v2, v1
	v_mov_b32_e32 v1, v0
	s_and_saveexec_b64 s[50:51], s[40:41]
; %bb.14475:                            ;   in Loop: Header=BB4_14063 Depth=3
	v_bfe_u32 v1, v0, 21, 1
	v_add_co_u32_e64 v1, s[40:41], v0, v1
	v_add_co_u32_e64 v1, s[40:41], -1, v1
; %bb.14476:                            ;   in Loop: Header=BB4_14063 Depth=3
	s_or_b64 exec, exec, s[50:51]
	v_add_u32_e32 v2, 0xffffff81, v8
	v_mov_b32_e32 v8, 0xffffff82
	v_cndmask_b32_e32 v2, v2, v8, vcc
	v_lshrrev_b32_e32 v8, 23, v0
	v_add3_u32 v9, v9, v2, v8
	v_add_u32_e32 v8, 14, v9
	v_and_b32_e32 v1, 0x1fffff, v1
	v_add_u32_e32 v0, v1, v0
	v_mov_b32_e32 v1, v17
	v_cmp_ne_u32_e32 vcc, 0, v8
                                        ; implicit-def: $vgpr2
	s_and_saveexec_b64 s[40:41], vcc
	s_xor_b64 s[40:41], exec, s[40:41]
; %bb.14477:                            ;   in Loop: Header=BB4_14063 Depth=3
	v_cmp_lt_u64_e32 vcc, s[88:89], v[0:1]
	v_add_u32_e32 v2, 15, v9
	v_cndmask_b32_e32 v2, v8, v2, vcc
	v_cndmask_b32_e64 v8, 0, 1, vcc
	v_lshrrev_b64 v[0:1], v8, v[0:1]
; %bb.14478:                            ;   in Loop: Header=BB4_14063 Depth=3
	s_andn2_saveexec_b64 s[40:41], s[40:41]
; %bb.14479:                            ;   in Loop: Header=BB4_14063 Depth=3
	v_bfe_u32 v2, v0, 23, 1
; %bb.14480:                            ;   in Loop: Header=BB4_14063 Depth=3
	s_or_b64 exec, exec, s[40:41]
	v_lshrrev_b64 v[0:1], 21, v[0:1]
	v_cmp_gt_i32_e32 vcc, 32, v2
	v_cndmask_b32_e32 v1, 0, v1, vcc
	v_cndmask_b32_e32 v0, 3, v0, vcc
	v_cmp_eq_u64_e64 s[40:41], 0, v[0:1]
	v_min_i32_e32 v1, 31, v2
	v_lshlrev_b32_e32 v1, 2, v1
	v_cmp_eq_u32_e32 vcc, 0, v2
	v_and_b32_e32 v1, 0xfc, v1
	v_and_or_b32 v0, v0, 3, v1
	s_and_b64 s[40:41], vcc, s[40:41]
	v_cndmask_b32_e64 v0, v0, 0, s[40:41]
	v_or_b32_e32 v27, v0, v3
.LBB4_14481:                            ;   in Loop: Header=BB4_14063 Depth=3
	s_or_b64 exec, exec, s[48:49]
                                        ; implicit-def: $vgpr3
.LBB4_14482:                            ;   in Loop: Header=BB4_14063 Depth=3
	s_andn2_saveexec_b64 s[40:41], s[38:39]
; %bb.14483:                            ;   in Loop: Header=BB4_14063 Depth=3
	v_or_b32_e32 v27, 0x7b, v3
; %bb.14484:                            ;   in Loop: Header=BB4_14063 Depth=3
	s_or_b64 exec, exec, s[40:41]
                                        ; implicit-def: $vgpr2
                                        ; implicit-def: $vgpr0_vgpr1
.LBB4_14485:                            ;   in Loop: Header=BB4_14063 Depth=3
	s_andn2_saveexec_b64 s[40:41], s[42:43]
	s_cbranch_execz .LBB4_14491
; %bb.14486:                            ;   in Loop: Header=BB4_14063 Depth=3
	v_cmp_ne_u64_e32 vcc, 0, v[0:1]
                                        ; implicit-def: $vgpr27
	s_and_saveexec_b64 s[42:43], vcc
	s_xor_b64 s[42:43], exec, s[42:43]
; %bb.14487:                            ;   in Loop: Header=BB4_14063 Depth=3
	v_or_b32_sdwa v27, v2, s47 dst_sel:DWORD dst_unused:UNUSED_PAD src0_sel:BYTE_3 src1_sel:DWORD
                                        ; implicit-def: $vgpr2
; %bb.14488:                            ;   in Loop: Header=BB4_14063 Depth=3
	s_andn2_saveexec_b64 s[42:43], s[42:43]
; %bb.14489:                            ;   in Loop: Header=BB4_14063 Depth=3
	v_cmp_lt_i32_e32 vcc, -1, v2
	v_bfrev_b32_e32 v0, 0.5
	v_cndmask_b32_e32 v27, v0, v52, vcc
; %bb.14490:                            ;   in Loop: Header=BB4_14063 Depth=3
	s_or_b64 exec, exec, s[42:43]
.LBB4_14491:                            ;   in Loop: Header=BB4_14063 Depth=3
	s_or_b64 exec, exec, s[40:41]
	v_cmp_lt_u64_e32 vcc, s[56:57], v[10:11]
	v_mov_b32_e32 v1, 0
	s_and_saveexec_b64 s[40:41], vcc
	s_cbranch_execz .LBB4_14499
; %bb.14492:                            ;   in Loop: Header=BB4_14063 Depth=3
	v_lshrrev_b32_e32 v0, 24, v11
	v_cmp_ne_u32_e32 vcc, s96, v0
	v_bfrev_b32_e32 v1, 1
	s_and_saveexec_b64 s[42:43], vcc
	s_cbranch_execz .LBB4_14498
; %bb.14493:                            ;   in Loop: Header=BB4_14063 Depth=3
	v_and_b32_e32 v1, 0x7c000000, v11
	v_bfe_u32 v2, v11, 24, 2
	v_cmp_ne_u32_e32 vcc, s45, v1
                                        ; implicit-def: $vgpr1
	s_and_saveexec_b64 s[38:39], vcc
	s_xor_b64 s[38:39], exec, s[38:39]
	s_cbranch_execz .LBB4_14495
; %bb.14494:                            ;   in Loop: Header=BB4_14063 Depth=3
	v_ffbh_u32_e32 v1, v2
	v_min_u32_e32 v8, 32, v1
	v_subrev_u32_e32 v1, 29, v8
	v_lshlrev_b64 v[0:1], v1, v[0:1]
	v_bfe_u32 v3, v11, 26, 5
	v_sub_u32_e32 v1, 30, v8
	v_and_b32_e32 v0, 3, v0
	v_cmp_eq_u32_e32 vcc, 0, v3
	v_cndmask_b32_e32 v1, v3, v1, vcc
	v_cndmask_b32_e32 v0, v2, v0, vcc
	v_and_b32_e32 v2, 0x80000000, v11
	v_lshl_add_u32 v1, v1, 23, v2
	v_lshl_or_b32 v0, v0, 21, v1
	v_add_u32_e32 v1, 0x38000000, v0
                                        ; implicit-def: $vgpr2
                                        ; implicit-def: $vgpr10_vgpr11
.LBB4_14495:                            ;   in Loop: Header=BB4_14063 Depth=3
	s_andn2_saveexec_b64 s[38:39], s[38:39]
; %bb.14496:                            ;   in Loop: Header=BB4_14063 Depth=3
	v_cmp_lt_i64_e32 vcc, -1, v[10:11]
	v_mov_b32_e32 v0, 0xff800000
	v_mov_b32_e32 v1, 0x7f800000
	v_cndmask_b32_e32 v0, v0, v1, vcc
	v_cmp_eq_u32_e32 vcc, 0, v2
	v_mov_b32_e32 v1, 0x7f800001
	v_cndmask_b32_e32 v1, v1, v0, vcc
; %bb.14497:                            ;   in Loop: Header=BB4_14063 Depth=3
	s_or_b64 exec, exec, s[38:39]
.LBB4_14498:                            ;   in Loop: Header=BB4_14063 Depth=3
	s_or_b64 exec, exec, s[42:43]
.LBB4_14499:                            ;   in Loop: Header=BB4_14063 Depth=3
	s_or_b64 exec, exec, s[40:41]
	v_mul_f32_e32 v2, v23, v1
	v_and_b32_e32 v8, 0x7f800000, v2
	v_mov_b32_e32 v9, v17
	v_cmp_ne_u64_e32 vcc, s[76:77], v[8:9]
	v_and_b32_e32 v0, 0x7fffff, v2
	v_mov_b32_e32 v1, v17
                                        ; implicit-def: $vgpr32
	s_and_saveexec_b64 s[40:41], vcc
	s_xor_b64 s[42:43], exec, s[40:41]
	s_cbranch_execz .LBB4_14513
; %bb.14500:                            ;   in Loop: Header=BB4_14063 Depth=3
	v_and_b32_e32 v8, 0x7fffffff, v2
	v_mov_b32_e32 v9, v17
	v_cmp_gt_u64_e32 vcc, s[78:79], v[8:9]
	v_and_b32_sdwa v3, v2, s96 dst_sel:DWORD dst_unused:UNUSED_PAD src0_sel:BYTE_3 src1_sel:DWORD
                                        ; implicit-def: $vgpr32
	s_and_saveexec_b64 s[40:41], vcc
	s_xor_b64 s[38:39], exec, s[40:41]
	s_cbranch_execz .LBB4_14510
; %bb.14501:                            ;   in Loop: Header=BB4_14063 Depth=3
	v_mov_b32_e32 v32, 0
	v_cmp_ne_u32_e32 vcc, 0, v2
	s_and_saveexec_b64 s[48:49], vcc
	s_cbranch_execz .LBB4_14509
; %bb.14502:                            ;   in Loop: Header=BB4_14063 Depth=3
	v_bfe_u32 v8, v2, 23, 8
	v_cmp_gt_u32_e64 s[40:41], s46, v8
	v_sub_u32_e32 v2, 0x71, v8
	v_cmp_eq_u32_e32 vcc, 0, v8
	v_cndmask_b32_e64 v2, 0, v2, s[40:41]
	v_mov_b32_e32 v9, 0x70
	v_cndmask_b32_e32 v9, v2, v9, vcc
	v_or_b32_e32 v10, 0x800000, v0
	v_add_u32_e32 v2, 21, v9
	v_cndmask_b32_e32 v0, v10, v0, vcc
	v_lshlrev_b64 v[10:11], v2, -1
	v_add_u32_e32 v2, 20, v9
	v_bfi_b32 v10, v10, 0, v0
	v_lshlrev_b64 v[50:51], v2, 1
	v_lshrrev_b64 v[0:1], v9, v[0:1]
	v_bfi_b32 v11, v11, 0, 0
	v_cmp_eq_u64_e64 s[40:41], v[10:11], v[50:51]
	v_mov_b32_e32 v2, v1
	v_mov_b32_e32 v1, v0
	s_and_saveexec_b64 s[50:51], s[40:41]
; %bb.14503:                            ;   in Loop: Header=BB4_14063 Depth=3
	v_bfe_u32 v1, v0, 21, 1
	v_add_co_u32_e64 v1, s[40:41], v0, v1
	v_add_co_u32_e64 v1, s[40:41], -1, v1
; %bb.14504:                            ;   in Loop: Header=BB4_14063 Depth=3
	s_or_b64 exec, exec, s[50:51]
	v_add_u32_e32 v2, 0xffffff81, v8
	v_mov_b32_e32 v8, 0xffffff82
	v_cndmask_b32_e32 v2, v2, v8, vcc
	v_lshrrev_b32_e32 v8, 23, v0
	v_add3_u32 v9, v9, v2, v8
	v_add_u32_e32 v8, 14, v9
	v_and_b32_e32 v1, 0x1fffff, v1
	v_add_u32_e32 v0, v1, v0
	v_mov_b32_e32 v1, v17
	v_cmp_ne_u32_e32 vcc, 0, v8
                                        ; implicit-def: $vgpr2
	s_and_saveexec_b64 s[40:41], vcc
	s_xor_b64 s[40:41], exec, s[40:41]
; %bb.14505:                            ;   in Loop: Header=BB4_14063 Depth=3
	v_cmp_lt_u64_e32 vcc, s[88:89], v[0:1]
	v_add_u32_e32 v2, 15, v9
	v_cndmask_b32_e32 v2, v8, v2, vcc
	v_cndmask_b32_e64 v8, 0, 1, vcc
	v_lshrrev_b64 v[0:1], v8, v[0:1]
; %bb.14506:                            ;   in Loop: Header=BB4_14063 Depth=3
	s_andn2_saveexec_b64 s[40:41], s[40:41]
; %bb.14507:                            ;   in Loop: Header=BB4_14063 Depth=3
	v_bfe_u32 v2, v0, 23, 1
; %bb.14508:                            ;   in Loop: Header=BB4_14063 Depth=3
	s_or_b64 exec, exec, s[40:41]
	v_lshrrev_b64 v[0:1], 21, v[0:1]
	v_cmp_gt_i32_e32 vcc, 32, v2
	v_cndmask_b32_e32 v1, 0, v1, vcc
	v_cndmask_b32_e32 v0, 3, v0, vcc
	v_cmp_eq_u64_e64 s[40:41], 0, v[0:1]
	v_min_i32_e32 v1, 31, v2
	v_lshlrev_b32_e32 v1, 2, v1
	v_cmp_eq_u32_e32 vcc, 0, v2
	v_and_b32_e32 v1, 0xfc, v1
	v_and_or_b32 v0, v0, 3, v1
	s_and_b64 s[40:41], vcc, s[40:41]
	v_cndmask_b32_e64 v0, v0, 0, s[40:41]
	v_or_b32_e32 v32, v0, v3
.LBB4_14509:                            ;   in Loop: Header=BB4_14063 Depth=3
	s_or_b64 exec, exec, s[48:49]
                                        ; implicit-def: $vgpr3
.LBB4_14510:                            ;   in Loop: Header=BB4_14063 Depth=3
	s_andn2_saveexec_b64 s[40:41], s[38:39]
; %bb.14511:                            ;   in Loop: Header=BB4_14063 Depth=3
	v_or_b32_e32 v32, 0x7b, v3
; %bb.14512:                            ;   in Loop: Header=BB4_14063 Depth=3
	s_or_b64 exec, exec, s[40:41]
                                        ; implicit-def: $vgpr2
                                        ; implicit-def: $vgpr0_vgpr1
.LBB4_14513:                            ;   in Loop: Header=BB4_14063 Depth=3
	s_andn2_saveexec_b64 s[40:41], s[42:43]
	s_cbranch_execz .LBB4_14519
; %bb.14514:                            ;   in Loop: Header=BB4_14063 Depth=3
	v_cmp_ne_u64_e32 vcc, 0, v[0:1]
                                        ; implicit-def: $vgpr32
	s_and_saveexec_b64 s[42:43], vcc
	s_xor_b64 s[42:43], exec, s[42:43]
; %bb.14515:                            ;   in Loop: Header=BB4_14063 Depth=3
	v_or_b32_sdwa v32, v2, s47 dst_sel:DWORD dst_unused:UNUSED_PAD src0_sel:BYTE_3 src1_sel:DWORD
                                        ; implicit-def: $vgpr2
; %bb.14516:                            ;   in Loop: Header=BB4_14063 Depth=3
	s_andn2_saveexec_b64 s[42:43], s[42:43]
; %bb.14517:                            ;   in Loop: Header=BB4_14063 Depth=3
	v_cmp_lt_i32_e32 vcc, -1, v2
	v_bfrev_b32_e32 v0, 0.5
	v_cndmask_b32_e32 v32, v0, v52, vcc
; %bb.14518:                            ;   in Loop: Header=BB4_14063 Depth=3
	s_or_b64 exec, exec, s[42:43]
.LBB4_14519:                            ;   in Loop: Header=BB4_14063 Depth=3
	s_or_b64 exec, exec, s[40:41]
	global_load_dwordx4 v[8:11], v[14:15], off glc slc
	v_lshl_or_b32 v23, v26, 8, v21
	v_lshlrev_b32_e32 v0, 16, v31
	v_lshlrev_b32_e32 v1, 24, v38
	v_or3_b32 v0, v0, v1, v23
	v_mov_b32_e32 v1, v17
	v_cmp_ne_u32_e32 vcc, 0, v21
	v_mov_b32_e32 v2, 0
	s_and_saveexec_b64 s[42:43], vcc
	s_cbranch_execz .LBB4_14527
; %bb.14520:                            ;   in Loop: Header=BB4_14063 Depth=3
	v_cmp_ne_u32_e32 vcc, s96, v21
	v_bfrev_b32_e32 v2, 1
	s_and_saveexec_b64 s[38:39], vcc
	s_cbranch_execz .LBB4_14526
; %bb.14521:                            ;   in Loop: Header=BB4_14063 Depth=3
	v_and_b32_e32 v2, 0x7c, v21
	v_and_b32_e32 v3, 3, v21
	v_cmp_ne_u32_e32 vcc, s85, v2
                                        ; implicit-def: $vgpr2
	s_and_saveexec_b64 s[40:41], vcc
	s_xor_b64 s[40:41], exec, s[40:41]
	s_cbranch_execz .LBB4_14523
; %bb.14522:                            ;   in Loop: Header=BB4_14063 Depth=3
	v_ffbh_u32_e32 v2, v3
	v_min_u32_e32 v28, 32, v2
	v_subrev_u32_e32 v2, 29, v28
	v_lshlrev_b64 v[1:2], v2, v[0:1]
	v_bfe_u32 v26, v21, 2, 5
	v_and_b32_e32 v1, 3, v1
	v_cmp_eq_u32_e32 vcc, 0, v26
	v_sub_u32_e32 v2, 30, v28
	v_cndmask_b32_e32 v1, v3, v1, vcc
	v_lshlrev_b32_e32 v3, 24, v21
	v_cndmask_b32_e32 v2, v26, v2, vcc
	v_and_b32_e32 v3, 0x80000000, v3
	v_lshl_add_u32 v2, v2, 23, v3
	v_lshl_or_b32 v1, v1, 21, v2
	v_add_u32_e32 v2, 0x38000000, v1
                                        ; implicit-def: $vgpr3
                                        ; implicit-def: $vgpr21
.LBB4_14523:                            ;   in Loop: Header=BB4_14063 Depth=3
	s_andn2_saveexec_b64 s[48:49], s[40:41]
; %bb.14524:                            ;   in Loop: Header=BB4_14063 Depth=3
	v_and_b32_e32 v1, 0x80, v21
	v_cmp_eq_u32_e64 s[40:41], 0, v1
	v_mov_b32_e32 v1, 0xff800000
	v_mov_b32_e32 v2, 0x7f800000
	v_cmp_eq_u32_e32 vcc, 0, v3
	v_cndmask_b32_e64 v1, v1, v2, s[40:41]
	v_mov_b32_e32 v2, 0x7f800001
	v_cndmask_b32_e32 v2, v2, v1, vcc
; %bb.14525:                            ;   in Loop: Header=BB4_14063 Depth=3
	s_or_b64 exec, exec, s[48:49]
.LBB4_14526:                            ;   in Loop: Header=BB4_14063 Depth=3
	s_or_b64 exec, exec, s[38:39]
.LBB4_14527:                            ;   in Loop: Header=BB4_14063 Depth=3
	s_or_b64 exec, exec, s[42:43]
	s_waitcnt vmcnt(0)
	v_cmp_gt_i16_sdwa s[42:43], v8, s47 src0_sel:BYTE_0 src1_sel:DWORD
	s_mov_b64 s[40:41], 0
	s_and_saveexec_b64 vcc, s[42:43]
	s_xor_b64 s[42:43], exec, vcc
	s_cbranch_execz .LBB4_15042
; %bb.14528:                            ;   in Loop: Header=BB4_14063 Depth=3
	v_cmp_eq_u16_sdwa s[38:39], v8, s96 src0_sel:BYTE_0 src1_sel:DWORD
	s_mov_b64 s[40:41], -1
	s_and_saveexec_b64 vcc, s[38:39]
; %bb.14529:                            ;   in Loop: Header=BB4_14063 Depth=3
	s_xor_b64 s[40:41], exec, -1
; %bb.14530:                            ;   in Loop: Header=BB4_14063 Depth=3
	s_or_b64 exec, exec, vcc
	s_and_b64 s[40:41], s[40:41], exec
	s_or_saveexec_b64 s[42:43], s[42:43]
	v_bfrev_b32_e32 v1, 1
	s_xor_b64 exec, exec, s[42:43]
	s_cbranch_execnz .LBB4_15043
.LBB4_14531:                            ;   in Loop: Header=BB4_14063 Depth=3
	s_or_b64 exec, exec, s[42:43]
	s_and_saveexec_b64 s[38:39], s[40:41]
	s_cbranch_execz .LBB4_14533
.LBB4_14532:                            ;   in Loop: Header=BB4_14063 Depth=3
	v_and_b32_e32 v1, 3, v8
	v_and_b32_e32 v21, 0x7c, v8
	v_cmp_eq_u32_e32 vcc, s85, v21
	v_ffbh_u32_e32 v21, v1
	v_min_u32_e32 v21, 32, v21
	v_subrev_u32_e32 v26, 29, v21
	v_lshlrev_b64 v[38:39], v26, v[8:9]
	v_bfe_u32 v3, v8, 2, 5
	v_cmp_eq_u32_e64 s[40:41], 0, v3
	v_sub_u32_e32 v21, 30, v21
	v_and_b32_e32 v26, 3, v38
	v_cndmask_b32_e64 v3, v3, v21, s[40:41]
	v_cndmask_b32_e64 v21, v1, v26, s[40:41]
	v_lshlrev_b32_e32 v26, 24, v8
	v_and_b32_e32 v26, 0x80000000, v26
	v_lshl_add_u32 v3, v3, 23, v26
	v_cmp_eq_u32_e64 s[40:41], 0, v1
	v_mov_b32_e32 v1, -1
	v_lshl_or_b32 v3, v21, 21, v3
	v_cmp_gt_i16_sdwa s[42:43], sext(v8), v1 src0_sel:BYTE_0 src1_sel:DWORD
	v_mov_b32_e32 v1, 0xff800000
	v_mov_b32_e32 v21, 0x7f800000
	v_cndmask_b32_e64 v1, v1, v21, s[42:43]
	v_mov_b32_e32 v21, 0x7f800001
	v_add_u32_e32 v3, 0x38000000, v3
	v_cndmask_b32_e64 v1, v21, v1, s[40:41]
	v_cndmask_b32_e32 v1, v3, v1, vcc
.LBB4_14533:                            ;   in Loop: Header=BB4_14063 Depth=3
	s_or_b64 exec, exec, s[38:39]
	v_add_f32_e32 v3, v2, v1
	v_and_b32_e32 v38, 0x7f800000, v3
	v_mov_b32_e32 v39, v17
	v_cmp_ne_u64_e32 vcc, s[76:77], v[38:39]
	v_and_b32_e32 v1, 0x7fffff, v3
	v_mov_b32_e32 v2, v17
                                        ; implicit-def: $vgpr21
	s_and_saveexec_b64 s[40:41], vcc
	s_xor_b64 s[42:43], exec, s[40:41]
	s_cbranch_execz .LBB4_14547
; %bb.14534:                            ;   in Loop: Header=BB4_14063 Depth=3
	v_and_b32_e32 v38, 0x7fffffff, v3
	v_mov_b32_e32 v39, v17
	v_cmp_gt_u64_e32 vcc, s[78:79], v[38:39]
	v_and_b32_sdwa v26, v3, s96 dst_sel:DWORD dst_unused:UNUSED_PAD src0_sel:BYTE_3 src1_sel:DWORD
                                        ; implicit-def: $vgpr21
	s_and_saveexec_b64 s[40:41], vcc
	s_xor_b64 s[38:39], exec, s[40:41]
	s_cbranch_execz .LBB4_14544
; %bb.14535:                            ;   in Loop: Header=BB4_14063 Depth=3
	v_mov_b32_e32 v21, 0
	v_cmp_ne_u32_e32 vcc, 0, v3
	s_and_saveexec_b64 s[48:49], vcc
	s_cbranch_execz .LBB4_14543
; %bb.14536:                            ;   in Loop: Header=BB4_14063 Depth=3
	v_bfe_u32 v21, v3, 23, 8
	v_cmp_gt_u32_e64 s[40:41], s46, v21
	v_sub_u32_e32 v3, 0x71, v21
	v_cmp_eq_u32_e32 vcc, 0, v21
	v_cndmask_b32_e64 v3, 0, v3, s[40:41]
	v_mov_b32_e32 v29, 0x70
	v_cndmask_b32_e32 v31, v3, v29, vcc
	v_add_u32_e32 v3, 21, v31
	v_or_b32_e32 v28, 0x800000, v1
	v_lshlrev_b64 v[38:39], v3, -1
	v_cndmask_b32_e32 v1, v28, v1, vcc
	v_add_u32_e32 v3, 20, v31
	v_bfi_b32 v38, v38, 0, v1
	v_lshlrev_b64 v[50:51], v3, 1
	v_lshrrev_b64 v[1:2], v31, v[1:2]
	v_bfi_b32 v39, v39, 0, 0
	v_cmp_eq_u64_e64 s[40:41], v[38:39], v[50:51]
	v_mov_b32_e32 v3, v2
	v_mov_b32_e32 v2, v1
	s_and_saveexec_b64 s[50:51], s[40:41]
; %bb.14537:                            ;   in Loop: Header=BB4_14063 Depth=3
	v_bfe_u32 v2, v1, 21, 1
	v_add_co_u32_e64 v2, s[40:41], v1, v2
	v_add_co_u32_e64 v2, s[40:41], -1, v2
; %bb.14538:                            ;   in Loop: Header=BB4_14063 Depth=3
	s_or_b64 exec, exec, s[50:51]
	v_add_u32_e32 v3, 0xffffff81, v21
	v_mov_b32_e32 v21, 0xffffff82
	v_cndmask_b32_e32 v3, v3, v21, vcc
	v_lshrrev_b32_e32 v21, 23, v1
	v_add3_u32 v31, v31, v3, v21
	v_add_u32_e32 v21, 14, v31
	v_and_b32_e32 v2, 0x1fffff, v2
	v_add_u32_e32 v1, v2, v1
	v_mov_b32_e32 v2, v17
	v_cmp_ne_u32_e32 vcc, 0, v21
                                        ; implicit-def: $vgpr3
	s_and_saveexec_b64 s[40:41], vcc
	s_xor_b64 s[40:41], exec, s[40:41]
; %bb.14539:                            ;   in Loop: Header=BB4_14063 Depth=3
	v_cmp_lt_u64_e32 vcc, s[88:89], v[1:2]
	v_add_u32_e32 v3, 15, v31
	v_cndmask_b32_e32 v3, v21, v3, vcc
	v_cndmask_b32_e64 v21, 0, 1, vcc
	v_lshrrev_b64 v[1:2], v21, v[1:2]
; %bb.14540:                            ;   in Loop: Header=BB4_14063 Depth=3
	s_andn2_saveexec_b64 s[40:41], s[40:41]
; %bb.14541:                            ;   in Loop: Header=BB4_14063 Depth=3
	v_bfe_u32 v3, v1, 23, 1
; %bb.14542:                            ;   in Loop: Header=BB4_14063 Depth=3
	s_or_b64 exec, exec, s[40:41]
	v_lshrrev_b64 v[1:2], 21, v[1:2]
	v_cmp_gt_i32_e32 vcc, 32, v3
	v_cndmask_b32_e32 v2, 0, v2, vcc
	v_cndmask_b32_e32 v1, 3, v1, vcc
	v_cmp_eq_u64_e64 s[40:41], 0, v[1:2]
	v_min_i32_e32 v2, 31, v3
	v_lshlrev_b32_e32 v2, 2, v2
	v_cmp_eq_u32_e32 vcc, 0, v3
	v_and_b32_e32 v2, 0xfc, v2
	v_and_or_b32 v1, v1, 3, v2
	s_and_b64 s[40:41], vcc, s[40:41]
	v_cndmask_b32_e64 v1, v1, 0, s[40:41]
	v_or_b32_e32 v21, v1, v26
.LBB4_14543:                            ;   in Loop: Header=BB4_14063 Depth=3
	s_or_b64 exec, exec, s[48:49]
                                        ; implicit-def: $vgpr26
.LBB4_14544:                            ;   in Loop: Header=BB4_14063 Depth=3
	s_andn2_saveexec_b64 s[40:41], s[38:39]
; %bb.14545:                            ;   in Loop: Header=BB4_14063 Depth=3
	v_or_b32_e32 v21, 0x7b, v26
; %bb.14546:                            ;   in Loop: Header=BB4_14063 Depth=3
	s_or_b64 exec, exec, s[40:41]
                                        ; implicit-def: $vgpr3
                                        ; implicit-def: $vgpr1_vgpr2
.LBB4_14547:                            ;   in Loop: Header=BB4_14063 Depth=3
	s_andn2_saveexec_b64 s[40:41], s[42:43]
	s_cbranch_execz .LBB4_14553
; %bb.14548:                            ;   in Loop: Header=BB4_14063 Depth=3
	v_cmp_ne_u64_e32 vcc, 0, v[1:2]
                                        ; implicit-def: $vgpr21
	s_and_saveexec_b64 s[42:43], vcc
	s_xor_b64 s[42:43], exec, s[42:43]
; %bb.14549:                            ;   in Loop: Header=BB4_14063 Depth=3
	v_or_b32_sdwa v21, v3, s47 dst_sel:DWORD dst_unused:UNUSED_PAD src0_sel:BYTE_3 src1_sel:DWORD
                                        ; implicit-def: $vgpr3
; %bb.14550:                            ;   in Loop: Header=BB4_14063 Depth=3
	s_andn2_saveexec_b64 s[42:43], s[42:43]
; %bb.14551:                            ;   in Loop: Header=BB4_14063 Depth=3
	v_cmp_lt_i32_e32 vcc, -1, v3
	v_bfrev_b32_e32 v1, 0.5
	v_cndmask_b32_e32 v21, v1, v52, vcc
; %bb.14552:                            ;   in Loop: Header=BB4_14063 Depth=3
	s_or_b64 exec, exec, s[42:43]
.LBB4_14553:                            ;   in Loop: Header=BB4_14063 Depth=3
	s_or_b64 exec, exec, s[40:41]
	v_lshrrev_b16_e32 v1, 8, v23
	v_cmp_ne_u16_e32 vcc, 0, v1
	v_mov_b32_e32 v3, 0
	s_and_saveexec_b64 s[40:41], vcc
	s_cbranch_execz .LBB4_14561
; %bb.14554:                            ;   in Loop: Header=BB4_14063 Depth=3
	v_cmp_ne_u16_e32 vcc, s96, v1
	v_bfrev_b32_e32 v3, 1
	s_and_saveexec_b64 s[42:43], vcc
	s_cbranch_execz .LBB4_14560
; %bb.14555:                            ;   in Loop: Header=BB4_14063 Depth=3
	v_and_b32_e32 v2, 0x7c, v1
	v_and_b32_e32 v26, 3, v1
	v_cmp_ne_u32_e32 vcc, s85, v2
                                        ; implicit-def: $vgpr3
	s_and_saveexec_b64 s[38:39], vcc
	s_xor_b64 s[38:39], exec, s[38:39]
	s_cbranch_execz .LBB4_14557
; %bb.14556:                            ;   in Loop: Header=BB4_14063 Depth=3
	v_ffbh_u32_e32 v28, v26
	v_min_u32_e32 v28, 32, v28
	v_mov_b32_e32 v2, v17
	v_subrev_u32_e32 v29, 29, v28
	v_bfe_u32 v3, v1, 2, 5
	v_lshlrev_b64 v[1:2], v29, v[1:2]
	v_sub_u32_e32 v2, 30, v28
	v_cmp_eq_u32_e32 vcc, 0, v3
	v_cndmask_b32_e32 v2, v3, v2, vcc
	v_lshlrev_b32_e32 v3, 16, v23
	v_and_b32_e32 v1, 3, v1
	v_and_b32_e32 v3, 0x80000000, v3
	v_cndmask_b32_e32 v1, v26, v1, vcc
	v_lshl_add_u32 v2, v2, 23, v3
	v_lshl_or_b32 v1, v1, 21, v2
	v_add_u32_e32 v3, 0x38000000, v1
                                        ; implicit-def: $vgpr26
                                        ; implicit-def: $vgpr23
.LBB4_14557:                            ;   in Loop: Header=BB4_14063 Depth=3
	s_andn2_saveexec_b64 s[38:39], s[38:39]
; %bb.14558:                            ;   in Loop: Header=BB4_14063 Depth=3
	v_cmp_lt_i16_e32 vcc, -1, v23
	v_mov_b32_e32 v1, 0xff800000
	v_mov_b32_e32 v2, 0x7f800000
	v_cndmask_b32_e32 v1, v1, v2, vcc
	v_cmp_eq_u32_e32 vcc, 0, v26
	v_mov_b32_e32 v2, 0x7f800001
	v_cndmask_b32_e32 v3, v2, v1, vcc
; %bb.14559:                            ;   in Loop: Header=BB4_14063 Depth=3
	s_or_b64 exec, exec, s[38:39]
.LBB4_14560:                            ;   in Loop: Header=BB4_14063 Depth=3
	s_or_b64 exec, exec, s[42:43]
.LBB4_14561:                            ;   in Loop: Header=BB4_14063 Depth=3
	s_or_b64 exec, exec, s[40:41]
	v_lshrrev_b16_e32 v1, 8, v8
	v_cmp_lt_i16_e32 vcc, s47, v1
	s_mov_b64 s[40:41], 0
	s_and_saveexec_b64 s[42:43], vcc
	s_xor_b64 s[42:43], exec, s[42:43]
	s_cbranch_execz .LBB4_15044
; %bb.14562:                            ;   in Loop: Header=BB4_14063 Depth=3
	v_cmp_eq_u16_e32 vcc, s96, v1
	s_mov_b64 s[40:41], -1
	s_and_saveexec_b64 s[38:39], vcc
; %bb.14563:                            ;   in Loop: Header=BB4_14063 Depth=3
	s_xor_b64 s[40:41], exec, -1
; %bb.14564:                            ;   in Loop: Header=BB4_14063 Depth=3
	s_or_b64 exec, exec, s[38:39]
	s_and_b64 s[40:41], s[40:41], exec
	s_or_saveexec_b64 s[42:43], s[42:43]
	v_bfrev_b32_e32 v2, 1
	s_xor_b64 exec, exec, s[42:43]
	s_cbranch_execnz .LBB4_15045
.LBB4_14565:                            ;   in Loop: Header=BB4_14063 Depth=3
	s_or_b64 exec, exec, s[42:43]
	s_and_saveexec_b64 s[38:39], s[40:41]
	s_cbranch_execz .LBB4_14567
.LBB4_14566:                            ;   in Loop: Header=BB4_14063 Depth=3
	v_and_b32_e32 v23, 3, v1
	v_and_b32_e32 v28, 0x7c, v1
	v_cmp_eq_u32_e32 vcc, s85, v28
	v_ffbh_u32_e32 v28, v23
	v_min_u32_e32 v28, 32, v28
	v_mov_b32_e32 v2, v17
	v_subrev_u32_e32 v29, 29, v28
	v_bfe_u32 v26, v1, 2, 5
	v_lshlrev_b64 v[38:39], v29, v[1:2]
	v_cmp_eq_u32_e64 s[40:41], 0, v26
	v_sub_u32_e32 v2, 30, v28
	v_lshlrev_b32_e32 v1, 24, v1
	v_and_b32_e32 v28, 3, v38
	v_cndmask_b32_e64 v2, v26, v2, s[40:41]
	v_and_b32_e32 v1, 0x80000000, v1
	v_cndmask_b32_e64 v26, v23, v28, s[40:41]
	v_lshl_add_u32 v1, v2, 23, v1
	v_cmp_eq_u32_e64 s[40:41], 0, v23
	v_cmp_lt_i16_e64 s[42:43], -1, v8
	v_mov_b32_e32 v2, 0xff800000
	v_mov_b32_e32 v23, 0x7f800000
	v_lshl_or_b32 v1, v26, 21, v1
	v_cndmask_b32_e64 v2, v2, v23, s[42:43]
	v_mov_b32_e32 v23, 0x7f800001
	v_add_u32_e32 v1, 0x38000000, v1
	v_cndmask_b32_e64 v2, v23, v2, s[40:41]
	v_cndmask_b32_e32 v2, v1, v2, vcc
.LBB4_14567:                            ;   in Loop: Header=BB4_14063 Depth=3
	s_or_b64 exec, exec, s[38:39]
	v_add_f32_e32 v3, v3, v2
	v_and_b32_e32 v38, 0x7f800000, v3
	v_mov_b32_e32 v39, v17
	v_cmp_ne_u64_e32 vcc, s[76:77], v[38:39]
	v_and_b32_e32 v1, 0x7fffff, v3
	v_mov_b32_e32 v2, v17
                                        ; implicit-def: $vgpr23
	s_and_saveexec_b64 s[40:41], vcc
	s_xor_b64 s[42:43], exec, s[40:41]
	s_cbranch_execz .LBB4_14581
; %bb.14568:                            ;   in Loop: Header=BB4_14063 Depth=3
	v_and_b32_e32 v38, 0x7fffffff, v3
	v_mov_b32_e32 v39, v17
	v_cmp_gt_u64_e32 vcc, s[78:79], v[38:39]
	v_and_b32_sdwa v26, v3, s96 dst_sel:DWORD dst_unused:UNUSED_PAD src0_sel:BYTE_3 src1_sel:DWORD
                                        ; implicit-def: $vgpr23
	s_and_saveexec_b64 s[40:41], vcc
	s_xor_b64 s[38:39], exec, s[40:41]
	s_cbranch_execz .LBB4_14578
; %bb.14569:                            ;   in Loop: Header=BB4_14063 Depth=3
	v_mov_b32_e32 v23, 0
	v_cmp_ne_u32_e32 vcc, 0, v3
	s_and_saveexec_b64 s[48:49], vcc
	s_cbranch_execz .LBB4_14577
; %bb.14570:                            ;   in Loop: Header=BB4_14063 Depth=3
	v_bfe_u32 v23, v3, 23, 8
	v_cmp_gt_u32_e64 s[40:41], s46, v23
	v_sub_u32_e32 v3, 0x71, v23
	v_cmp_eq_u32_e32 vcc, 0, v23
	v_cndmask_b32_e64 v3, 0, v3, s[40:41]
	v_mov_b32_e32 v29, 0x70
	v_cndmask_b32_e32 v31, v3, v29, vcc
	v_add_u32_e32 v3, 21, v31
	v_or_b32_e32 v28, 0x800000, v1
	v_lshlrev_b64 v[38:39], v3, -1
	v_cndmask_b32_e32 v1, v28, v1, vcc
	v_add_u32_e32 v3, 20, v31
	v_bfi_b32 v38, v38, 0, v1
	v_lshlrev_b64 v[50:51], v3, 1
	v_lshrrev_b64 v[1:2], v31, v[1:2]
	v_bfi_b32 v39, v39, 0, 0
	v_cmp_eq_u64_e64 s[40:41], v[38:39], v[50:51]
	v_mov_b32_e32 v3, v2
	v_mov_b32_e32 v2, v1
	s_and_saveexec_b64 s[50:51], s[40:41]
; %bb.14571:                            ;   in Loop: Header=BB4_14063 Depth=3
	v_bfe_u32 v2, v1, 21, 1
	v_add_co_u32_e64 v2, s[40:41], v1, v2
	v_add_co_u32_e64 v2, s[40:41], -1, v2
; %bb.14572:                            ;   in Loop: Header=BB4_14063 Depth=3
	s_or_b64 exec, exec, s[50:51]
	v_add_u32_e32 v3, 0xffffff81, v23
	v_mov_b32_e32 v23, 0xffffff82
	v_cndmask_b32_e32 v3, v3, v23, vcc
	v_lshrrev_b32_e32 v23, 23, v1
	v_add3_u32 v31, v31, v3, v23
	v_add_u32_e32 v23, 14, v31
	v_and_b32_e32 v2, 0x1fffff, v2
	v_add_u32_e32 v1, v2, v1
	v_mov_b32_e32 v2, v17
	v_cmp_ne_u32_e32 vcc, 0, v23
                                        ; implicit-def: $vgpr3
	s_and_saveexec_b64 s[40:41], vcc
	s_xor_b64 s[40:41], exec, s[40:41]
; %bb.14573:                            ;   in Loop: Header=BB4_14063 Depth=3
	v_cmp_lt_u64_e32 vcc, s[88:89], v[1:2]
	v_add_u32_e32 v3, 15, v31
	v_cndmask_b32_e32 v3, v23, v3, vcc
	v_cndmask_b32_e64 v23, 0, 1, vcc
	v_lshrrev_b64 v[1:2], v23, v[1:2]
; %bb.14574:                            ;   in Loop: Header=BB4_14063 Depth=3
	s_andn2_saveexec_b64 s[40:41], s[40:41]
; %bb.14575:                            ;   in Loop: Header=BB4_14063 Depth=3
	v_bfe_u32 v3, v1, 23, 1
; %bb.14576:                            ;   in Loop: Header=BB4_14063 Depth=3
	s_or_b64 exec, exec, s[40:41]
	v_lshrrev_b64 v[1:2], 21, v[1:2]
	v_cmp_gt_i32_e32 vcc, 32, v3
	v_cndmask_b32_e32 v2, 0, v2, vcc
	v_cndmask_b32_e32 v1, 3, v1, vcc
	v_cmp_eq_u64_e64 s[40:41], 0, v[1:2]
	v_min_i32_e32 v2, 31, v3
	v_lshlrev_b32_e32 v2, 2, v2
	v_cmp_eq_u32_e32 vcc, 0, v3
	v_and_b32_e32 v2, 0xfc, v2
	v_and_or_b32 v1, v1, 3, v2
	s_and_b64 s[40:41], vcc, s[40:41]
	v_cndmask_b32_e64 v1, v1, 0, s[40:41]
	v_or_b32_e32 v23, v1, v26
.LBB4_14577:                            ;   in Loop: Header=BB4_14063 Depth=3
	s_or_b64 exec, exec, s[48:49]
                                        ; implicit-def: $vgpr26
.LBB4_14578:                            ;   in Loop: Header=BB4_14063 Depth=3
	s_andn2_saveexec_b64 s[40:41], s[38:39]
; %bb.14579:                            ;   in Loop: Header=BB4_14063 Depth=3
	v_or_b32_e32 v23, 0x7b, v26
; %bb.14580:                            ;   in Loop: Header=BB4_14063 Depth=3
	s_or_b64 exec, exec, s[40:41]
                                        ; implicit-def: $vgpr3
                                        ; implicit-def: $vgpr1_vgpr2
.LBB4_14581:                            ;   in Loop: Header=BB4_14063 Depth=3
	s_andn2_saveexec_b64 s[40:41], s[42:43]
	s_cbranch_execz .LBB4_14587
; %bb.14582:                            ;   in Loop: Header=BB4_14063 Depth=3
	v_cmp_ne_u64_e32 vcc, 0, v[1:2]
                                        ; implicit-def: $vgpr23
	s_and_saveexec_b64 s[42:43], vcc
	s_xor_b64 s[42:43], exec, s[42:43]
; %bb.14583:                            ;   in Loop: Header=BB4_14063 Depth=3
	v_or_b32_sdwa v23, v3, s47 dst_sel:DWORD dst_unused:UNUSED_PAD src0_sel:BYTE_3 src1_sel:DWORD
                                        ; implicit-def: $vgpr3
; %bb.14584:                            ;   in Loop: Header=BB4_14063 Depth=3
	s_andn2_saveexec_b64 s[42:43], s[42:43]
; %bb.14585:                            ;   in Loop: Header=BB4_14063 Depth=3
	v_cmp_lt_i32_e32 vcc, -1, v3
	v_bfrev_b32_e32 v1, 0.5
	v_cndmask_b32_e32 v23, v1, v52, vcc
; %bb.14586:                            ;   in Loop: Header=BB4_14063 Depth=3
	s_or_b64 exec, exec, s[42:43]
.LBB4_14587:                            ;   in Loop: Header=BB4_14063 Depth=3
	s_or_b64 exec, exec, s[40:41]
	v_and_b32_sdwa v3, v0, s87 dst_sel:DWORD dst_unused:UNUSED_PAD src0_sel:WORD_1 src1_sel:DWORD
	v_lshrrev_b32_e32 v1, 16, v0
	v_cmp_ne_u16_e32 vcc, 0, v3
	v_mov_b32_e32 v2, 0
	s_and_saveexec_b64 s[40:41], vcc
	s_cbranch_execz .LBB4_14595
; %bb.14588:                            ;   in Loop: Header=BB4_14063 Depth=3
	v_cmp_ne_u16_e32 vcc, s96, v3
	v_bfrev_b32_e32 v2, 1
	s_and_saveexec_b64 s[42:43], vcc
	s_cbranch_execz .LBB4_14594
; %bb.14589:                            ;   in Loop: Header=BB4_14063 Depth=3
	v_and_b32_e32 v2, 0x7c0000, v0
	v_bfe_u32 v3, v0, 16, 2
	v_cmp_ne_u32_e32 vcc, s44, v2
                                        ; implicit-def: $vgpr2
	s_and_saveexec_b64 s[38:39], vcc
	s_xor_b64 s[38:39], exec, s[38:39]
	s_cbranch_execz .LBB4_14591
; %bb.14590:                            ;   in Loop: Header=BB4_14063 Depth=3
	v_ffbh_u32_e32 v2, v3
	v_min_u32_e32 v28, 32, v2
	v_lshrrev_b32_e32 v1, 16, v0
	v_subrev_u32_e32 v2, 29, v28
	v_lshlrev_b64 v[1:2], v2, v[1:2]
	v_bfe_u32 v26, v0, 18, 5
	v_and_b32_e32 v1, 3, v1
	v_cmp_eq_u32_e32 vcc, 0, v26
	v_sub_u32_e32 v2, 30, v28
	v_cndmask_b32_e32 v1, v3, v1, vcc
	v_lshlrev_b32_e32 v3, 8, v0
	v_cndmask_b32_e32 v2, v26, v2, vcc
	v_and_b32_e32 v3, 0x80000000, v3
	v_lshl_add_u32 v2, v2, 23, v3
	v_lshl_or_b32 v1, v1, 21, v2
	v_add_u32_e32 v2, 0x38000000, v1
                                        ; implicit-def: $vgpr3
                                        ; implicit-def: $vgpr1
.LBB4_14591:                            ;   in Loop: Header=BB4_14063 Depth=3
	s_andn2_saveexec_b64 s[38:39], s[38:39]
; %bb.14592:                            ;   in Loop: Header=BB4_14063 Depth=3
	v_mov_b32_e32 v2, -1
	v_cmp_gt_i16_sdwa vcc, sext(v1), v2 src0_sel:BYTE_0 src1_sel:DWORD
	v_mov_b32_e32 v1, 0xff800000
	v_mov_b32_e32 v2, 0x7f800000
	v_cndmask_b32_e32 v1, v1, v2, vcc
	v_cmp_eq_u32_e32 vcc, 0, v3
	v_mov_b32_e32 v2, 0x7f800001
	v_cndmask_b32_e32 v2, v2, v1, vcc
; %bb.14593:                            ;   in Loop: Header=BB4_14063 Depth=3
	s_or_b64 exec, exec, s[38:39]
.LBB4_14594:                            ;   in Loop: Header=BB4_14063 Depth=3
	s_or_b64 exec, exec, s[42:43]
.LBB4_14595:                            ;   in Loop: Header=BB4_14063 Depth=3
	s_or_b64 exec, exec, s[40:41]
	v_lshrrev_b32_e32 v1, 16, v8
	v_cmp_gt_i16_sdwa s[42:43], v1, s47 src0_sel:BYTE_0 src1_sel:DWORD
	s_mov_b64 s[40:41], 0
	s_and_saveexec_b64 vcc, s[42:43]
	s_xor_b64 s[42:43], exec, vcc
	s_cbranch_execz .LBB4_15046
; %bb.14596:                            ;   in Loop: Header=BB4_14063 Depth=3
	v_cmp_eq_u16_sdwa s[38:39], v1, s96 src0_sel:BYTE_0 src1_sel:DWORD
	s_mov_b64 s[40:41], -1
	s_and_saveexec_b64 vcc, s[38:39]
; %bb.14597:                            ;   in Loop: Header=BB4_14063 Depth=3
	s_xor_b64 s[40:41], exec, -1
; %bb.14598:                            ;   in Loop: Header=BB4_14063 Depth=3
	s_or_b64 exec, exec, vcc
	s_and_b64 s[40:41], s[40:41], exec
	s_or_saveexec_b64 s[42:43], s[42:43]
	v_bfrev_b32_e32 v3, 1
	s_xor_b64 exec, exec, s[42:43]
	s_cbranch_execnz .LBB4_15047
.LBB4_14599:                            ;   in Loop: Header=BB4_14063 Depth=3
	s_or_b64 exec, exec, s[42:43]
	s_and_saveexec_b64 s[38:39], s[40:41]
	s_cbranch_execz .LBB4_14601
.LBB4_14600:                            ;   in Loop: Header=BB4_14063 Depth=3
	v_and_b32_e32 v3, 3, v1
	v_and_b32_e32 v28, 0x7c0000, v8
	v_cmp_eq_u32_e32 vcc, s44, v28
	v_ffbh_u32_e32 v28, v3
	v_min_u32_e32 v28, 32, v28
	v_subrev_u32_e32 v29, 29, v28
	v_lshlrev_b64 v[38:39], v29, v[1:2]
	v_bfe_u32 v26, v8, 18, 5
	v_cmp_eq_u32_e64 s[40:41], 0, v26
	v_sub_u32_e32 v28, 30, v28
	v_and_b32_e32 v29, 3, v38
	v_cndmask_b32_e64 v26, v26, v28, s[40:41]
	v_cndmask_b32_e64 v28, v3, v29, s[40:41]
	v_lshlrev_b32_e32 v29, 24, v1
	v_and_b32_e32 v29, 0x80000000, v29
	v_cmp_eq_u32_e64 s[40:41], 0, v3
	v_mov_b32_e32 v3, -1
	v_lshl_add_u32 v26, v26, 23, v29
	v_cmp_gt_i16_sdwa s[42:43], sext(v1), v3 src0_sel:BYTE_0 src1_sel:DWORD
	v_mov_b32_e32 v1, 0xff800000
	v_mov_b32_e32 v3, 0x7f800000
	v_lshl_or_b32 v26, v28, 21, v26
	v_cndmask_b32_e64 v1, v1, v3, s[42:43]
	v_mov_b32_e32 v3, 0x7f800001
	v_add_u32_e32 v26, 0x38000000, v26
	v_cndmask_b32_e64 v1, v3, v1, s[40:41]
	v_cndmask_b32_e32 v3, v26, v1, vcc
.LBB4_14601:                            ;   in Loop: Header=BB4_14063 Depth=3
	s_or_b64 exec, exec, s[38:39]
	v_add_f32_e32 v3, v2, v3
	v_and_b32_e32 v38, 0x7f800000, v3
	v_mov_b32_e32 v39, v17
	v_cmp_ne_u64_e32 vcc, s[76:77], v[38:39]
	v_and_b32_e32 v1, 0x7fffff, v3
	v_mov_b32_e32 v2, v17
                                        ; implicit-def: $vgpr26
	s_and_saveexec_b64 s[40:41], vcc
	s_xor_b64 s[42:43], exec, s[40:41]
	s_cbranch_execz .LBB4_14615
; %bb.14602:                            ;   in Loop: Header=BB4_14063 Depth=3
	v_and_b32_e32 v38, 0x7fffffff, v3
	v_mov_b32_e32 v39, v17
	v_cmp_gt_u64_e32 vcc, s[78:79], v[38:39]
	v_and_b32_sdwa v31, v3, s96 dst_sel:DWORD dst_unused:UNUSED_PAD src0_sel:BYTE_3 src1_sel:DWORD
                                        ; implicit-def: $vgpr26
	s_and_saveexec_b64 s[40:41], vcc
	s_xor_b64 s[38:39], exec, s[40:41]
	s_cbranch_execz .LBB4_14612
; %bb.14603:                            ;   in Loop: Header=BB4_14063 Depth=3
	v_mov_b32_e32 v26, 0
	v_cmp_ne_u32_e32 vcc, 0, v3
	s_and_saveexec_b64 s[48:49], vcc
	s_cbranch_execz .LBB4_14611
; %bb.14604:                            ;   in Loop: Header=BB4_14063 Depth=3
	v_bfe_u32 v26, v3, 23, 8
	v_cmp_gt_u32_e64 s[40:41], s46, v26
	v_sub_u32_e32 v3, 0x71, v26
	v_cmp_eq_u32_e32 vcc, 0, v26
	v_cndmask_b32_e64 v3, 0, v3, s[40:41]
	v_mov_b32_e32 v29, 0x70
	v_cndmask_b32_e32 v38, v3, v29, vcc
	v_add_u32_e32 v3, 21, v38
	v_or_b32_e32 v28, 0x800000, v1
	v_lshlrev_b64 v[50:51], v3, -1
	v_cndmask_b32_e32 v1, v28, v1, vcc
	v_add_u32_e32 v3, 20, v38
	v_bfi_b32 v50, v50, 0, v1
	v_lshlrev_b64 v[53:54], v3, 1
	v_lshrrev_b64 v[1:2], v38, v[1:2]
	v_bfi_b32 v51, v51, 0, 0
	v_cmp_eq_u64_e64 s[40:41], v[50:51], v[53:54]
	v_mov_b32_e32 v3, v2
	v_mov_b32_e32 v2, v1
	s_and_saveexec_b64 s[50:51], s[40:41]
; %bb.14605:                            ;   in Loop: Header=BB4_14063 Depth=3
	v_bfe_u32 v2, v1, 21, 1
	v_add_co_u32_e64 v2, s[40:41], v1, v2
	v_add_co_u32_e64 v2, s[40:41], -1, v2
; %bb.14606:                            ;   in Loop: Header=BB4_14063 Depth=3
	s_or_b64 exec, exec, s[50:51]
	v_add_u32_e32 v3, 0xffffff81, v26
	v_mov_b32_e32 v26, 0xffffff82
	v_cndmask_b32_e32 v3, v3, v26, vcc
	v_lshrrev_b32_e32 v26, 23, v1
	v_add3_u32 v38, v38, v3, v26
	v_add_u32_e32 v26, 14, v38
	v_and_b32_e32 v2, 0x1fffff, v2
	v_add_u32_e32 v1, v2, v1
	v_mov_b32_e32 v2, v17
	v_cmp_ne_u32_e32 vcc, 0, v26
                                        ; implicit-def: $vgpr3
	s_and_saveexec_b64 s[40:41], vcc
	s_xor_b64 s[40:41], exec, s[40:41]
; %bb.14607:                            ;   in Loop: Header=BB4_14063 Depth=3
	v_cmp_lt_u64_e32 vcc, s[88:89], v[1:2]
	v_add_u32_e32 v3, 15, v38
	v_cndmask_b32_e32 v3, v26, v3, vcc
	v_cndmask_b32_e64 v26, 0, 1, vcc
	v_lshrrev_b64 v[1:2], v26, v[1:2]
; %bb.14608:                            ;   in Loop: Header=BB4_14063 Depth=3
	s_andn2_saveexec_b64 s[40:41], s[40:41]
; %bb.14609:                            ;   in Loop: Header=BB4_14063 Depth=3
	v_bfe_u32 v3, v1, 23, 1
; %bb.14610:                            ;   in Loop: Header=BB4_14063 Depth=3
	s_or_b64 exec, exec, s[40:41]
	v_lshrrev_b64 v[1:2], 21, v[1:2]
	v_cmp_gt_i32_e32 vcc, 32, v3
	v_cndmask_b32_e32 v2, 0, v2, vcc
	v_cndmask_b32_e32 v1, 3, v1, vcc
	v_cmp_eq_u64_e64 s[40:41], 0, v[1:2]
	v_min_i32_e32 v2, 31, v3
	v_lshlrev_b32_e32 v2, 2, v2
	v_cmp_eq_u32_e32 vcc, 0, v3
	v_and_b32_e32 v2, 0xfc, v2
	v_and_or_b32 v1, v1, 3, v2
	s_and_b64 s[40:41], vcc, s[40:41]
	v_cndmask_b32_e64 v1, v1, 0, s[40:41]
	v_or_b32_e32 v26, v1, v31
.LBB4_14611:                            ;   in Loop: Header=BB4_14063 Depth=3
	s_or_b64 exec, exec, s[48:49]
                                        ; implicit-def: $vgpr31
.LBB4_14612:                            ;   in Loop: Header=BB4_14063 Depth=3
	s_andn2_saveexec_b64 s[40:41], s[38:39]
; %bb.14613:                            ;   in Loop: Header=BB4_14063 Depth=3
	v_or_b32_e32 v26, 0x7b, v31
; %bb.14614:                            ;   in Loop: Header=BB4_14063 Depth=3
	s_or_b64 exec, exec, s[40:41]
                                        ; implicit-def: $vgpr3
                                        ; implicit-def: $vgpr1_vgpr2
.LBB4_14615:                            ;   in Loop: Header=BB4_14063 Depth=3
	s_andn2_saveexec_b64 s[40:41], s[42:43]
	s_cbranch_execz .LBB4_14621
; %bb.14616:                            ;   in Loop: Header=BB4_14063 Depth=3
	v_cmp_ne_u64_e32 vcc, 0, v[1:2]
                                        ; implicit-def: $vgpr26
	s_and_saveexec_b64 s[42:43], vcc
	s_xor_b64 s[42:43], exec, s[42:43]
; %bb.14617:                            ;   in Loop: Header=BB4_14063 Depth=3
	v_or_b32_sdwa v26, v3, s47 dst_sel:DWORD dst_unused:UNUSED_PAD src0_sel:BYTE_3 src1_sel:DWORD
                                        ; implicit-def: $vgpr3
; %bb.14618:                            ;   in Loop: Header=BB4_14063 Depth=3
	s_andn2_saveexec_b64 s[42:43], s[42:43]
; %bb.14619:                            ;   in Loop: Header=BB4_14063 Depth=3
	v_cmp_lt_i32_e32 vcc, -1, v3
	v_bfrev_b32_e32 v1, 0.5
	v_cndmask_b32_e32 v26, v1, v52, vcc
; %bb.14620:                            ;   in Loop: Header=BB4_14063 Depth=3
	s_or_b64 exec, exec, s[42:43]
.LBB4_14621:                            ;   in Loop: Header=BB4_14063 Depth=3
	s_or_b64 exec, exec, s[40:41]
	v_cmp_lt_u32_e32 vcc, s57, v0
	v_mov_b32_e32 v2, 0
	s_and_saveexec_b64 s[40:41], vcc
	s_cbranch_execz .LBB4_14629
; %bb.14622:                            ;   in Loop: Header=BB4_14063 Depth=3
	v_lshrrev_b32_e32 v1, 24, v0
	v_cmp_ne_u32_e32 vcc, s96, v1
	v_bfrev_b32_e32 v2, 1
	s_and_saveexec_b64 s[42:43], vcc
	s_cbranch_execz .LBB4_14628
; %bb.14623:                            ;   in Loop: Header=BB4_14063 Depth=3
	v_and_b32_e32 v2, 0x7c000000, v0
	v_bfe_u32 v3, v0, 24, 2
	v_cmp_ne_u32_e32 vcc, s45, v2
                                        ; implicit-def: $vgpr2
	s_and_saveexec_b64 s[38:39], vcc
	s_xor_b64 s[38:39], exec, s[38:39]
	s_cbranch_execz .LBB4_14625
; %bb.14624:                            ;   in Loop: Header=BB4_14063 Depth=3
	v_ffbh_u32_e32 v2, v3
	v_min_u32_e32 v29, 32, v2
	v_subrev_u32_e32 v2, 29, v29
	v_bfe_u32 v28, v0, 26, 5
	v_lshlrev_b64 v[1:2], v2, v[1:2]
	v_sub_u32_e32 v2, 30, v29
	v_cmp_eq_u32_e32 vcc, 0, v28
	v_and_b32_e32 v1, 3, v1
	v_cndmask_b32_e32 v2, v28, v2, vcc
	v_and_b32_e32 v0, 0x80000000, v0
	v_cndmask_b32_e32 v1, v3, v1, vcc
	v_lshl_add_u32 v0, v2, 23, v0
	v_lshl_or_b32 v0, v1, 21, v0
	v_add_u32_e32 v2, 0x38000000, v0
                                        ; implicit-def: $vgpr3
                                        ; implicit-def: $vgpr0_vgpr1
.LBB4_14625:                            ;   in Loop: Header=BB4_14063 Depth=3
	s_andn2_saveexec_b64 s[38:39], s[38:39]
; %bb.14626:                            ;   in Loop: Header=BB4_14063 Depth=3
	v_cmp_lt_i32_e32 vcc, -1, v0
	v_mov_b32_e32 v0, 0xff800000
	v_mov_b32_e32 v1, 0x7f800000
	v_cndmask_b32_e32 v0, v0, v1, vcc
	v_cmp_eq_u32_e32 vcc, 0, v3
	v_mov_b32_e32 v1, 0x7f800001
	v_cndmask_b32_e32 v2, v1, v0, vcc
; %bb.14627:                            ;   in Loop: Header=BB4_14063 Depth=3
	s_or_b64 exec, exec, s[38:39]
.LBB4_14628:                            ;   in Loop: Header=BB4_14063 Depth=3
	s_or_b64 exec, exec, s[42:43]
.LBB4_14629:                            ;   in Loop: Header=BB4_14063 Depth=3
	s_or_b64 exec, exec, s[40:41]
	v_bfe_u32 v1, v8, 24, 2
	v_and_b32_e32 v28, 0x7c000000, v8
	v_cmp_eq_u32_e32 vcc, s45, v28
	v_ffbh_u32_e32 v28, v1
	v_min_u32_e32 v28, 32, v28
	v_lshrrev_b32_e32 v0, 24, v8
	v_subrev_u32_e32 v29, 29, v28
	v_lshlrev_b64 v[38:39], v29, v[0:1]
	v_bfe_u32 v3, v8, 26, 5
	v_cmp_eq_u32_e64 s[40:41], 0, v3
	v_sub_u32_e32 v28, 30, v28
	v_and_b32_e32 v29, 3, v38
	v_cndmask_b32_e64 v3, v3, v28, s[40:41]
	v_cndmask_b32_e64 v28, v1, v29, s[40:41]
	v_and_b32_e32 v29, 0x80000000, v8
	v_lshl_add_u32 v3, v3, 23, v29
	v_lshl_or_b32 v3, v28, 21, v3
	v_cmp_eq_u32_e64 s[40:41], 0, v1
	v_cmp_lt_i32_e64 s[42:43], -1, v8
	v_mov_b32_e32 v1, 0xff800000
	v_mov_b32_e32 v28, 0x7f800000
	v_cndmask_b32_e64 v1, v1, v28, s[42:43]
	v_mov_b32_e32 v28, 0x7f800001
	v_add_u32_e32 v3, 0x38000000, v3
	v_cndmask_b32_e64 v1, v28, v1, s[40:41]
	v_cndmask_b32_e32 v1, v3, v1, vcc
	v_cmp_ne_u32_e32 vcc, s96, v0
	v_bfrev_b32_e32 v0, 1
	v_cndmask_b32_e32 v0, v0, v1, vcc
	v_cmp_lt_u32_e32 vcc, s57, v8
	v_cndmask_b32_e32 v0, 0, v0, vcc
	v_add_f32_e32 v2, v0, v2
	v_and_b32_e32 v38, 0x7f800000, v2
	v_mov_b32_e32 v39, v17
	v_cmp_ne_u64_e32 vcc, s[76:77], v[38:39]
	v_and_b32_e32 v0, 0x7fffff, v2
	v_mov_b32_e32 v1, v17
                                        ; implicit-def: $vgpr31
	s_and_saveexec_b64 s[40:41], vcc
	s_xor_b64 s[42:43], exec, s[40:41]
	s_cbranch_execz .LBB4_14643
; %bb.14630:                            ;   in Loop: Header=BB4_14063 Depth=3
	v_and_b32_e32 v38, 0x7fffffff, v2
	v_mov_b32_e32 v39, v17
	v_cmp_gt_u64_e32 vcc, s[78:79], v[38:39]
	v_and_b32_sdwa v3, v2, s96 dst_sel:DWORD dst_unused:UNUSED_PAD src0_sel:BYTE_3 src1_sel:DWORD
                                        ; implicit-def: $vgpr31
	s_and_saveexec_b64 s[40:41], vcc
	s_xor_b64 s[38:39], exec, s[40:41]
	s_cbranch_execz .LBB4_14640
; %bb.14631:                            ;   in Loop: Header=BB4_14063 Depth=3
	v_mov_b32_e32 v31, 0
	v_cmp_ne_u32_e32 vcc, 0, v2
	s_and_saveexec_b64 s[48:49], vcc
	s_cbranch_execz .LBB4_14639
; %bb.14632:                            ;   in Loop: Header=BB4_14063 Depth=3
	v_bfe_u32 v31, v2, 23, 8
	v_cmp_gt_u32_e64 s[40:41], s46, v31
	v_sub_u32_e32 v2, 0x71, v31
	v_cmp_eq_u32_e32 vcc, 0, v31
	v_cndmask_b32_e64 v2, 0, v2, s[40:41]
	v_mov_b32_e32 v29, 0x70
	v_cndmask_b32_e32 v38, v2, v29, vcc
	v_add_u32_e32 v2, 21, v38
	v_or_b32_e32 v28, 0x800000, v0
	v_lshlrev_b64 v[50:51], v2, -1
	v_cndmask_b32_e32 v0, v28, v0, vcc
	v_add_u32_e32 v2, 20, v38
	v_bfi_b32 v50, v50, 0, v0
	v_lshlrev_b64 v[53:54], v2, 1
	v_lshrrev_b64 v[0:1], v38, v[0:1]
	v_bfi_b32 v51, v51, 0, 0
	v_cmp_eq_u64_e64 s[40:41], v[50:51], v[53:54]
	v_mov_b32_e32 v2, v1
	v_mov_b32_e32 v1, v0
	s_and_saveexec_b64 s[50:51], s[40:41]
; %bb.14633:                            ;   in Loop: Header=BB4_14063 Depth=3
	v_bfe_u32 v1, v0, 21, 1
	v_add_co_u32_e64 v1, s[40:41], v0, v1
	v_add_co_u32_e64 v1, s[40:41], -1, v1
; %bb.14634:                            ;   in Loop: Header=BB4_14063 Depth=3
	s_or_b64 exec, exec, s[50:51]
	v_add_u32_e32 v2, 0xffffff81, v31
	v_mov_b32_e32 v28, 0xffffff82
	v_cndmask_b32_e32 v2, v2, v28, vcc
	v_lshrrev_b32_e32 v28, 23, v0
	v_add3_u32 v38, v38, v2, v28
	v_add_u32_e32 v31, 14, v38
	v_and_b32_e32 v1, 0x1fffff, v1
	v_add_u32_e32 v0, v1, v0
	v_mov_b32_e32 v1, v17
	v_cmp_ne_u32_e32 vcc, 0, v31
                                        ; implicit-def: $vgpr2
	s_and_saveexec_b64 s[40:41], vcc
	s_xor_b64 s[40:41], exec, s[40:41]
; %bb.14635:                            ;   in Loop: Header=BB4_14063 Depth=3
	v_cmp_lt_u64_e32 vcc, s[88:89], v[0:1]
	v_add_u32_e32 v2, 15, v38
	v_cndmask_b32_e64 v28, 0, 1, vcc
	v_cndmask_b32_e32 v2, v31, v2, vcc
	v_lshrrev_b64 v[0:1], v28, v[0:1]
; %bb.14636:                            ;   in Loop: Header=BB4_14063 Depth=3
	s_andn2_saveexec_b64 s[40:41], s[40:41]
; %bb.14637:                            ;   in Loop: Header=BB4_14063 Depth=3
	v_bfe_u32 v2, v0, 23, 1
; %bb.14638:                            ;   in Loop: Header=BB4_14063 Depth=3
	s_or_b64 exec, exec, s[40:41]
	v_lshrrev_b64 v[0:1], 21, v[0:1]
	v_cmp_gt_i32_e32 vcc, 32, v2
	v_cndmask_b32_e32 v1, 0, v1, vcc
	v_cndmask_b32_e32 v0, 3, v0, vcc
	v_cmp_eq_u64_e64 s[40:41], 0, v[0:1]
	v_min_i32_e32 v1, 31, v2
	v_lshlrev_b32_e32 v1, 2, v1
	v_cmp_eq_u32_e32 vcc, 0, v2
	v_and_b32_e32 v1, 0xfc, v1
	v_and_or_b32 v0, v0, 3, v1
	s_and_b64 s[40:41], vcc, s[40:41]
	v_cndmask_b32_e64 v0, v0, 0, s[40:41]
	v_or_b32_e32 v31, v0, v3
.LBB4_14639:                            ;   in Loop: Header=BB4_14063 Depth=3
	s_or_b64 exec, exec, s[48:49]
                                        ; implicit-def: $vgpr3
.LBB4_14640:                            ;   in Loop: Header=BB4_14063 Depth=3
	s_andn2_saveexec_b64 s[40:41], s[38:39]
; %bb.14641:                            ;   in Loop: Header=BB4_14063 Depth=3
	v_or_b32_e32 v31, 0x7b, v3
; %bb.14642:                            ;   in Loop: Header=BB4_14063 Depth=3
	s_or_b64 exec, exec, s[40:41]
                                        ; implicit-def: $vgpr2
                                        ; implicit-def: $vgpr0_vgpr1
.LBB4_14643:                            ;   in Loop: Header=BB4_14063 Depth=3
	s_andn2_saveexec_b64 s[40:41], s[42:43]
	s_cbranch_execz .LBB4_14649
; %bb.14644:                            ;   in Loop: Header=BB4_14063 Depth=3
	v_cmp_ne_u64_e32 vcc, 0, v[0:1]
                                        ; implicit-def: $vgpr31
	s_and_saveexec_b64 s[42:43], vcc
	s_xor_b64 s[42:43], exec, s[42:43]
; %bb.14645:                            ;   in Loop: Header=BB4_14063 Depth=3
	v_or_b32_sdwa v31, v2, s47 dst_sel:DWORD dst_unused:UNUSED_PAD src0_sel:BYTE_3 src1_sel:DWORD
                                        ; implicit-def: $vgpr2
; %bb.14646:                            ;   in Loop: Header=BB4_14063 Depth=3
	s_andn2_saveexec_b64 s[42:43], s[42:43]
; %bb.14647:                            ;   in Loop: Header=BB4_14063 Depth=3
	v_cmp_lt_i32_e32 vcc, -1, v2
	v_bfrev_b32_e32 v0, 0.5
	v_cndmask_b32_e32 v31, v0, v52, vcc
; %bb.14648:                            ;   in Loop: Header=BB4_14063 Depth=3
	s_or_b64 exec, exec, s[42:43]
.LBB4_14649:                            ;   in Loop: Header=BB4_14063 Depth=3
	s_or_b64 exec, exec, s[40:41]
	v_lshl_or_b32 v38, v34, 8, v4
	v_lshlrev_b32_e32 v0, 16, v36
	v_lshlrev_b32_e32 v1, 24, v37
	v_or3_b32 v0, v0, v1, v38
	v_mov_b32_e32 v1, v17
	v_cmp_ne_u32_e32 vcc, 0, v4
	v_mov_b32_e32 v3, 0
	s_and_saveexec_b64 s[42:43], vcc
	s_cbranch_execz .LBB4_14657
; %bb.14650:                            ;   in Loop: Header=BB4_14063 Depth=3
	v_cmp_ne_u32_e32 vcc, s96, v4
	v_bfrev_b32_e32 v3, 1
	s_and_saveexec_b64 s[38:39], vcc
	s_cbranch_execz .LBB4_14656
; %bb.14651:                            ;   in Loop: Header=BB4_14063 Depth=3
	v_and_b32_e32 v3, 0x7c, v4
	v_and_b32_e32 v2, 3, v4
	v_cmp_ne_u32_e32 vcc, s85, v3
                                        ; implicit-def: $vgpr3
	s_and_saveexec_b64 s[40:41], vcc
	s_xor_b64 s[40:41], exec, s[40:41]
	s_cbranch_execz .LBB4_14653
; %bb.14652:                            ;   in Loop: Header=BB4_14063 Depth=3
	v_ffbh_u32_e32 v28, v2
	v_min_u32_e32 v28, 32, v28
	v_bfe_u32 v3, v4, 2, 5
	v_subrev_u32_e32 v29, 29, v28
	v_lshlrev_b64 v[36:37], v29, v[0:1]
	v_sub_u32_e32 v1, 30, v28
	v_cmp_eq_u32_e32 vcc, 0, v3
	v_cndmask_b32_e32 v1, v3, v1, vcc
	v_lshlrev_b32_e32 v3, 24, v4
	v_and_b32_e32 v28, 3, v36
	v_and_b32_e32 v3, 0x80000000, v3
	v_cndmask_b32_e32 v2, v2, v28, vcc
	v_lshl_add_u32 v1, v1, 23, v3
	v_lshl_or_b32 v1, v2, 21, v1
	v_add_u32_e32 v3, 0x38000000, v1
                                        ; implicit-def: $vgpr2
                                        ; implicit-def: $vgpr4
.LBB4_14653:                            ;   in Loop: Header=BB4_14063 Depth=3
	s_andn2_saveexec_b64 s[48:49], s[40:41]
; %bb.14654:                            ;   in Loop: Header=BB4_14063 Depth=3
	v_and_b32_e32 v1, 0x80, v4
	v_cmp_eq_u32_e32 vcc, 0, v2
	v_cmp_eq_u32_e64 s[40:41], 0, v1
	v_mov_b32_e32 v1, 0xff800000
	v_mov_b32_e32 v2, 0x7f800000
	v_cndmask_b32_e64 v1, v1, v2, s[40:41]
	v_mov_b32_e32 v2, 0x7f800001
	v_cndmask_b32_e32 v3, v2, v1, vcc
; %bb.14655:                            ;   in Loop: Header=BB4_14063 Depth=3
	s_or_b64 exec, exec, s[48:49]
.LBB4_14656:                            ;   in Loop: Header=BB4_14063 Depth=3
	s_or_b64 exec, exec, s[38:39]
.LBB4_14657:                            ;   in Loop: Header=BB4_14063 Depth=3
	s_or_b64 exec, exec, s[42:43]
	v_cmp_gt_i16_sdwa s[42:43], v9, s47 src0_sel:BYTE_0 src1_sel:DWORD
	s_mov_b64 s[40:41], 0
	s_and_saveexec_b64 vcc, s[42:43]
	s_xor_b64 s[42:43], exec, vcc
	s_cbranch_execz .LBB4_14661
; %bb.14658:                            ;   in Loop: Header=BB4_14063 Depth=3
	v_cmp_eq_u16_sdwa s[38:39], v9, s96 src0_sel:BYTE_0 src1_sel:DWORD
	s_mov_b64 s[40:41], -1
	s_and_saveexec_b64 vcc, s[38:39]
; %bb.14659:                            ;   in Loop: Header=BB4_14063 Depth=3
	s_xor_b64 s[40:41], exec, -1
; %bb.14660:                            ;   in Loop: Header=BB4_14063 Depth=3
	s_or_b64 exec, exec, vcc
	s_and_b64 s[40:41], s[40:41], exec
.LBB4_14661:                            ;   in Loop: Header=BB4_14063 Depth=3
	s_or_saveexec_b64 s[42:43], s[42:43]
	v_bfrev_b32_e32 v4, 1
	s_xor_b64 exec, exec, s[42:43]
; %bb.14662:                            ;   in Loop: Header=BB4_14063 Depth=3
	v_cmp_ne_u16_sdwa vcc, v9, v17 src0_sel:BYTE_0 src1_sel:DWORD
	s_andn2_b64 s[40:41], s[40:41], exec
	s_and_b64 vcc, vcc, exec
	v_mov_b32_e32 v4, 0
	s_or_b64 s[40:41], s[40:41], vcc
; %bb.14663:                            ;   in Loop: Header=BB4_14063 Depth=3
	s_or_b64 exec, exec, s[42:43]
	v_mov_b32_e32 v1, v9
	v_mov_b32_e32 v2, v17
	s_and_saveexec_b64 s[38:39], s[40:41]
	s_cbranch_execz .LBB4_14665
; %bb.14664:                            ;   in Loop: Header=BB4_14063 Depth=3
	v_and_b32_e32 v4, 3, v9
	v_and_b32_e32 v29, 0x7c, v9
	v_cmp_eq_u32_e32 vcc, s85, v29
	v_ffbh_u32_e32 v29, v4
	v_min_u32_e32 v29, 32, v29
	v_subrev_u32_e32 v34, 29, v29
	v_lshlrev_b64 v[36:37], v34, v[1:2]
	v_bfe_u32 v28, v9, 2, 5
	v_cmp_eq_u32_e64 s[40:41], 0, v28
	v_sub_u32_e32 v2, 30, v29
	v_and_b32_e32 v29, 3, v36
	v_cndmask_b32_e64 v2, v28, v2, s[40:41]
	v_cndmask_b32_e64 v28, v4, v29, s[40:41]
	v_lshlrev_b32_e32 v29, 24, v9
	v_and_b32_e32 v29, 0x80000000, v29
	v_lshl_add_u32 v2, v2, 23, v29
	v_cmp_eq_u32_e64 s[40:41], 0, v4
	v_mov_b32_e32 v4, -1
	v_lshl_or_b32 v2, v28, 21, v2
	v_cmp_gt_i16_sdwa s[42:43], sext(v9), v4 src0_sel:BYTE_0 src1_sel:DWORD
	v_mov_b32_e32 v4, 0xff800000
	v_mov_b32_e32 v28, 0x7f800000
	v_cndmask_b32_e64 v4, v4, v28, s[42:43]
	v_mov_b32_e32 v28, 0x7f800001
	v_add_u32_e32 v2, 0x38000000, v2
	v_cndmask_b32_e64 v4, v28, v4, s[40:41]
	v_cndmask_b32_e32 v4, v2, v4, vcc
.LBB4_14665:                            ;   in Loop: Header=BB4_14063 Depth=3
	s_or_b64 exec, exec, s[38:39]
	v_add_f32_e32 v4, v3, v4
	v_and_b32_e32 v36, 0x7f800000, v4
	v_mov_b32_e32 v37, v17
	v_cmp_ne_u64_e32 vcc, s[76:77], v[36:37]
	v_and_b32_e32 v2, 0x7fffff, v4
	v_mov_b32_e32 v3, v17
                                        ; implicit-def: $vgpr34
	s_and_saveexec_b64 s[40:41], vcc
	s_xor_b64 s[42:43], exec, s[40:41]
	s_cbranch_execz .LBB4_14679
; %bb.14666:                            ;   in Loop: Header=BB4_14063 Depth=3
	v_and_b32_e32 v36, 0x7fffffff, v4
	v_mov_b32_e32 v37, v17
	v_cmp_gt_u64_e32 vcc, s[78:79], v[36:37]
	v_and_b32_sdwa v36, v4, s96 dst_sel:DWORD dst_unused:UNUSED_PAD src0_sel:BYTE_3 src1_sel:DWORD
                                        ; implicit-def: $vgpr34
	s_and_saveexec_b64 s[40:41], vcc
	s_xor_b64 s[38:39], exec, s[40:41]
	s_cbranch_execz .LBB4_14676
; %bb.14667:                            ;   in Loop: Header=BB4_14063 Depth=3
	v_mov_b32_e32 v34, 0
	v_cmp_ne_u32_e32 vcc, 0, v4
	s_and_saveexec_b64 s[48:49], vcc
	s_cbranch_execz .LBB4_14675
; %bb.14668:                            ;   in Loop: Header=BB4_14063 Depth=3
	v_bfe_u32 v34, v4, 23, 8
	v_cmp_gt_u32_e64 s[40:41], s46, v34
	v_sub_u32_e32 v4, 0x71, v34
	v_cmp_eq_u32_e32 vcc, 0, v34
	v_cndmask_b32_e64 v4, 0, v4, s[40:41]
	v_mov_b32_e32 v29, 0x70
	v_cndmask_b32_e32 v37, v4, v29, vcc
	v_add_u32_e32 v4, 21, v37
	v_or_b32_e32 v28, 0x800000, v2
	v_lshlrev_b64 v[50:51], v4, -1
	v_cndmask_b32_e32 v2, v28, v2, vcc
	v_add_u32_e32 v4, 20, v37
	v_bfi_b32 v50, v50, 0, v2
	v_lshlrev_b64 v[53:54], v4, 1
	v_lshrrev_b64 v[2:3], v37, v[2:3]
	v_bfi_b32 v51, v51, 0, 0
	v_cmp_eq_u64_e64 s[40:41], v[50:51], v[53:54]
	v_mov_b32_e32 v4, v3
	v_mov_b32_e32 v3, v2
	s_and_saveexec_b64 s[50:51], s[40:41]
; %bb.14669:                            ;   in Loop: Header=BB4_14063 Depth=3
	v_bfe_u32 v3, v2, 21, 1
	v_add_co_u32_e64 v3, s[40:41], v2, v3
	v_add_co_u32_e64 v3, s[40:41], -1, v3
; %bb.14670:                            ;   in Loop: Header=BB4_14063 Depth=3
	s_or_b64 exec, exec, s[50:51]
	v_add_u32_e32 v4, 0xffffff81, v34
	v_mov_b32_e32 v28, 0xffffff82
	v_cndmask_b32_e32 v4, v4, v28, vcc
	v_lshrrev_b32_e32 v28, 23, v2
	v_add3_u32 v37, v37, v4, v28
	v_add_u32_e32 v34, 14, v37
	v_and_b32_e32 v3, 0x1fffff, v3
	v_add_u32_e32 v2, v3, v2
	v_mov_b32_e32 v3, v17
	v_cmp_ne_u32_e32 vcc, 0, v34
                                        ; implicit-def: $vgpr4
	s_and_saveexec_b64 s[40:41], vcc
	s_xor_b64 s[40:41], exec, s[40:41]
; %bb.14671:                            ;   in Loop: Header=BB4_14063 Depth=3
	v_cmp_lt_u64_e32 vcc, s[88:89], v[2:3]
	v_add_u32_e32 v4, 15, v37
	v_cndmask_b32_e64 v28, 0, 1, vcc
	v_cndmask_b32_e32 v4, v34, v4, vcc
	v_lshrrev_b64 v[2:3], v28, v[2:3]
; %bb.14672:                            ;   in Loop: Header=BB4_14063 Depth=3
	s_andn2_saveexec_b64 s[40:41], s[40:41]
; %bb.14673:                            ;   in Loop: Header=BB4_14063 Depth=3
	v_bfe_u32 v4, v2, 23, 1
; %bb.14674:                            ;   in Loop: Header=BB4_14063 Depth=3
	s_or_b64 exec, exec, s[40:41]
	v_lshrrev_b64 v[2:3], 21, v[2:3]
	v_cmp_gt_i32_e32 vcc, 32, v4
	v_cndmask_b32_e32 v3, 0, v3, vcc
	v_cndmask_b32_e32 v2, 3, v2, vcc
	v_cmp_eq_u64_e64 s[40:41], 0, v[2:3]
	v_min_i32_e32 v3, 31, v4
	v_lshlrev_b32_e32 v3, 2, v3
	v_cmp_eq_u32_e32 vcc, 0, v4
	v_and_b32_e32 v3, 0xfc, v3
	v_and_or_b32 v2, v2, 3, v3
	s_and_b64 s[40:41], vcc, s[40:41]
	v_cndmask_b32_e64 v2, v2, 0, s[40:41]
	v_or_b32_e32 v34, v2, v36
.LBB4_14675:                            ;   in Loop: Header=BB4_14063 Depth=3
	s_or_b64 exec, exec, s[48:49]
                                        ; implicit-def: $vgpr36
.LBB4_14676:                            ;   in Loop: Header=BB4_14063 Depth=3
	s_andn2_saveexec_b64 s[40:41], s[38:39]
; %bb.14677:                            ;   in Loop: Header=BB4_14063 Depth=3
	v_or_b32_e32 v34, 0x7b, v36
; %bb.14678:                            ;   in Loop: Header=BB4_14063 Depth=3
	s_or_b64 exec, exec, s[40:41]
                                        ; implicit-def: $vgpr4
                                        ; implicit-def: $vgpr2_vgpr3
.LBB4_14679:                            ;   in Loop: Header=BB4_14063 Depth=3
	s_andn2_saveexec_b64 s[40:41], s[42:43]
	s_cbranch_execz .LBB4_14685
; %bb.14680:                            ;   in Loop: Header=BB4_14063 Depth=3
	v_cmp_ne_u64_e32 vcc, 0, v[2:3]
                                        ; implicit-def: $vgpr34
	s_and_saveexec_b64 s[42:43], vcc
	s_xor_b64 s[42:43], exec, s[42:43]
; %bb.14681:                            ;   in Loop: Header=BB4_14063 Depth=3
	v_or_b32_sdwa v34, v4, s47 dst_sel:DWORD dst_unused:UNUSED_PAD src0_sel:BYTE_3 src1_sel:DWORD
                                        ; implicit-def: $vgpr4
; %bb.14682:                            ;   in Loop: Header=BB4_14063 Depth=3
	s_andn2_saveexec_b64 s[42:43], s[42:43]
; %bb.14683:                            ;   in Loop: Header=BB4_14063 Depth=3
	v_cmp_lt_i32_e32 vcc, -1, v4
	v_bfrev_b32_e32 v2, 0.5
	v_cndmask_b32_e32 v34, v2, v52, vcc
; %bb.14684:                            ;   in Loop: Header=BB4_14063 Depth=3
	s_or_b64 exec, exec, s[42:43]
.LBB4_14685:                            ;   in Loop: Header=BB4_14063 Depth=3
	s_or_b64 exec, exec, s[40:41]
	v_lshrrev_b16_e32 v2, 8, v38
	v_cmp_ne_u16_e32 vcc, 0, v2
	v_mov_b32_e32 v4, 0
	s_and_saveexec_b64 s[40:41], vcc
	s_cbranch_execz .LBB4_14693
; %bb.14686:                            ;   in Loop: Header=BB4_14063 Depth=3
	v_cmp_ne_u16_e32 vcc, s96, v2
	v_bfrev_b32_e32 v4, 1
	s_and_saveexec_b64 s[42:43], vcc
	s_cbranch_execz .LBB4_14692
; %bb.14687:                            ;   in Loop: Header=BB4_14063 Depth=3
	v_and_b32_e32 v3, 0x7c, v2
	v_and_b32_e32 v36, 3, v2
	v_cmp_ne_u32_e32 vcc, s85, v3
                                        ; implicit-def: $vgpr4
	s_and_saveexec_b64 s[38:39], vcc
	s_xor_b64 s[38:39], exec, s[38:39]
	s_cbranch_execz .LBB4_14689
; %bb.14688:                            ;   in Loop: Header=BB4_14063 Depth=3
	v_ffbh_u32_e32 v28, v36
	v_min_u32_e32 v28, 32, v28
	v_mov_b32_e32 v3, v17
	v_subrev_u32_e32 v29, 29, v28
	v_bfe_u32 v4, v2, 2, 5
	v_lshlrev_b64 v[2:3], v29, v[2:3]
	v_sub_u32_e32 v3, 30, v28
	v_cmp_eq_u32_e32 vcc, 0, v4
	v_cndmask_b32_e32 v3, v4, v3, vcc
	v_lshlrev_b32_e32 v4, 16, v38
	v_and_b32_e32 v2, 3, v2
	v_and_b32_e32 v4, 0x80000000, v4
	v_cndmask_b32_e32 v2, v36, v2, vcc
	v_lshl_add_u32 v3, v3, 23, v4
	v_lshl_or_b32 v2, v2, 21, v3
	v_add_u32_e32 v4, 0x38000000, v2
                                        ; implicit-def: $vgpr36
                                        ; implicit-def: $vgpr38
.LBB4_14689:                            ;   in Loop: Header=BB4_14063 Depth=3
	s_andn2_saveexec_b64 s[38:39], s[38:39]
; %bb.14690:                            ;   in Loop: Header=BB4_14063 Depth=3
	v_cmp_lt_i16_e32 vcc, -1, v38
	v_mov_b32_e32 v2, 0xff800000
	v_mov_b32_e32 v3, 0x7f800000
	v_cndmask_b32_e32 v2, v2, v3, vcc
	v_cmp_eq_u32_e32 vcc, 0, v36
	v_mov_b32_e32 v3, 0x7f800001
	v_cndmask_b32_e32 v4, v3, v2, vcc
; %bb.14691:                            ;   in Loop: Header=BB4_14063 Depth=3
	s_or_b64 exec, exec, s[38:39]
.LBB4_14692:                            ;   in Loop: Header=BB4_14063 Depth=3
	s_or_b64 exec, exec, s[42:43]
.LBB4_14693:                            ;   in Loop: Header=BB4_14063 Depth=3
	s_or_b64 exec, exec, s[40:41]
	v_lshrrev_b16_e32 v2, 8, v1
	v_cmp_lt_i16_e32 vcc, s47, v2
	s_mov_b64 s[40:41], 0
	s_and_saveexec_b64 s[42:43], vcc
	s_xor_b64 s[42:43], exec, s[42:43]
	s_cbranch_execz .LBB4_15048
; %bb.14694:                            ;   in Loop: Header=BB4_14063 Depth=3
	v_cmp_eq_u16_e32 vcc, s96, v2
	s_mov_b64 s[40:41], -1
	s_and_saveexec_b64 s[38:39], vcc
; %bb.14695:                            ;   in Loop: Header=BB4_14063 Depth=3
	s_xor_b64 s[40:41], exec, -1
; %bb.14696:                            ;   in Loop: Header=BB4_14063 Depth=3
	s_or_b64 exec, exec, s[38:39]
	s_and_b64 s[40:41], s[40:41], exec
	s_or_saveexec_b64 s[42:43], s[42:43]
	v_bfrev_b32_e32 v3, 1
	s_xor_b64 exec, exec, s[42:43]
	s_cbranch_execnz .LBB4_15049
.LBB4_14697:                            ;   in Loop: Header=BB4_14063 Depth=3
	s_or_b64 exec, exec, s[42:43]
	s_and_saveexec_b64 s[38:39], s[40:41]
	s_cbranch_execz .LBB4_14699
.LBB4_14698:                            ;   in Loop: Header=BB4_14063 Depth=3
	v_and_b32_e32 v28, 3, v2
	v_and_b32_e32 v36, 0x7c, v2
	v_cmp_eq_u32_e32 vcc, s85, v36
	v_ffbh_u32_e32 v36, v28
	v_min_u32_e32 v38, 32, v36
	v_mov_b32_e32 v3, v17
	v_subrev_u32_e32 v36, 29, v38
	v_bfe_u32 v29, v2, 2, 5
	v_lshlrev_b64 v[36:37], v36, v[2:3]
	v_cmp_eq_u32_e64 s[40:41], 0, v29
	v_sub_u32_e32 v3, 30, v38
	v_lshlrev_b32_e32 v2, 24, v2
	v_and_b32_e32 v36, 3, v36
	v_cndmask_b32_e64 v3, v29, v3, s[40:41]
	v_and_b32_e32 v2, 0x80000000, v2
	v_cndmask_b32_e64 v29, v28, v36, s[40:41]
	v_lshl_add_u32 v2, v3, 23, v2
	v_cmp_lt_i16_e64 s[42:43], -1, v1
	v_mov_b32_e32 v1, 0xff800000
	v_mov_b32_e32 v3, 0x7f800000
	v_lshl_or_b32 v2, v29, 21, v2
	v_cmp_eq_u32_e64 s[40:41], 0, v28
	v_cndmask_b32_e64 v1, v1, v3, s[42:43]
	v_mov_b32_e32 v3, 0x7f800001
	v_add_u32_e32 v2, 0x38000000, v2
	v_cndmask_b32_e64 v1, v3, v1, s[40:41]
	v_cndmask_b32_e32 v3, v2, v1, vcc
.LBB4_14699:                            ;   in Loop: Header=BB4_14063 Depth=3
	s_or_b64 exec, exec, s[38:39]
	v_add_f32_e32 v3, v4, v3
	v_and_b32_e32 v36, 0x7f800000, v3
	v_mov_b32_e32 v37, v17
	v_cmp_ne_u64_e32 vcc, s[76:77], v[36:37]
	v_and_b32_e32 v1, 0x7fffff, v3
	v_mov_b32_e32 v2, v17
                                        ; implicit-def: $vgpr36
	s_and_saveexec_b64 s[40:41], vcc
	s_xor_b64 s[42:43], exec, s[40:41]
	s_cbranch_execz .LBB4_14713
; %bb.14700:                            ;   in Loop: Header=BB4_14063 Depth=3
	v_and_b32_e32 v36, 0x7fffffff, v3
	v_mov_b32_e32 v37, v17
	v_cmp_gt_u64_e32 vcc, s[78:79], v[36:37]
	v_and_b32_sdwa v4, v3, s96 dst_sel:DWORD dst_unused:UNUSED_PAD src0_sel:BYTE_3 src1_sel:DWORD
                                        ; implicit-def: $vgpr36
	s_and_saveexec_b64 s[40:41], vcc
	s_xor_b64 s[38:39], exec, s[40:41]
	s_cbranch_execz .LBB4_14710
; %bb.14701:                            ;   in Loop: Header=BB4_14063 Depth=3
	v_mov_b32_e32 v36, 0
	v_cmp_ne_u32_e32 vcc, 0, v3
	s_and_saveexec_b64 s[48:49], vcc
	s_cbranch_execz .LBB4_14709
; %bb.14702:                            ;   in Loop: Header=BB4_14063 Depth=3
	v_bfe_u32 v36, v3, 23, 8
	v_cmp_gt_u32_e64 s[40:41], s46, v36
	v_sub_u32_e32 v3, 0x71, v36
	v_cmp_eq_u32_e32 vcc, 0, v36
	v_cndmask_b32_e64 v3, 0, v3, s[40:41]
	v_mov_b32_e32 v29, 0x70
	v_cndmask_b32_e32 v37, v3, v29, vcc
	v_add_u32_e32 v3, 21, v37
	v_or_b32_e32 v28, 0x800000, v1
	v_lshlrev_b64 v[38:39], v3, -1
	v_cndmask_b32_e32 v1, v28, v1, vcc
	v_add_u32_e32 v3, 20, v37
	v_bfi_b32 v38, v38, 0, v1
	v_lshlrev_b64 v[50:51], v3, 1
	v_lshrrev_b64 v[1:2], v37, v[1:2]
	v_bfi_b32 v39, v39, 0, 0
	v_cmp_eq_u64_e64 s[40:41], v[38:39], v[50:51]
	v_mov_b32_e32 v3, v2
	v_mov_b32_e32 v2, v1
	s_and_saveexec_b64 s[50:51], s[40:41]
; %bb.14703:                            ;   in Loop: Header=BB4_14063 Depth=3
	v_bfe_u32 v2, v1, 21, 1
	v_add_co_u32_e64 v2, s[40:41], v1, v2
	v_add_co_u32_e64 v2, s[40:41], -1, v2
; %bb.14704:                            ;   in Loop: Header=BB4_14063 Depth=3
	s_or_b64 exec, exec, s[50:51]
	v_add_u32_e32 v3, 0xffffff81, v36
	v_mov_b32_e32 v28, 0xffffff82
	v_cndmask_b32_e32 v3, v3, v28, vcc
	v_lshrrev_b32_e32 v28, 23, v1
	v_add3_u32 v37, v37, v3, v28
	v_add_u32_e32 v36, 14, v37
	v_and_b32_e32 v2, 0x1fffff, v2
	v_add_u32_e32 v1, v2, v1
	v_mov_b32_e32 v2, v17
	v_cmp_ne_u32_e32 vcc, 0, v36
                                        ; implicit-def: $vgpr3
	s_and_saveexec_b64 s[40:41], vcc
	s_xor_b64 s[40:41], exec, s[40:41]
; %bb.14705:                            ;   in Loop: Header=BB4_14063 Depth=3
	v_cmp_lt_u64_e32 vcc, s[88:89], v[1:2]
	v_add_u32_e32 v3, 15, v37
	v_cndmask_b32_e64 v28, 0, 1, vcc
	v_cndmask_b32_e32 v3, v36, v3, vcc
	v_lshrrev_b64 v[1:2], v28, v[1:2]
; %bb.14706:                            ;   in Loop: Header=BB4_14063 Depth=3
	s_andn2_saveexec_b64 s[40:41], s[40:41]
; %bb.14707:                            ;   in Loop: Header=BB4_14063 Depth=3
	v_bfe_u32 v3, v1, 23, 1
; %bb.14708:                            ;   in Loop: Header=BB4_14063 Depth=3
	s_or_b64 exec, exec, s[40:41]
	v_lshrrev_b64 v[1:2], 21, v[1:2]
	v_cmp_gt_i32_e32 vcc, 32, v3
	v_cndmask_b32_e32 v2, 0, v2, vcc
	v_cndmask_b32_e32 v1, 3, v1, vcc
	v_cmp_eq_u64_e64 s[40:41], 0, v[1:2]
	v_min_i32_e32 v2, 31, v3
	v_lshlrev_b32_e32 v2, 2, v2
	v_cmp_eq_u32_e32 vcc, 0, v3
	v_and_b32_e32 v2, 0xfc, v2
	v_and_or_b32 v1, v1, 3, v2
	s_and_b64 s[40:41], vcc, s[40:41]
	v_cndmask_b32_e64 v1, v1, 0, s[40:41]
	v_or_b32_e32 v36, v1, v4
.LBB4_14709:                            ;   in Loop: Header=BB4_14063 Depth=3
	s_or_b64 exec, exec, s[48:49]
                                        ; implicit-def: $vgpr4
.LBB4_14710:                            ;   in Loop: Header=BB4_14063 Depth=3
	s_andn2_saveexec_b64 s[40:41], s[38:39]
; %bb.14711:                            ;   in Loop: Header=BB4_14063 Depth=3
	v_or_b32_e32 v36, 0x7b, v4
; %bb.14712:                            ;   in Loop: Header=BB4_14063 Depth=3
	s_or_b64 exec, exec, s[40:41]
                                        ; implicit-def: $vgpr3
                                        ; implicit-def: $vgpr1_vgpr2
.LBB4_14713:                            ;   in Loop: Header=BB4_14063 Depth=3
	s_andn2_saveexec_b64 s[40:41], s[42:43]
	s_cbranch_execz .LBB4_14719
; %bb.14714:                            ;   in Loop: Header=BB4_14063 Depth=3
	v_cmp_ne_u64_e32 vcc, 0, v[1:2]
                                        ; implicit-def: $vgpr36
	s_and_saveexec_b64 s[42:43], vcc
	s_xor_b64 s[42:43], exec, s[42:43]
; %bb.14715:                            ;   in Loop: Header=BB4_14063 Depth=3
	v_or_b32_sdwa v36, v3, s47 dst_sel:DWORD dst_unused:UNUSED_PAD src0_sel:BYTE_3 src1_sel:DWORD
                                        ; implicit-def: $vgpr3
; %bb.14716:                            ;   in Loop: Header=BB4_14063 Depth=3
	s_andn2_saveexec_b64 s[42:43], s[42:43]
; %bb.14717:                            ;   in Loop: Header=BB4_14063 Depth=3
	v_cmp_lt_i32_e32 vcc, -1, v3
	v_bfrev_b32_e32 v1, 0.5
	v_cndmask_b32_e32 v36, v1, v52, vcc
; %bb.14718:                            ;   in Loop: Header=BB4_14063 Depth=3
	s_or_b64 exec, exec, s[42:43]
.LBB4_14719:                            ;   in Loop: Header=BB4_14063 Depth=3
	s_or_b64 exec, exec, s[40:41]
	v_and_b32_sdwa v3, v0, s87 dst_sel:DWORD dst_unused:UNUSED_PAD src0_sel:WORD_1 src1_sel:DWORD
	v_lshrrev_b32_e32 v1, 16, v0
	v_cmp_ne_u16_e32 vcc, 0, v3
	v_mov_b32_e32 v2, 0
	s_and_saveexec_b64 s[40:41], vcc
	s_cbranch_execz .LBB4_14727
; %bb.14720:                            ;   in Loop: Header=BB4_14063 Depth=3
	v_cmp_ne_u16_e32 vcc, s96, v3
	v_bfrev_b32_e32 v2, 1
	s_and_saveexec_b64 s[42:43], vcc
	s_cbranch_execz .LBB4_14726
; %bb.14721:                            ;   in Loop: Header=BB4_14063 Depth=3
	v_and_b32_e32 v2, 0x7c0000, v0
	v_bfe_u32 v3, v0, 16, 2
	v_cmp_ne_u32_e32 vcc, s44, v2
                                        ; implicit-def: $vgpr2
	s_and_saveexec_b64 s[38:39], vcc
	s_xor_b64 s[38:39], exec, s[38:39]
	s_cbranch_execz .LBB4_14723
; %bb.14722:                            ;   in Loop: Header=BB4_14063 Depth=3
	v_ffbh_u32_e32 v2, v3
	v_min_u32_e32 v28, 32, v2
	v_subrev_u32_e32 v2, 29, v28
	v_lshlrev_b64 v[1:2], v2, v[1:2]
	v_bfe_u32 v4, v0, 18, 5
	v_and_b32_e32 v1, 3, v1
	v_cmp_eq_u32_e32 vcc, 0, v4
	v_sub_u32_e32 v2, 30, v28
	v_cndmask_b32_e32 v1, v3, v1, vcc
	v_lshlrev_b32_e32 v3, 8, v0
	v_cndmask_b32_e32 v2, v4, v2, vcc
	v_and_b32_e32 v3, 0x80000000, v3
	v_lshl_add_u32 v2, v2, 23, v3
	v_lshl_or_b32 v1, v1, 21, v2
	v_add_u32_e32 v2, 0x38000000, v1
                                        ; implicit-def: $vgpr3
                                        ; implicit-def: $vgpr1
.LBB4_14723:                            ;   in Loop: Header=BB4_14063 Depth=3
	s_andn2_saveexec_b64 s[38:39], s[38:39]
; %bb.14724:                            ;   in Loop: Header=BB4_14063 Depth=3
	v_mov_b32_e32 v2, -1
	v_cmp_gt_i16_sdwa vcc, sext(v1), v2 src0_sel:BYTE_0 src1_sel:DWORD
	v_mov_b32_e32 v1, 0xff800000
	v_mov_b32_e32 v2, 0x7f800000
	v_cndmask_b32_e32 v1, v1, v2, vcc
	v_cmp_eq_u32_e32 vcc, 0, v3
	v_mov_b32_e32 v2, 0x7f800001
	v_cndmask_b32_e32 v2, v2, v1, vcc
; %bb.14725:                            ;   in Loop: Header=BB4_14063 Depth=3
	s_or_b64 exec, exec, s[38:39]
.LBB4_14726:                            ;   in Loop: Header=BB4_14063 Depth=3
	s_or_b64 exec, exec, s[42:43]
.LBB4_14727:                            ;   in Loop: Header=BB4_14063 Depth=3
	s_or_b64 exec, exec, s[40:41]
	v_lshrrev_b32_e32 v1, 16, v9
	v_cmp_gt_i16_sdwa s[42:43], v1, s47 src0_sel:BYTE_0 src1_sel:DWORD
	s_mov_b64 s[40:41], 0
	s_and_saveexec_b64 vcc, s[42:43]
	s_xor_b64 s[42:43], exec, vcc
	s_cbranch_execz .LBB4_15050
; %bb.14728:                            ;   in Loop: Header=BB4_14063 Depth=3
	v_cmp_eq_u16_sdwa s[38:39], v1, s96 src0_sel:BYTE_0 src1_sel:DWORD
	s_mov_b64 s[40:41], -1
	s_and_saveexec_b64 vcc, s[38:39]
; %bb.14729:                            ;   in Loop: Header=BB4_14063 Depth=3
	s_xor_b64 s[40:41], exec, -1
; %bb.14730:                            ;   in Loop: Header=BB4_14063 Depth=3
	s_or_b64 exec, exec, vcc
	s_and_b64 s[40:41], s[40:41], exec
	s_or_saveexec_b64 s[42:43], s[42:43]
	v_bfrev_b32_e32 v3, 1
	s_xor_b64 exec, exec, s[42:43]
	s_cbranch_execnz .LBB4_15051
.LBB4_14731:                            ;   in Loop: Header=BB4_14063 Depth=3
	s_or_b64 exec, exec, s[42:43]
	s_and_saveexec_b64 s[38:39], s[40:41]
	s_cbranch_execz .LBB4_14733
.LBB4_14732:                            ;   in Loop: Header=BB4_14063 Depth=3
	v_and_b32_e32 v28, 3, v1
	v_and_b32_e32 v3, 0x7c0000, v9
	v_cmp_eq_u32_e32 vcc, s44, v3
	v_ffbh_u32_e32 v3, v28
	v_min_u32_e32 v37, 32, v3
	v_subrev_u32_e32 v3, 29, v37
	v_bfe_u32 v29, v9, 18, 5
	v_lshlrev_b64 v[3:4], v3, v[1:2]
	v_cmp_eq_u32_e64 s[40:41], 0, v29
	v_sub_u32_e32 v4, 30, v37
	v_cndmask_b32_e64 v4, v29, v4, s[40:41]
	v_lshlrev_b32_e32 v29, 24, v1
	v_and_b32_e32 v3, 3, v3
	v_and_b32_e32 v29, 0x80000000, v29
	v_cndmask_b32_e64 v3, v28, v3, s[40:41]
	v_lshl_add_u32 v4, v4, 23, v29
	v_lshl_or_b32 v3, v3, 21, v4
	v_mov_b32_e32 v4, -1
	v_cmp_gt_i16_sdwa s[42:43], sext(v1), v4 src0_sel:BYTE_0 src1_sel:DWORD
	v_mov_b32_e32 v1, 0xff800000
	v_mov_b32_e32 v4, 0x7f800000
	v_cmp_eq_u32_e64 s[40:41], 0, v28
	v_cndmask_b32_e64 v1, v1, v4, s[42:43]
	v_mov_b32_e32 v4, 0x7f800001
	v_add_u32_e32 v3, 0x38000000, v3
	v_cndmask_b32_e64 v1, v4, v1, s[40:41]
	v_cndmask_b32_e32 v3, v3, v1, vcc
.LBB4_14733:                            ;   in Loop: Header=BB4_14063 Depth=3
	s_or_b64 exec, exec, s[38:39]
	v_add_f32_e32 v3, v2, v3
	v_and_b32_e32 v37, 0x7f800000, v3
	v_mov_b32_e32 v38, v17
	v_cmp_ne_u64_e32 vcc, s[76:77], v[37:38]
	v_and_b32_e32 v1, 0x7fffff, v3
	v_mov_b32_e32 v2, v17
                                        ; implicit-def: $vgpr37
	s_and_saveexec_b64 s[40:41], vcc
	s_xor_b64 s[42:43], exec, s[40:41]
	s_cbranch_execz .LBB4_14747
; %bb.14734:                            ;   in Loop: Header=BB4_14063 Depth=3
	v_and_b32_e32 v37, 0x7fffffff, v3
	v_mov_b32_e32 v38, v17
	v_cmp_gt_u64_e32 vcc, s[78:79], v[37:38]
	v_and_b32_sdwa v4, v3, s96 dst_sel:DWORD dst_unused:UNUSED_PAD src0_sel:BYTE_3 src1_sel:DWORD
                                        ; implicit-def: $vgpr37
	s_and_saveexec_b64 s[40:41], vcc
	s_xor_b64 s[38:39], exec, s[40:41]
	s_cbranch_execz .LBB4_14744
; %bb.14735:                            ;   in Loop: Header=BB4_14063 Depth=3
	v_mov_b32_e32 v37, 0
	v_cmp_ne_u32_e32 vcc, 0, v3
	s_and_saveexec_b64 s[48:49], vcc
	s_cbranch_execz .LBB4_14743
; %bb.14736:                            ;   in Loop: Header=BB4_14063 Depth=3
	v_bfe_u32 v37, v3, 23, 8
	v_cmp_gt_u32_e64 s[40:41], s46, v37
	v_sub_u32_e32 v3, 0x71, v37
	v_cmp_eq_u32_e32 vcc, 0, v37
	v_cndmask_b32_e64 v3, 0, v3, s[40:41]
	v_mov_b32_e32 v29, 0x70
	v_cndmask_b32_e32 v38, v3, v29, vcc
	v_add_u32_e32 v3, 21, v38
	v_or_b32_e32 v28, 0x800000, v1
	v_lshlrev_b64 v[50:51], v3, -1
	v_cndmask_b32_e32 v1, v28, v1, vcc
	v_add_u32_e32 v3, 20, v38
	v_bfi_b32 v50, v50, 0, v1
	v_lshlrev_b64 v[53:54], v3, 1
	v_lshrrev_b64 v[1:2], v38, v[1:2]
	v_bfi_b32 v51, v51, 0, 0
	v_cmp_eq_u64_e64 s[40:41], v[50:51], v[53:54]
	v_mov_b32_e32 v3, v2
	v_mov_b32_e32 v2, v1
	s_and_saveexec_b64 s[50:51], s[40:41]
; %bb.14737:                            ;   in Loop: Header=BB4_14063 Depth=3
	v_bfe_u32 v2, v1, 21, 1
	v_add_co_u32_e64 v2, s[40:41], v1, v2
	v_add_co_u32_e64 v2, s[40:41], -1, v2
; %bb.14738:                            ;   in Loop: Header=BB4_14063 Depth=3
	s_or_b64 exec, exec, s[50:51]
	v_add_u32_e32 v3, 0xffffff81, v37
	v_mov_b32_e32 v28, 0xffffff82
	v_cndmask_b32_e32 v3, v3, v28, vcc
	v_lshrrev_b32_e32 v28, 23, v1
	v_add3_u32 v38, v38, v3, v28
	v_add_u32_e32 v37, 14, v38
	v_and_b32_e32 v2, 0x1fffff, v2
	v_add_u32_e32 v1, v2, v1
	v_mov_b32_e32 v2, v17
	v_cmp_ne_u32_e32 vcc, 0, v37
                                        ; implicit-def: $vgpr3
	s_and_saveexec_b64 s[40:41], vcc
	s_xor_b64 s[40:41], exec, s[40:41]
; %bb.14739:                            ;   in Loop: Header=BB4_14063 Depth=3
	v_cmp_lt_u64_e32 vcc, s[88:89], v[1:2]
	v_add_u32_e32 v3, 15, v38
	v_cndmask_b32_e64 v28, 0, 1, vcc
	v_cndmask_b32_e32 v3, v37, v3, vcc
	v_lshrrev_b64 v[1:2], v28, v[1:2]
; %bb.14740:                            ;   in Loop: Header=BB4_14063 Depth=3
	s_andn2_saveexec_b64 s[40:41], s[40:41]
; %bb.14741:                            ;   in Loop: Header=BB4_14063 Depth=3
	v_bfe_u32 v3, v1, 23, 1
; %bb.14742:                            ;   in Loop: Header=BB4_14063 Depth=3
	s_or_b64 exec, exec, s[40:41]
	v_lshrrev_b64 v[1:2], 21, v[1:2]
	v_cmp_gt_i32_e32 vcc, 32, v3
	v_cndmask_b32_e32 v2, 0, v2, vcc
	v_cndmask_b32_e32 v1, 3, v1, vcc
	v_cmp_eq_u64_e64 s[40:41], 0, v[1:2]
	v_min_i32_e32 v2, 31, v3
	v_lshlrev_b32_e32 v2, 2, v2
	v_cmp_eq_u32_e32 vcc, 0, v3
	v_and_b32_e32 v2, 0xfc, v2
	v_and_or_b32 v1, v1, 3, v2
	s_and_b64 s[40:41], vcc, s[40:41]
	v_cndmask_b32_e64 v1, v1, 0, s[40:41]
	v_or_b32_e32 v37, v1, v4
.LBB4_14743:                            ;   in Loop: Header=BB4_14063 Depth=3
	s_or_b64 exec, exec, s[48:49]
                                        ; implicit-def: $vgpr4
.LBB4_14744:                            ;   in Loop: Header=BB4_14063 Depth=3
	s_andn2_saveexec_b64 s[40:41], s[38:39]
; %bb.14745:                            ;   in Loop: Header=BB4_14063 Depth=3
	v_or_b32_e32 v37, 0x7b, v4
; %bb.14746:                            ;   in Loop: Header=BB4_14063 Depth=3
	s_or_b64 exec, exec, s[40:41]
                                        ; implicit-def: $vgpr3
                                        ; implicit-def: $vgpr1_vgpr2
.LBB4_14747:                            ;   in Loop: Header=BB4_14063 Depth=3
	s_andn2_saveexec_b64 s[40:41], s[42:43]
	s_cbranch_execz .LBB4_14753
; %bb.14748:                            ;   in Loop: Header=BB4_14063 Depth=3
	v_cmp_ne_u64_e32 vcc, 0, v[1:2]
                                        ; implicit-def: $vgpr37
	s_and_saveexec_b64 s[42:43], vcc
	s_xor_b64 s[42:43], exec, s[42:43]
; %bb.14749:                            ;   in Loop: Header=BB4_14063 Depth=3
	v_or_b32_sdwa v37, v3, s47 dst_sel:DWORD dst_unused:UNUSED_PAD src0_sel:BYTE_3 src1_sel:DWORD
                                        ; implicit-def: $vgpr3
; %bb.14750:                            ;   in Loop: Header=BB4_14063 Depth=3
	s_andn2_saveexec_b64 s[42:43], s[42:43]
; %bb.14751:                            ;   in Loop: Header=BB4_14063 Depth=3
	v_cmp_lt_i32_e32 vcc, -1, v3
	v_bfrev_b32_e32 v1, 0.5
	v_cndmask_b32_e32 v37, v1, v52, vcc
; %bb.14752:                            ;   in Loop: Header=BB4_14063 Depth=3
	s_or_b64 exec, exec, s[42:43]
.LBB4_14753:                            ;   in Loop: Header=BB4_14063 Depth=3
	s_or_b64 exec, exec, s[40:41]
	v_cmp_lt_u32_e32 vcc, s57, v0
	v_mov_b32_e32 v2, 0
	s_and_saveexec_b64 s[40:41], vcc
	s_cbranch_execz .LBB4_14761
; %bb.14754:                            ;   in Loop: Header=BB4_14063 Depth=3
	v_lshrrev_b32_e32 v1, 24, v0
	v_cmp_ne_u32_e32 vcc, s96, v1
	v_bfrev_b32_e32 v2, 1
	s_and_saveexec_b64 s[42:43], vcc
	s_cbranch_execz .LBB4_14760
; %bb.14755:                            ;   in Loop: Header=BB4_14063 Depth=3
	v_and_b32_e32 v2, 0x7c000000, v0
	v_bfe_u32 v3, v0, 24, 2
	v_cmp_ne_u32_e32 vcc, s45, v2
                                        ; implicit-def: $vgpr2
	s_and_saveexec_b64 s[38:39], vcc
	s_xor_b64 s[38:39], exec, s[38:39]
	s_cbranch_execz .LBB4_14757
; %bb.14756:                            ;   in Loop: Header=BB4_14063 Depth=3
	v_ffbh_u32_e32 v2, v3
	v_min_u32_e32 v28, 32, v2
	v_subrev_u32_e32 v2, 29, v28
	v_bfe_u32 v4, v0, 26, 5
	v_lshlrev_b64 v[1:2], v2, v[1:2]
	v_sub_u32_e32 v2, 30, v28
	v_cmp_eq_u32_e32 vcc, 0, v4
	v_and_b32_e32 v1, 3, v1
	v_cndmask_b32_e32 v2, v4, v2, vcc
	v_and_b32_e32 v0, 0x80000000, v0
	v_cndmask_b32_e32 v1, v3, v1, vcc
	v_lshl_add_u32 v0, v2, 23, v0
	v_lshl_or_b32 v0, v1, 21, v0
	v_add_u32_e32 v2, 0x38000000, v0
                                        ; implicit-def: $vgpr3
                                        ; implicit-def: $vgpr0_vgpr1
.LBB4_14757:                            ;   in Loop: Header=BB4_14063 Depth=3
	s_andn2_saveexec_b64 s[38:39], s[38:39]
; %bb.14758:                            ;   in Loop: Header=BB4_14063 Depth=3
	v_cmp_lt_i32_e32 vcc, -1, v0
	v_mov_b32_e32 v0, 0xff800000
	v_mov_b32_e32 v1, 0x7f800000
	v_cndmask_b32_e32 v0, v0, v1, vcc
	v_cmp_eq_u32_e32 vcc, 0, v3
	v_mov_b32_e32 v1, 0x7f800001
	v_cndmask_b32_e32 v2, v1, v0, vcc
; %bb.14759:                            ;   in Loop: Header=BB4_14063 Depth=3
	s_or_b64 exec, exec, s[38:39]
.LBB4_14760:                            ;   in Loop: Header=BB4_14063 Depth=3
	s_or_b64 exec, exec, s[42:43]
.LBB4_14761:                            ;   in Loop: Header=BB4_14063 Depth=3
	s_or_b64 exec, exec, s[40:41]
	v_bfe_u32 v1, v9, 24, 2
	v_and_b32_e32 v3, 0x7c000000, v9
	v_cmp_eq_u32_e32 vcc, s45, v3
	v_ffbh_u32_e32 v3, v1
	v_min_u32_e32 v29, 32, v3
	v_lshrrev_b32_e32 v0, 24, v9
	v_subrev_u32_e32 v3, 29, v29
	v_bfe_u32 v28, v9, 26, 5
	v_lshlrev_b64 v[3:4], v3, v[0:1]
	v_cmp_eq_u32_e64 s[40:41], 0, v28
	v_sub_u32_e32 v4, 30, v29
	v_and_b32_e32 v3, 3, v3
	v_cndmask_b32_e64 v4, v28, v4, s[40:41]
	v_and_b32_e32 v28, 0x80000000, v9
	v_cndmask_b32_e64 v3, v1, v3, s[40:41]
	v_lshl_add_u32 v4, v4, 23, v28
	v_cmp_lt_i64_e64 s[42:43], -1, v[8:9]
	v_lshl_or_b32 v3, v3, 21, v4
	v_cmp_eq_u32_e64 s[40:41], 0, v1
	v_mov_b32_e32 v1, 0xff800000
	v_mov_b32_e32 v4, 0x7f800000
	v_cndmask_b32_e64 v1, v1, v4, s[42:43]
	v_mov_b32_e32 v4, 0x7f800001
	v_add_u32_e32 v3, 0x38000000, v3
	v_cndmask_b32_e64 v1, v4, v1, s[40:41]
	v_cndmask_b32_e32 v1, v3, v1, vcc
	v_cmp_ne_u32_e32 vcc, s96, v0
	v_bfrev_b32_e32 v0, 1
	v_cndmask_b32_e32 v0, v0, v1, vcc
	v_cmp_lt_u64_e32 vcc, s[56:57], v[8:9]
	v_mov_b32_e32 v4, v17
	v_cndmask_b32_e32 v0, 0, v0, vcc
	v_add_f32_e32 v2, v0, v2
	v_and_b32_e32 v3, 0x7f800000, v2
	v_cmp_ne_u64_e32 vcc, s[76:77], v[3:4]
	v_and_b32_e32 v0, 0x7fffff, v2
	v_mov_b32_e32 v1, v17
                                        ; implicit-def: $vgpr8
	s_and_saveexec_b64 s[40:41], vcc
	s_xor_b64 s[42:43], exec, s[40:41]
	s_cbranch_execz .LBB4_14775
; %bb.14762:                            ;   in Loop: Header=BB4_14063 Depth=3
	v_and_b32_e32 v3, 0x7fffffff, v2
	v_mov_b32_e32 v4, v17
	v_cmp_gt_u64_e32 vcc, s[78:79], v[3:4]
	v_and_b32_sdwa v3, v2, s96 dst_sel:DWORD dst_unused:UNUSED_PAD src0_sel:BYTE_3 src1_sel:DWORD
                                        ; implicit-def: $vgpr8
	s_and_saveexec_b64 s[40:41], vcc
	s_xor_b64 s[38:39], exec, s[40:41]
	s_cbranch_execz .LBB4_14772
; %bb.14763:                            ;   in Loop: Header=BB4_14063 Depth=3
	v_mov_b32_e32 v8, 0
	v_cmp_ne_u32_e32 vcc, 0, v2
	s_and_saveexec_b64 s[48:49], vcc
	s_cbranch_execz .LBB4_14771
; %bb.14764:                            ;   in Loop: Header=BB4_14063 Depth=3
	v_bfe_u32 v4, v2, 23, 8
	v_cmp_gt_u32_e64 s[40:41], s46, v4
	v_sub_u32_e32 v2, 0x71, v4
	v_cmp_eq_u32_e32 vcc, 0, v4
	v_cndmask_b32_e64 v2, 0, v2, s[40:41]
	v_mov_b32_e32 v8, 0x70
	v_cndmask_b32_e32 v8, v2, v8, vcc
	v_add_u32_e32 v2, 21, v8
	v_or_b32_e32 v9, 0x800000, v0
	v_lshlrev_b64 v[38:39], v2, -1
	v_cndmask_b32_e32 v0, v9, v0, vcc
	v_add_u32_e32 v2, 20, v8
	v_bfi_b32 v38, v38, 0, v0
	v_lshlrev_b64 v[50:51], v2, 1
	v_lshrrev_b64 v[0:1], v8, v[0:1]
	v_bfi_b32 v39, v39, 0, 0
	v_cmp_eq_u64_e64 s[40:41], v[38:39], v[50:51]
	v_mov_b32_e32 v2, v1
	v_mov_b32_e32 v1, v0
	s_and_saveexec_b64 s[50:51], s[40:41]
; %bb.14765:                            ;   in Loop: Header=BB4_14063 Depth=3
	v_bfe_u32 v1, v0, 21, 1
	v_add_co_u32_e64 v1, s[40:41], v0, v1
	v_add_co_u32_e64 v1, s[40:41], -1, v1
; %bb.14766:                            ;   in Loop: Header=BB4_14063 Depth=3
	s_or_b64 exec, exec, s[50:51]
	v_add_u32_e32 v2, 0xffffff81, v4
	v_mov_b32_e32 v4, 0xffffff82
	v_cndmask_b32_e32 v2, v2, v4, vcc
	v_lshrrev_b32_e32 v4, 23, v0
	v_add3_u32 v8, v8, v2, v4
	v_add_u32_e32 v4, 14, v8
	v_and_b32_e32 v1, 0x1fffff, v1
	v_add_u32_e32 v0, v1, v0
	v_mov_b32_e32 v1, v17
	v_cmp_ne_u32_e32 vcc, 0, v4
                                        ; implicit-def: $vgpr2
	s_and_saveexec_b64 s[40:41], vcc
	s_xor_b64 s[40:41], exec, s[40:41]
; %bb.14767:                            ;   in Loop: Header=BB4_14063 Depth=3
	v_cmp_lt_u64_e32 vcc, s[88:89], v[0:1]
	v_add_u32_e32 v2, 15, v8
	v_cndmask_b32_e32 v2, v4, v2, vcc
	v_cndmask_b32_e64 v4, 0, 1, vcc
	v_lshrrev_b64 v[0:1], v4, v[0:1]
; %bb.14768:                            ;   in Loop: Header=BB4_14063 Depth=3
	s_andn2_saveexec_b64 s[40:41], s[40:41]
; %bb.14769:                            ;   in Loop: Header=BB4_14063 Depth=3
	v_bfe_u32 v2, v0, 23, 1
; %bb.14770:                            ;   in Loop: Header=BB4_14063 Depth=3
	s_or_b64 exec, exec, s[40:41]
	v_lshrrev_b64 v[0:1], 21, v[0:1]
	v_cmp_gt_i32_e32 vcc, 32, v2
	v_cndmask_b32_e32 v1, 0, v1, vcc
	v_cndmask_b32_e32 v0, 3, v0, vcc
	v_cmp_eq_u64_e64 s[40:41], 0, v[0:1]
	v_min_i32_e32 v1, 31, v2
	v_lshlrev_b32_e32 v1, 2, v1
	v_cmp_eq_u32_e32 vcc, 0, v2
	v_and_b32_e32 v1, 0xfc, v1
	v_and_or_b32 v0, v0, 3, v1
	s_and_b64 s[40:41], vcc, s[40:41]
	v_cndmask_b32_e64 v0, v0, 0, s[40:41]
	v_or_b32_e32 v8, v0, v3
.LBB4_14771:                            ;   in Loop: Header=BB4_14063 Depth=3
	s_or_b64 exec, exec, s[48:49]
                                        ; implicit-def: $vgpr3
.LBB4_14772:                            ;   in Loop: Header=BB4_14063 Depth=3
	s_andn2_saveexec_b64 s[40:41], s[38:39]
; %bb.14773:                            ;   in Loop: Header=BB4_14063 Depth=3
	v_or_b32_e32 v8, 0x7b, v3
; %bb.14774:                            ;   in Loop: Header=BB4_14063 Depth=3
	s_or_b64 exec, exec, s[40:41]
                                        ; implicit-def: $vgpr2
                                        ; implicit-def: $vgpr0_vgpr1
.LBB4_14775:                            ;   in Loop: Header=BB4_14063 Depth=3
	s_andn2_saveexec_b64 s[40:41], s[42:43]
	s_cbranch_execz .LBB4_14781
; %bb.14776:                            ;   in Loop: Header=BB4_14063 Depth=3
	v_cmp_ne_u64_e32 vcc, 0, v[0:1]
                                        ; implicit-def: $vgpr8
	s_and_saveexec_b64 s[42:43], vcc
	s_xor_b64 s[42:43], exec, s[42:43]
; %bb.14777:                            ;   in Loop: Header=BB4_14063 Depth=3
	v_or_b32_sdwa v8, v2, s47 dst_sel:DWORD dst_unused:UNUSED_PAD src0_sel:BYTE_3 src1_sel:DWORD
                                        ; implicit-def: $vgpr2
; %bb.14778:                            ;   in Loop: Header=BB4_14063 Depth=3
	s_andn2_saveexec_b64 s[42:43], s[42:43]
; %bb.14779:                            ;   in Loop: Header=BB4_14063 Depth=3
	v_cmp_lt_i32_e32 vcc, -1, v2
	v_bfrev_b32_e32 v0, 0.5
	v_cndmask_b32_e32 v8, v0, v52, vcc
; %bb.14780:                            ;   in Loop: Header=BB4_14063 Depth=3
	s_or_b64 exec, exec, s[42:43]
.LBB4_14781:                            ;   in Loop: Header=BB4_14063 Depth=3
	s_or_b64 exec, exec, s[40:41]
	v_lshl_or_b32 v4, v30, 8, v24
	v_lshlrev_b32_e32 v0, 16, v33
	v_lshlrev_b32_e32 v1, 24, v35
	v_or3_b32 v0, v0, v1, v4
	v_mov_b32_e32 v1, v17
	v_cmp_ne_u32_e32 vcc, 0, v24
	v_mov_b32_e32 v2, 0
	s_and_saveexec_b64 s[42:43], vcc
	s_cbranch_execz .LBB4_14789
; %bb.14782:                            ;   in Loop: Header=BB4_14063 Depth=3
	v_cmp_ne_u32_e32 vcc, s96, v24
	v_bfrev_b32_e32 v2, 1
	s_and_saveexec_b64 s[38:39], vcc
	s_cbranch_execz .LBB4_14788
; %bb.14783:                            ;   in Loop: Header=BB4_14063 Depth=3
	v_and_b32_e32 v2, 0x7c, v24
	v_and_b32_e32 v3, 3, v24
	v_cmp_ne_u32_e32 vcc, s85, v2
                                        ; implicit-def: $vgpr2
	s_and_saveexec_b64 s[40:41], vcc
	s_xor_b64 s[40:41], exec, s[40:41]
	s_cbranch_execz .LBB4_14785
; %bb.14784:                            ;   in Loop: Header=BB4_14063 Depth=3
	v_ffbh_u32_e32 v2, v3
	v_min_u32_e32 v28, 32, v2
	v_subrev_u32_e32 v2, 29, v28
	v_lshlrev_b64 v[1:2], v2, v[0:1]
	v_bfe_u32 v9, v24, 2, 5
	v_and_b32_e32 v1, 3, v1
	v_cmp_eq_u32_e32 vcc, 0, v9
	v_sub_u32_e32 v2, 30, v28
	v_cndmask_b32_e32 v1, v3, v1, vcc
	v_lshlrev_b32_e32 v3, 24, v24
	v_cndmask_b32_e32 v2, v9, v2, vcc
	v_and_b32_e32 v3, 0x80000000, v3
	v_lshl_add_u32 v2, v2, 23, v3
	v_lshl_or_b32 v1, v1, 21, v2
	v_add_u32_e32 v2, 0x38000000, v1
                                        ; implicit-def: $vgpr3
                                        ; implicit-def: $vgpr24
.LBB4_14785:                            ;   in Loop: Header=BB4_14063 Depth=3
	s_andn2_saveexec_b64 s[48:49], s[40:41]
; %bb.14786:                            ;   in Loop: Header=BB4_14063 Depth=3
	v_and_b32_e32 v1, 0x80, v24
	v_cmp_eq_u32_e64 s[40:41], 0, v1
	v_mov_b32_e32 v1, 0xff800000
	v_mov_b32_e32 v2, 0x7f800000
	v_cmp_eq_u32_e32 vcc, 0, v3
	v_cndmask_b32_e64 v1, v1, v2, s[40:41]
	v_mov_b32_e32 v2, 0x7f800001
	v_cndmask_b32_e32 v2, v2, v1, vcc
; %bb.14787:                            ;   in Loop: Header=BB4_14063 Depth=3
	s_or_b64 exec, exec, s[48:49]
.LBB4_14788:                            ;   in Loop: Header=BB4_14063 Depth=3
	s_or_b64 exec, exec, s[38:39]
.LBB4_14789:                            ;   in Loop: Header=BB4_14063 Depth=3
	s_or_b64 exec, exec, s[42:43]
	v_cmp_gt_i16_sdwa s[42:43], v10, s47 src0_sel:BYTE_0 src1_sel:DWORD
	s_mov_b64 s[40:41], 0
	s_and_saveexec_b64 vcc, s[42:43]
	s_xor_b64 s[42:43], exec, vcc
	s_cbranch_execz .LBB4_15052
; %bb.14790:                            ;   in Loop: Header=BB4_14063 Depth=3
	v_cmp_eq_u16_sdwa s[38:39], v10, s96 src0_sel:BYTE_0 src1_sel:DWORD
	s_mov_b64 s[40:41], -1
	s_and_saveexec_b64 vcc, s[38:39]
; %bb.14791:                            ;   in Loop: Header=BB4_14063 Depth=3
	s_xor_b64 s[40:41], exec, -1
; %bb.14792:                            ;   in Loop: Header=BB4_14063 Depth=3
	s_or_b64 exec, exec, vcc
	s_and_b64 s[40:41], s[40:41], exec
	s_or_saveexec_b64 s[42:43], s[42:43]
	v_bfrev_b32_e32 v1, 1
	s_xor_b64 exec, exec, s[42:43]
	s_cbranch_execnz .LBB4_15053
.LBB4_14793:                            ;   in Loop: Header=BB4_14063 Depth=3
	s_or_b64 exec, exec, s[42:43]
	s_and_saveexec_b64 s[38:39], s[40:41]
	s_cbranch_execz .LBB4_14795
.LBB4_14794:                            ;   in Loop: Header=BB4_14063 Depth=3
	v_and_b32_e32 v1, 3, v10
	v_and_b32_e32 v9, 0x7c, v10
	v_cmp_eq_u32_e32 vcc, s85, v9
	v_ffbh_u32_e32 v9, v1
	v_min_u32_e32 v9, 32, v9
	v_subrev_u32_e32 v24, 29, v9
	v_lshlrev_b64 v[38:39], v24, v[10:11]
	v_bfe_u32 v3, v10, 2, 5
	v_cmp_eq_u32_e64 s[40:41], 0, v3
	v_sub_u32_e32 v9, 30, v9
	v_and_b32_e32 v24, 3, v38
	v_cndmask_b32_e64 v3, v3, v9, s[40:41]
	v_cndmask_b32_e64 v9, v1, v24, s[40:41]
	v_lshlrev_b32_e32 v24, 24, v10
	v_and_b32_e32 v24, 0x80000000, v24
	v_lshl_add_u32 v3, v3, 23, v24
	v_cmp_eq_u32_e64 s[40:41], 0, v1
	v_mov_b32_e32 v1, -1
	v_lshl_or_b32 v3, v9, 21, v3
	v_cmp_gt_i16_sdwa s[42:43], sext(v10), v1 src0_sel:BYTE_0 src1_sel:DWORD
	v_mov_b32_e32 v1, 0xff800000
	v_mov_b32_e32 v9, 0x7f800000
	v_cndmask_b32_e64 v1, v1, v9, s[42:43]
	v_mov_b32_e32 v9, 0x7f800001
	v_add_u32_e32 v3, 0x38000000, v3
	v_cndmask_b32_e64 v1, v9, v1, s[40:41]
	v_cndmask_b32_e32 v1, v3, v1, vcc
.LBB4_14795:                            ;   in Loop: Header=BB4_14063 Depth=3
	s_or_b64 exec, exec, s[38:39]
	v_add_f32_e32 v3, v2, v1
	v_and_b32_e32 v38, 0x7f800000, v3
	v_mov_b32_e32 v39, v17
	v_cmp_ne_u64_e32 vcc, s[76:77], v[38:39]
	v_and_b32_e32 v1, 0x7fffff, v3
	v_mov_b32_e32 v2, v17
                                        ; implicit-def: $vgpr9
	s_and_saveexec_b64 s[40:41], vcc
	s_xor_b64 s[42:43], exec, s[40:41]
	s_cbranch_execz .LBB4_14809
; %bb.14796:                            ;   in Loop: Header=BB4_14063 Depth=3
	v_and_b32_e32 v38, 0x7fffffff, v3
	v_mov_b32_e32 v39, v17
	v_cmp_gt_u64_e32 vcc, s[78:79], v[38:39]
	v_and_b32_sdwa v24, v3, s96 dst_sel:DWORD dst_unused:UNUSED_PAD src0_sel:BYTE_3 src1_sel:DWORD
                                        ; implicit-def: $vgpr9
	s_and_saveexec_b64 s[40:41], vcc
	s_xor_b64 s[38:39], exec, s[40:41]
	s_cbranch_execz .LBB4_14806
; %bb.14797:                            ;   in Loop: Header=BB4_14063 Depth=3
	v_mov_b32_e32 v9, 0
	v_cmp_ne_u32_e32 vcc, 0, v3
	s_and_saveexec_b64 s[48:49], vcc
	s_cbranch_execz .LBB4_14805
; %bb.14798:                            ;   in Loop: Header=BB4_14063 Depth=3
	v_bfe_u32 v9, v3, 23, 8
	v_cmp_gt_u32_e64 s[40:41], s46, v9
	v_sub_u32_e32 v3, 0x71, v9
	v_cmp_eq_u32_e32 vcc, 0, v9
	v_cndmask_b32_e64 v3, 0, v3, s[40:41]
	v_mov_b32_e32 v29, 0x70
	v_cndmask_b32_e32 v30, v3, v29, vcc
	v_add_u32_e32 v3, 21, v30
	v_or_b32_e32 v28, 0x800000, v1
	v_lshlrev_b64 v[38:39], v3, -1
	v_cndmask_b32_e32 v1, v28, v1, vcc
	v_add_u32_e32 v3, 20, v30
	v_bfi_b32 v38, v38, 0, v1
	v_lshlrev_b64 v[50:51], v3, 1
	v_lshrrev_b64 v[1:2], v30, v[1:2]
	v_bfi_b32 v39, v39, 0, 0
	v_cmp_eq_u64_e64 s[40:41], v[38:39], v[50:51]
	v_mov_b32_e32 v3, v2
	v_mov_b32_e32 v2, v1
	s_and_saveexec_b64 s[50:51], s[40:41]
; %bb.14799:                            ;   in Loop: Header=BB4_14063 Depth=3
	v_bfe_u32 v2, v1, 21, 1
	v_add_co_u32_e64 v2, s[40:41], v1, v2
	v_add_co_u32_e64 v2, s[40:41], -1, v2
; %bb.14800:                            ;   in Loop: Header=BB4_14063 Depth=3
	s_or_b64 exec, exec, s[50:51]
	v_add_u32_e32 v3, 0xffffff81, v9
	v_mov_b32_e32 v9, 0xffffff82
	v_cndmask_b32_e32 v3, v3, v9, vcc
	v_lshrrev_b32_e32 v9, 23, v1
	v_add3_u32 v30, v30, v3, v9
	v_add_u32_e32 v9, 14, v30
	v_and_b32_e32 v2, 0x1fffff, v2
	v_add_u32_e32 v1, v2, v1
	v_mov_b32_e32 v2, v17
	v_cmp_ne_u32_e32 vcc, 0, v9
                                        ; implicit-def: $vgpr3
	s_and_saveexec_b64 s[40:41], vcc
	s_xor_b64 s[40:41], exec, s[40:41]
; %bb.14801:                            ;   in Loop: Header=BB4_14063 Depth=3
	v_cmp_lt_u64_e32 vcc, s[88:89], v[1:2]
	v_add_u32_e32 v3, 15, v30
	v_cndmask_b32_e32 v3, v9, v3, vcc
	v_cndmask_b32_e64 v9, 0, 1, vcc
	v_lshrrev_b64 v[1:2], v9, v[1:2]
; %bb.14802:                            ;   in Loop: Header=BB4_14063 Depth=3
	s_andn2_saveexec_b64 s[40:41], s[40:41]
; %bb.14803:                            ;   in Loop: Header=BB4_14063 Depth=3
	v_bfe_u32 v3, v1, 23, 1
; %bb.14804:                            ;   in Loop: Header=BB4_14063 Depth=3
	s_or_b64 exec, exec, s[40:41]
	v_lshrrev_b64 v[1:2], 21, v[1:2]
	v_cmp_gt_i32_e32 vcc, 32, v3
	v_cndmask_b32_e32 v2, 0, v2, vcc
	v_cndmask_b32_e32 v1, 3, v1, vcc
	v_cmp_eq_u64_e64 s[40:41], 0, v[1:2]
	v_min_i32_e32 v2, 31, v3
	v_lshlrev_b32_e32 v2, 2, v2
	v_cmp_eq_u32_e32 vcc, 0, v3
	v_and_b32_e32 v2, 0xfc, v2
	v_and_or_b32 v1, v1, 3, v2
	s_and_b64 s[40:41], vcc, s[40:41]
	v_cndmask_b32_e64 v1, v1, 0, s[40:41]
	v_or_b32_e32 v9, v1, v24
.LBB4_14805:                            ;   in Loop: Header=BB4_14063 Depth=3
	s_or_b64 exec, exec, s[48:49]
                                        ; implicit-def: $vgpr24
.LBB4_14806:                            ;   in Loop: Header=BB4_14063 Depth=3
	s_andn2_saveexec_b64 s[40:41], s[38:39]
; %bb.14807:                            ;   in Loop: Header=BB4_14063 Depth=3
	v_or_b32_e32 v9, 0x7b, v24
; %bb.14808:                            ;   in Loop: Header=BB4_14063 Depth=3
	s_or_b64 exec, exec, s[40:41]
                                        ; implicit-def: $vgpr3
                                        ; implicit-def: $vgpr1_vgpr2
.LBB4_14809:                            ;   in Loop: Header=BB4_14063 Depth=3
	s_andn2_saveexec_b64 s[40:41], s[42:43]
	s_cbranch_execz .LBB4_14815
; %bb.14810:                            ;   in Loop: Header=BB4_14063 Depth=3
	v_cmp_ne_u64_e32 vcc, 0, v[1:2]
                                        ; implicit-def: $vgpr9
	s_and_saveexec_b64 s[42:43], vcc
	s_xor_b64 s[42:43], exec, s[42:43]
; %bb.14811:                            ;   in Loop: Header=BB4_14063 Depth=3
	v_or_b32_sdwa v9, v3, s47 dst_sel:DWORD dst_unused:UNUSED_PAD src0_sel:BYTE_3 src1_sel:DWORD
                                        ; implicit-def: $vgpr3
; %bb.14812:                            ;   in Loop: Header=BB4_14063 Depth=3
	s_andn2_saveexec_b64 s[42:43], s[42:43]
; %bb.14813:                            ;   in Loop: Header=BB4_14063 Depth=3
	v_cmp_lt_i32_e32 vcc, -1, v3
	v_bfrev_b32_e32 v1, 0.5
	v_cndmask_b32_e32 v9, v1, v52, vcc
; %bb.14814:                            ;   in Loop: Header=BB4_14063 Depth=3
	s_or_b64 exec, exec, s[42:43]
.LBB4_14815:                            ;   in Loop: Header=BB4_14063 Depth=3
	s_or_b64 exec, exec, s[40:41]
	v_lshrrev_b16_e32 v1, 8, v4
	v_cmp_ne_u16_e32 vcc, 0, v1
	v_mov_b32_e32 v3, 0
	s_and_saveexec_b64 s[40:41], vcc
	s_cbranch_execz .LBB4_14823
; %bb.14816:                            ;   in Loop: Header=BB4_14063 Depth=3
	v_cmp_ne_u16_e32 vcc, s96, v1
	v_bfrev_b32_e32 v3, 1
	s_and_saveexec_b64 s[42:43], vcc
	s_cbranch_execz .LBB4_14822
; %bb.14817:                            ;   in Loop: Header=BB4_14063 Depth=3
	v_and_b32_e32 v2, 0x7c, v1
	v_and_b32_e32 v24, 3, v1
	v_cmp_ne_u32_e32 vcc, s85, v2
                                        ; implicit-def: $vgpr3
	s_and_saveexec_b64 s[38:39], vcc
	s_xor_b64 s[38:39], exec, s[38:39]
	s_cbranch_execz .LBB4_14819
; %bb.14818:                            ;   in Loop: Header=BB4_14063 Depth=3
	v_ffbh_u32_e32 v28, v24
	v_min_u32_e32 v28, 32, v28
	v_mov_b32_e32 v2, v17
	v_subrev_u32_e32 v29, 29, v28
	v_bfe_u32 v3, v1, 2, 5
	v_lshlrev_b64 v[1:2], v29, v[1:2]
	v_sub_u32_e32 v2, 30, v28
	v_cmp_eq_u32_e32 vcc, 0, v3
	v_cndmask_b32_e32 v2, v3, v2, vcc
	v_lshlrev_b32_e32 v3, 16, v4
	v_and_b32_e32 v1, 3, v1
	v_and_b32_e32 v3, 0x80000000, v3
	v_cndmask_b32_e32 v1, v24, v1, vcc
	v_lshl_add_u32 v2, v2, 23, v3
	v_lshl_or_b32 v1, v1, 21, v2
	v_add_u32_e32 v3, 0x38000000, v1
                                        ; implicit-def: $vgpr24
                                        ; implicit-def: $vgpr4
.LBB4_14819:                            ;   in Loop: Header=BB4_14063 Depth=3
	s_andn2_saveexec_b64 s[38:39], s[38:39]
; %bb.14820:                            ;   in Loop: Header=BB4_14063 Depth=3
	v_cmp_lt_i16_e32 vcc, -1, v4
	v_mov_b32_e32 v1, 0xff800000
	v_mov_b32_e32 v2, 0x7f800000
	v_cndmask_b32_e32 v1, v1, v2, vcc
	v_cmp_eq_u32_e32 vcc, 0, v24
	v_mov_b32_e32 v2, 0x7f800001
	v_cndmask_b32_e32 v3, v2, v1, vcc
; %bb.14821:                            ;   in Loop: Header=BB4_14063 Depth=3
	s_or_b64 exec, exec, s[38:39]
.LBB4_14822:                            ;   in Loop: Header=BB4_14063 Depth=3
	s_or_b64 exec, exec, s[42:43]
.LBB4_14823:                            ;   in Loop: Header=BB4_14063 Depth=3
	s_or_b64 exec, exec, s[40:41]
	v_lshrrev_b16_e32 v1, 8, v10
	v_cmp_lt_i16_e32 vcc, s47, v1
	s_mov_b64 s[40:41], 0
	s_and_saveexec_b64 s[42:43], vcc
	s_xor_b64 s[42:43], exec, s[42:43]
	s_cbranch_execz .LBB4_15054
; %bb.14824:                            ;   in Loop: Header=BB4_14063 Depth=3
	v_cmp_eq_u16_e32 vcc, s96, v1
	s_mov_b64 s[40:41], -1
	s_and_saveexec_b64 s[38:39], vcc
; %bb.14825:                            ;   in Loop: Header=BB4_14063 Depth=3
	s_xor_b64 s[40:41], exec, -1
; %bb.14826:                            ;   in Loop: Header=BB4_14063 Depth=3
	s_or_b64 exec, exec, s[38:39]
	s_and_b64 s[40:41], s[40:41], exec
	s_or_saveexec_b64 s[42:43], s[42:43]
	v_bfrev_b32_e32 v2, 1
	s_xor_b64 exec, exec, s[42:43]
	s_cbranch_execnz .LBB4_15055
.LBB4_14827:                            ;   in Loop: Header=BB4_14063 Depth=3
	s_or_b64 exec, exec, s[42:43]
	s_and_saveexec_b64 s[38:39], s[40:41]
	s_cbranch_execz .LBB4_14829
.LBB4_14828:                            ;   in Loop: Header=BB4_14063 Depth=3
	v_and_b32_e32 v4, 3, v1
	v_and_b32_e32 v28, 0x7c, v1
	v_cmp_eq_u32_e32 vcc, s85, v28
	v_ffbh_u32_e32 v28, v4
	v_min_u32_e32 v28, 32, v28
	v_mov_b32_e32 v2, v17
	v_subrev_u32_e32 v29, 29, v28
	v_bfe_u32 v24, v1, 2, 5
	v_lshlrev_b64 v[38:39], v29, v[1:2]
	v_cmp_eq_u32_e64 s[40:41], 0, v24
	v_sub_u32_e32 v2, 30, v28
	v_lshlrev_b32_e32 v1, 24, v1
	v_and_b32_e32 v28, 3, v38
	v_cndmask_b32_e64 v2, v24, v2, s[40:41]
	v_and_b32_e32 v1, 0x80000000, v1
	v_cndmask_b32_e64 v24, v4, v28, s[40:41]
	v_lshl_add_u32 v1, v2, 23, v1
	v_cmp_eq_u32_e64 s[40:41], 0, v4
	v_cmp_lt_i16_e64 s[42:43], -1, v10
	v_mov_b32_e32 v2, 0xff800000
	v_mov_b32_e32 v4, 0x7f800000
	v_lshl_or_b32 v1, v24, 21, v1
	v_cndmask_b32_e64 v2, v2, v4, s[42:43]
	v_mov_b32_e32 v4, 0x7f800001
	v_add_u32_e32 v1, 0x38000000, v1
	v_cndmask_b32_e64 v2, v4, v2, s[40:41]
	v_cndmask_b32_e32 v2, v1, v2, vcc
.LBB4_14829:                            ;   in Loop: Header=BB4_14063 Depth=3
	s_or_b64 exec, exec, s[38:39]
	v_add_f32_e32 v3, v3, v2
	v_and_b32_e32 v38, 0x7f800000, v3
	v_mov_b32_e32 v39, v17
	v_cmp_ne_u64_e32 vcc, s[76:77], v[38:39]
	v_and_b32_e32 v1, 0x7fffff, v3
	v_mov_b32_e32 v2, v17
                                        ; implicit-def: $vgpr24
	s_and_saveexec_b64 s[40:41], vcc
	s_xor_b64 s[42:43], exec, s[40:41]
	s_cbranch_execz .LBB4_14843
; %bb.14830:                            ;   in Loop: Header=BB4_14063 Depth=3
	v_and_b32_e32 v38, 0x7fffffff, v3
	v_mov_b32_e32 v39, v17
	v_cmp_gt_u64_e32 vcc, s[78:79], v[38:39]
	v_and_b32_sdwa v4, v3, s96 dst_sel:DWORD dst_unused:UNUSED_PAD src0_sel:BYTE_3 src1_sel:DWORD
                                        ; implicit-def: $vgpr24
	s_and_saveexec_b64 s[40:41], vcc
	s_xor_b64 s[38:39], exec, s[40:41]
	s_cbranch_execz .LBB4_14840
; %bb.14831:                            ;   in Loop: Header=BB4_14063 Depth=3
	v_mov_b32_e32 v24, 0
	v_cmp_ne_u32_e32 vcc, 0, v3
	s_and_saveexec_b64 s[48:49], vcc
	s_cbranch_execz .LBB4_14839
; %bb.14832:                            ;   in Loop: Header=BB4_14063 Depth=3
	v_bfe_u32 v24, v3, 23, 8
	v_cmp_gt_u32_e64 s[40:41], s46, v24
	v_sub_u32_e32 v3, 0x71, v24
	v_cmp_eq_u32_e32 vcc, 0, v24
	v_cndmask_b32_e64 v3, 0, v3, s[40:41]
	v_mov_b32_e32 v29, 0x70
	v_cndmask_b32_e32 v30, v3, v29, vcc
	v_add_u32_e32 v3, 21, v30
	v_or_b32_e32 v28, 0x800000, v1
	v_lshlrev_b64 v[38:39], v3, -1
	v_cndmask_b32_e32 v1, v28, v1, vcc
	v_add_u32_e32 v3, 20, v30
	v_bfi_b32 v38, v38, 0, v1
	v_lshlrev_b64 v[50:51], v3, 1
	v_lshrrev_b64 v[1:2], v30, v[1:2]
	v_bfi_b32 v39, v39, 0, 0
	v_cmp_eq_u64_e64 s[40:41], v[38:39], v[50:51]
	v_mov_b32_e32 v3, v2
	v_mov_b32_e32 v2, v1
	s_and_saveexec_b64 s[50:51], s[40:41]
; %bb.14833:                            ;   in Loop: Header=BB4_14063 Depth=3
	v_bfe_u32 v2, v1, 21, 1
	v_add_co_u32_e64 v2, s[40:41], v1, v2
	v_add_co_u32_e64 v2, s[40:41], -1, v2
; %bb.14834:                            ;   in Loop: Header=BB4_14063 Depth=3
	s_or_b64 exec, exec, s[50:51]
	v_add_u32_e32 v3, 0xffffff81, v24
	v_mov_b32_e32 v24, 0xffffff82
	v_cndmask_b32_e32 v3, v3, v24, vcc
	v_lshrrev_b32_e32 v24, 23, v1
	v_add3_u32 v30, v30, v3, v24
	v_add_u32_e32 v24, 14, v30
	v_and_b32_e32 v2, 0x1fffff, v2
	v_add_u32_e32 v1, v2, v1
	v_mov_b32_e32 v2, v17
	v_cmp_ne_u32_e32 vcc, 0, v24
                                        ; implicit-def: $vgpr3
	s_and_saveexec_b64 s[40:41], vcc
	s_xor_b64 s[40:41], exec, s[40:41]
; %bb.14835:                            ;   in Loop: Header=BB4_14063 Depth=3
	v_cmp_lt_u64_e32 vcc, s[88:89], v[1:2]
	v_add_u32_e32 v3, 15, v30
	v_cndmask_b32_e32 v3, v24, v3, vcc
	v_cndmask_b32_e64 v24, 0, 1, vcc
	v_lshrrev_b64 v[1:2], v24, v[1:2]
; %bb.14836:                            ;   in Loop: Header=BB4_14063 Depth=3
	s_andn2_saveexec_b64 s[40:41], s[40:41]
; %bb.14837:                            ;   in Loop: Header=BB4_14063 Depth=3
	v_bfe_u32 v3, v1, 23, 1
; %bb.14838:                            ;   in Loop: Header=BB4_14063 Depth=3
	s_or_b64 exec, exec, s[40:41]
	v_lshrrev_b64 v[1:2], 21, v[1:2]
	v_cmp_gt_i32_e32 vcc, 32, v3
	v_cndmask_b32_e32 v2, 0, v2, vcc
	v_cndmask_b32_e32 v1, 3, v1, vcc
	v_cmp_eq_u64_e64 s[40:41], 0, v[1:2]
	v_min_i32_e32 v2, 31, v3
	v_lshlrev_b32_e32 v2, 2, v2
	v_cmp_eq_u32_e32 vcc, 0, v3
	v_and_b32_e32 v2, 0xfc, v2
	v_and_or_b32 v1, v1, 3, v2
	s_and_b64 s[40:41], vcc, s[40:41]
	v_cndmask_b32_e64 v1, v1, 0, s[40:41]
	v_or_b32_e32 v24, v1, v4
.LBB4_14839:                            ;   in Loop: Header=BB4_14063 Depth=3
	s_or_b64 exec, exec, s[48:49]
                                        ; implicit-def: $vgpr4
.LBB4_14840:                            ;   in Loop: Header=BB4_14063 Depth=3
	s_andn2_saveexec_b64 s[40:41], s[38:39]
; %bb.14841:                            ;   in Loop: Header=BB4_14063 Depth=3
	v_or_b32_e32 v24, 0x7b, v4
; %bb.14842:                            ;   in Loop: Header=BB4_14063 Depth=3
	s_or_b64 exec, exec, s[40:41]
                                        ; implicit-def: $vgpr3
                                        ; implicit-def: $vgpr1_vgpr2
.LBB4_14843:                            ;   in Loop: Header=BB4_14063 Depth=3
	s_andn2_saveexec_b64 s[40:41], s[42:43]
	s_cbranch_execz .LBB4_14849
; %bb.14844:                            ;   in Loop: Header=BB4_14063 Depth=3
	v_cmp_ne_u64_e32 vcc, 0, v[1:2]
                                        ; implicit-def: $vgpr24
	s_and_saveexec_b64 s[42:43], vcc
	s_xor_b64 s[42:43], exec, s[42:43]
; %bb.14845:                            ;   in Loop: Header=BB4_14063 Depth=3
	v_or_b32_sdwa v24, v3, s47 dst_sel:DWORD dst_unused:UNUSED_PAD src0_sel:BYTE_3 src1_sel:DWORD
                                        ; implicit-def: $vgpr3
; %bb.14846:                            ;   in Loop: Header=BB4_14063 Depth=3
	s_andn2_saveexec_b64 s[42:43], s[42:43]
; %bb.14847:                            ;   in Loop: Header=BB4_14063 Depth=3
	v_cmp_lt_i32_e32 vcc, -1, v3
	v_bfrev_b32_e32 v1, 0.5
	v_cndmask_b32_e32 v24, v1, v52, vcc
; %bb.14848:                            ;   in Loop: Header=BB4_14063 Depth=3
	s_or_b64 exec, exec, s[42:43]
.LBB4_14849:                            ;   in Loop: Header=BB4_14063 Depth=3
	s_or_b64 exec, exec, s[40:41]
	v_and_b32_sdwa v3, v0, s87 dst_sel:DWORD dst_unused:UNUSED_PAD src0_sel:WORD_1 src1_sel:DWORD
	v_lshrrev_b32_e32 v1, 16, v0
	v_cmp_ne_u16_e32 vcc, 0, v3
	v_mov_b32_e32 v2, 0
	s_and_saveexec_b64 s[40:41], vcc
	s_cbranch_execz .LBB4_14857
; %bb.14850:                            ;   in Loop: Header=BB4_14063 Depth=3
	v_cmp_ne_u16_e32 vcc, s96, v3
	v_bfrev_b32_e32 v2, 1
	s_and_saveexec_b64 s[42:43], vcc
	s_cbranch_execz .LBB4_14856
; %bb.14851:                            ;   in Loop: Header=BB4_14063 Depth=3
	v_and_b32_e32 v2, 0x7c0000, v0
	v_bfe_u32 v3, v0, 16, 2
	v_cmp_ne_u32_e32 vcc, s44, v2
                                        ; implicit-def: $vgpr2
	s_and_saveexec_b64 s[38:39], vcc
	s_xor_b64 s[38:39], exec, s[38:39]
	s_cbranch_execz .LBB4_14853
; %bb.14852:                            ;   in Loop: Header=BB4_14063 Depth=3
	v_ffbh_u32_e32 v2, v3
	v_min_u32_e32 v28, 32, v2
	v_subrev_u32_e32 v2, 29, v28
	v_lshlrev_b64 v[1:2], v2, v[1:2]
	v_bfe_u32 v4, v0, 18, 5
	v_and_b32_e32 v1, 3, v1
	v_cmp_eq_u32_e32 vcc, 0, v4
	v_sub_u32_e32 v2, 30, v28
	v_cndmask_b32_e32 v1, v3, v1, vcc
	v_lshlrev_b32_e32 v3, 8, v0
	v_cndmask_b32_e32 v2, v4, v2, vcc
	v_and_b32_e32 v3, 0x80000000, v3
	v_lshl_add_u32 v2, v2, 23, v3
	v_lshl_or_b32 v1, v1, 21, v2
	v_add_u32_e32 v2, 0x38000000, v1
                                        ; implicit-def: $vgpr3
                                        ; implicit-def: $vgpr1
.LBB4_14853:                            ;   in Loop: Header=BB4_14063 Depth=3
	s_andn2_saveexec_b64 s[38:39], s[38:39]
; %bb.14854:                            ;   in Loop: Header=BB4_14063 Depth=3
	v_mov_b32_e32 v2, -1
	v_cmp_gt_i16_sdwa vcc, sext(v1), v2 src0_sel:BYTE_0 src1_sel:DWORD
	v_mov_b32_e32 v1, 0xff800000
	v_mov_b32_e32 v2, 0x7f800000
	v_cndmask_b32_e32 v1, v1, v2, vcc
	v_cmp_eq_u32_e32 vcc, 0, v3
	v_mov_b32_e32 v2, 0x7f800001
	v_cndmask_b32_e32 v2, v2, v1, vcc
; %bb.14855:                            ;   in Loop: Header=BB4_14063 Depth=3
	s_or_b64 exec, exec, s[38:39]
.LBB4_14856:                            ;   in Loop: Header=BB4_14063 Depth=3
	s_or_b64 exec, exec, s[42:43]
.LBB4_14857:                            ;   in Loop: Header=BB4_14063 Depth=3
	s_or_b64 exec, exec, s[40:41]
	v_lshrrev_b32_e32 v1, 16, v10
	v_cmp_gt_i16_sdwa s[42:43], v1, s47 src0_sel:BYTE_0 src1_sel:DWORD
	s_mov_b64 s[40:41], 0
	s_and_saveexec_b64 vcc, s[42:43]
	s_xor_b64 s[42:43], exec, vcc
	s_cbranch_execz .LBB4_15056
; %bb.14858:                            ;   in Loop: Header=BB4_14063 Depth=3
	v_cmp_eq_u16_sdwa s[38:39], v1, s96 src0_sel:BYTE_0 src1_sel:DWORD
	s_mov_b64 s[40:41], -1
	s_and_saveexec_b64 vcc, s[38:39]
; %bb.14859:                            ;   in Loop: Header=BB4_14063 Depth=3
	s_xor_b64 s[40:41], exec, -1
; %bb.14860:                            ;   in Loop: Header=BB4_14063 Depth=3
	s_or_b64 exec, exec, vcc
	s_and_b64 s[40:41], s[40:41], exec
	s_or_saveexec_b64 s[42:43], s[42:43]
	v_bfrev_b32_e32 v3, 1
	s_xor_b64 exec, exec, s[42:43]
	s_cbranch_execnz .LBB4_15057
.LBB4_14861:                            ;   in Loop: Header=BB4_14063 Depth=3
	s_or_b64 exec, exec, s[42:43]
	s_and_saveexec_b64 s[38:39], s[40:41]
	s_cbranch_execz .LBB4_14863
.LBB4_14862:                            ;   in Loop: Header=BB4_14063 Depth=3
	v_and_b32_e32 v28, 3, v1
	v_and_b32_e32 v3, 0x7c0000, v10
	v_cmp_eq_u32_e32 vcc, s44, v3
	v_ffbh_u32_e32 v3, v28
	v_min_u32_e32 v30, 32, v3
	v_subrev_u32_e32 v3, 29, v30
	v_bfe_u32 v29, v10, 18, 5
	v_lshlrev_b64 v[3:4], v3, v[1:2]
	v_cmp_eq_u32_e64 s[40:41], 0, v29
	v_sub_u32_e32 v4, 30, v30
	v_cndmask_b32_e64 v4, v29, v4, s[40:41]
	v_lshlrev_b32_e32 v29, 24, v1
	v_and_b32_e32 v3, 3, v3
	v_and_b32_e32 v29, 0x80000000, v29
	v_cndmask_b32_e64 v3, v28, v3, s[40:41]
	v_lshl_add_u32 v4, v4, 23, v29
	v_lshl_or_b32 v3, v3, 21, v4
	v_mov_b32_e32 v4, -1
	v_cmp_gt_i16_sdwa s[42:43], sext(v1), v4 src0_sel:BYTE_0 src1_sel:DWORD
	v_mov_b32_e32 v1, 0xff800000
	v_mov_b32_e32 v4, 0x7f800000
	v_cmp_eq_u32_e64 s[40:41], 0, v28
	v_cndmask_b32_e64 v1, v1, v4, s[42:43]
	v_mov_b32_e32 v4, 0x7f800001
	v_add_u32_e32 v3, 0x38000000, v3
	v_cndmask_b32_e64 v1, v4, v1, s[40:41]
	v_cndmask_b32_e32 v3, v3, v1, vcc
.LBB4_14863:                            ;   in Loop: Header=BB4_14063 Depth=3
	s_or_b64 exec, exec, s[38:39]
	v_add_f32_e32 v3, v2, v3
	v_and_b32_e32 v38, 0x7f800000, v3
	v_mov_b32_e32 v39, v17
	v_cmp_ne_u64_e32 vcc, s[76:77], v[38:39]
	v_and_b32_e32 v1, 0x7fffff, v3
	v_mov_b32_e32 v2, v17
                                        ; implicit-def: $vgpr30
	s_and_saveexec_b64 s[40:41], vcc
	s_xor_b64 s[42:43], exec, s[40:41]
	s_cbranch_execz .LBB4_14877
; %bb.14864:                            ;   in Loop: Header=BB4_14063 Depth=3
	v_and_b32_e32 v38, 0x7fffffff, v3
	v_mov_b32_e32 v39, v17
	v_cmp_gt_u64_e32 vcc, s[78:79], v[38:39]
	v_and_b32_sdwa v4, v3, s96 dst_sel:DWORD dst_unused:UNUSED_PAD src0_sel:BYTE_3 src1_sel:DWORD
                                        ; implicit-def: $vgpr30
	s_and_saveexec_b64 s[40:41], vcc
	s_xor_b64 s[38:39], exec, s[40:41]
	s_cbranch_execz .LBB4_14874
; %bb.14865:                            ;   in Loop: Header=BB4_14063 Depth=3
	v_mov_b32_e32 v30, 0
	v_cmp_ne_u32_e32 vcc, 0, v3
	s_and_saveexec_b64 s[48:49], vcc
	s_cbranch_execz .LBB4_14873
; %bb.14866:                            ;   in Loop: Header=BB4_14063 Depth=3
	v_bfe_u32 v30, v3, 23, 8
	v_cmp_gt_u32_e64 s[40:41], s46, v30
	v_sub_u32_e32 v3, 0x71, v30
	v_cmp_eq_u32_e32 vcc, 0, v30
	v_cndmask_b32_e64 v3, 0, v3, s[40:41]
	v_mov_b32_e32 v29, 0x70
	v_cndmask_b32_e32 v33, v3, v29, vcc
	v_add_u32_e32 v3, 21, v33
	v_or_b32_e32 v28, 0x800000, v1
	v_lshlrev_b64 v[38:39], v3, -1
	v_cndmask_b32_e32 v1, v28, v1, vcc
	v_add_u32_e32 v3, 20, v33
	v_bfi_b32 v38, v38, 0, v1
	v_lshlrev_b64 v[50:51], v3, 1
	v_lshrrev_b64 v[1:2], v33, v[1:2]
	v_bfi_b32 v39, v39, 0, 0
	v_cmp_eq_u64_e64 s[40:41], v[38:39], v[50:51]
	v_mov_b32_e32 v3, v2
	v_mov_b32_e32 v2, v1
	s_and_saveexec_b64 s[50:51], s[40:41]
; %bb.14867:                            ;   in Loop: Header=BB4_14063 Depth=3
	v_bfe_u32 v2, v1, 21, 1
	v_add_co_u32_e64 v2, s[40:41], v1, v2
	v_add_co_u32_e64 v2, s[40:41], -1, v2
; %bb.14868:                            ;   in Loop: Header=BB4_14063 Depth=3
	s_or_b64 exec, exec, s[50:51]
	v_add_u32_e32 v3, 0xffffff81, v30
	v_mov_b32_e32 v28, 0xffffff82
	v_cndmask_b32_e32 v3, v3, v28, vcc
	v_lshrrev_b32_e32 v28, 23, v1
	v_add3_u32 v33, v33, v3, v28
	v_add_u32_e32 v30, 14, v33
	v_and_b32_e32 v2, 0x1fffff, v2
	v_add_u32_e32 v1, v2, v1
	v_mov_b32_e32 v2, v17
	v_cmp_ne_u32_e32 vcc, 0, v30
                                        ; implicit-def: $vgpr3
	s_and_saveexec_b64 s[40:41], vcc
	s_xor_b64 s[40:41], exec, s[40:41]
; %bb.14869:                            ;   in Loop: Header=BB4_14063 Depth=3
	v_cmp_lt_u64_e32 vcc, s[88:89], v[1:2]
	v_add_u32_e32 v3, 15, v33
	v_cndmask_b32_e64 v28, 0, 1, vcc
	v_cndmask_b32_e32 v3, v30, v3, vcc
	v_lshrrev_b64 v[1:2], v28, v[1:2]
; %bb.14870:                            ;   in Loop: Header=BB4_14063 Depth=3
	s_andn2_saveexec_b64 s[40:41], s[40:41]
; %bb.14871:                            ;   in Loop: Header=BB4_14063 Depth=3
	v_bfe_u32 v3, v1, 23, 1
; %bb.14872:                            ;   in Loop: Header=BB4_14063 Depth=3
	s_or_b64 exec, exec, s[40:41]
	v_lshrrev_b64 v[1:2], 21, v[1:2]
	v_cmp_gt_i32_e32 vcc, 32, v3
	v_cndmask_b32_e32 v2, 0, v2, vcc
	v_cndmask_b32_e32 v1, 3, v1, vcc
	v_cmp_eq_u64_e64 s[40:41], 0, v[1:2]
	v_min_i32_e32 v2, 31, v3
	v_lshlrev_b32_e32 v2, 2, v2
	v_cmp_eq_u32_e32 vcc, 0, v3
	v_and_b32_e32 v2, 0xfc, v2
	v_and_or_b32 v1, v1, 3, v2
	s_and_b64 s[40:41], vcc, s[40:41]
	v_cndmask_b32_e64 v1, v1, 0, s[40:41]
	v_or_b32_e32 v30, v1, v4
.LBB4_14873:                            ;   in Loop: Header=BB4_14063 Depth=3
	s_or_b64 exec, exec, s[48:49]
                                        ; implicit-def: $vgpr4
.LBB4_14874:                            ;   in Loop: Header=BB4_14063 Depth=3
	s_andn2_saveexec_b64 s[40:41], s[38:39]
; %bb.14875:                            ;   in Loop: Header=BB4_14063 Depth=3
	v_or_b32_e32 v30, 0x7b, v4
; %bb.14876:                            ;   in Loop: Header=BB4_14063 Depth=3
	s_or_b64 exec, exec, s[40:41]
                                        ; implicit-def: $vgpr3
                                        ; implicit-def: $vgpr1_vgpr2
.LBB4_14877:                            ;   in Loop: Header=BB4_14063 Depth=3
	s_andn2_saveexec_b64 s[40:41], s[42:43]
	s_cbranch_execz .LBB4_14883
; %bb.14878:                            ;   in Loop: Header=BB4_14063 Depth=3
	v_cmp_ne_u64_e32 vcc, 0, v[1:2]
                                        ; implicit-def: $vgpr30
	s_and_saveexec_b64 s[42:43], vcc
	s_xor_b64 s[42:43], exec, s[42:43]
; %bb.14879:                            ;   in Loop: Header=BB4_14063 Depth=3
	v_or_b32_sdwa v30, v3, s47 dst_sel:DWORD dst_unused:UNUSED_PAD src0_sel:BYTE_3 src1_sel:DWORD
                                        ; implicit-def: $vgpr3
; %bb.14880:                            ;   in Loop: Header=BB4_14063 Depth=3
	s_andn2_saveexec_b64 s[42:43], s[42:43]
; %bb.14881:                            ;   in Loop: Header=BB4_14063 Depth=3
	v_cmp_lt_i32_e32 vcc, -1, v3
	v_bfrev_b32_e32 v1, 0.5
	v_cndmask_b32_e32 v30, v1, v52, vcc
; %bb.14882:                            ;   in Loop: Header=BB4_14063 Depth=3
	s_or_b64 exec, exec, s[42:43]
.LBB4_14883:                            ;   in Loop: Header=BB4_14063 Depth=3
	s_or_b64 exec, exec, s[40:41]
	v_cmp_lt_u32_e32 vcc, s57, v0
	v_mov_b32_e32 v2, 0
	s_and_saveexec_b64 s[40:41], vcc
	s_cbranch_execz .LBB4_14891
; %bb.14884:                            ;   in Loop: Header=BB4_14063 Depth=3
	v_lshrrev_b32_e32 v1, 24, v0
	v_cmp_ne_u32_e32 vcc, s96, v1
	v_bfrev_b32_e32 v2, 1
	s_and_saveexec_b64 s[42:43], vcc
	s_cbranch_execz .LBB4_14890
; %bb.14885:                            ;   in Loop: Header=BB4_14063 Depth=3
	v_and_b32_e32 v2, 0x7c000000, v0
	v_bfe_u32 v3, v0, 24, 2
	v_cmp_ne_u32_e32 vcc, s45, v2
                                        ; implicit-def: $vgpr2
	s_and_saveexec_b64 s[38:39], vcc
	s_xor_b64 s[38:39], exec, s[38:39]
	s_cbranch_execz .LBB4_14887
; %bb.14886:                            ;   in Loop: Header=BB4_14063 Depth=3
	v_ffbh_u32_e32 v2, v3
	v_min_u32_e32 v28, 32, v2
	v_subrev_u32_e32 v2, 29, v28
	v_bfe_u32 v4, v0, 26, 5
	v_lshlrev_b64 v[1:2], v2, v[1:2]
	v_sub_u32_e32 v2, 30, v28
	v_cmp_eq_u32_e32 vcc, 0, v4
	v_and_b32_e32 v1, 3, v1
	v_cndmask_b32_e32 v2, v4, v2, vcc
	v_and_b32_e32 v0, 0x80000000, v0
	v_cndmask_b32_e32 v1, v3, v1, vcc
	v_lshl_add_u32 v0, v2, 23, v0
	v_lshl_or_b32 v0, v1, 21, v0
	v_add_u32_e32 v2, 0x38000000, v0
                                        ; implicit-def: $vgpr3
                                        ; implicit-def: $vgpr0_vgpr1
.LBB4_14887:                            ;   in Loop: Header=BB4_14063 Depth=3
	s_andn2_saveexec_b64 s[38:39], s[38:39]
; %bb.14888:                            ;   in Loop: Header=BB4_14063 Depth=3
	v_cmp_lt_i32_e32 vcc, -1, v0
	v_mov_b32_e32 v0, 0xff800000
	v_mov_b32_e32 v1, 0x7f800000
	v_cndmask_b32_e32 v0, v0, v1, vcc
	v_cmp_eq_u32_e32 vcc, 0, v3
	v_mov_b32_e32 v1, 0x7f800001
	v_cndmask_b32_e32 v2, v1, v0, vcc
; %bb.14889:                            ;   in Loop: Header=BB4_14063 Depth=3
	s_or_b64 exec, exec, s[38:39]
.LBB4_14890:                            ;   in Loop: Header=BB4_14063 Depth=3
	s_or_b64 exec, exec, s[42:43]
.LBB4_14891:                            ;   in Loop: Header=BB4_14063 Depth=3
	s_or_b64 exec, exec, s[40:41]
	v_bfe_u32 v1, v10, 24, 2
	v_and_b32_e32 v3, 0x7c000000, v10
	v_cmp_eq_u32_e32 vcc, s45, v3
	v_ffbh_u32_e32 v3, v1
	v_min_u32_e32 v29, 32, v3
	v_lshrrev_b32_e32 v0, 24, v10
	v_subrev_u32_e32 v3, 29, v29
	v_bfe_u32 v28, v10, 26, 5
	v_lshlrev_b64 v[3:4], v3, v[0:1]
	v_cmp_eq_u32_e64 s[40:41], 0, v28
	v_sub_u32_e32 v4, 30, v29
	v_and_b32_e32 v3, 3, v3
	v_cndmask_b32_e64 v4, v28, v4, s[40:41]
	v_and_b32_e32 v28, 0x80000000, v10
	v_cndmask_b32_e64 v3, v1, v3, s[40:41]
	v_lshl_add_u32 v4, v4, 23, v28
	v_lshl_or_b32 v3, v3, 21, v4
	v_cmp_eq_u32_e64 s[40:41], 0, v1
	v_cmp_lt_i32_e64 s[42:43], -1, v10
	v_mov_b32_e32 v1, 0xff800000
	v_mov_b32_e32 v4, 0x7f800000
	v_cndmask_b32_e64 v1, v1, v4, s[42:43]
	v_mov_b32_e32 v4, 0x7f800001
	v_add_u32_e32 v3, 0x38000000, v3
	v_cndmask_b32_e64 v1, v4, v1, s[40:41]
	v_cndmask_b32_e32 v1, v3, v1, vcc
	v_cmp_ne_u32_e32 vcc, s96, v0
	v_bfrev_b32_e32 v0, 1
	v_cndmask_b32_e32 v0, v0, v1, vcc
	v_cmp_lt_u32_e32 vcc, s57, v10
	v_cndmask_b32_e32 v0, 0, v0, vcc
	v_add_f32_e32 v2, v0, v2
	v_and_b32_e32 v3, 0x7f800000, v2
	v_mov_b32_e32 v4, v17
	v_cmp_ne_u64_e32 vcc, s[76:77], v[3:4]
	v_and_b32_e32 v0, 0x7fffff, v2
	v_mov_b32_e32 v1, v17
                                        ; implicit-def: $vgpr33
	s_and_saveexec_b64 s[40:41], vcc
	s_xor_b64 s[42:43], exec, s[40:41]
	s_cbranch_execz .LBB4_14905
; %bb.14892:                            ;   in Loop: Header=BB4_14063 Depth=3
	v_and_b32_e32 v3, 0x7fffffff, v2
	v_mov_b32_e32 v4, v17
	v_cmp_gt_u64_e32 vcc, s[78:79], v[3:4]
	v_and_b32_sdwa v3, v2, s96 dst_sel:DWORD dst_unused:UNUSED_PAD src0_sel:BYTE_3 src1_sel:DWORD
                                        ; implicit-def: $vgpr33
	s_and_saveexec_b64 s[40:41], vcc
	s_xor_b64 s[38:39], exec, s[40:41]
	s_cbranch_execz .LBB4_14902
; %bb.14893:                            ;   in Loop: Header=BB4_14063 Depth=3
	v_mov_b32_e32 v33, 0
	v_cmp_ne_u32_e32 vcc, 0, v2
	s_and_saveexec_b64 s[48:49], vcc
	s_cbranch_execz .LBB4_14901
; %bb.14894:                            ;   in Loop: Header=BB4_14063 Depth=3
	v_bfe_u32 v4, v2, 23, 8
	v_cmp_gt_u32_e64 s[40:41], s46, v4
	v_sub_u32_e32 v2, 0x71, v4
	v_cmp_eq_u32_e32 vcc, 0, v4
	v_cndmask_b32_e64 v2, 0, v2, s[40:41]
	v_mov_b32_e32 v29, 0x70
	v_cndmask_b32_e32 v33, v2, v29, vcc
	v_add_u32_e32 v2, 21, v33
	v_or_b32_e32 v28, 0x800000, v0
	v_lshlrev_b64 v[38:39], v2, -1
	v_cndmask_b32_e32 v0, v28, v0, vcc
	v_add_u32_e32 v2, 20, v33
	v_bfi_b32 v38, v38, 0, v0
	v_lshlrev_b64 v[50:51], v2, 1
	v_lshrrev_b64 v[0:1], v33, v[0:1]
	v_bfi_b32 v39, v39, 0, 0
	v_cmp_eq_u64_e64 s[40:41], v[38:39], v[50:51]
	v_mov_b32_e32 v2, v1
	v_mov_b32_e32 v1, v0
	s_and_saveexec_b64 s[50:51], s[40:41]
; %bb.14895:                            ;   in Loop: Header=BB4_14063 Depth=3
	v_bfe_u32 v1, v0, 21, 1
	v_add_co_u32_e64 v1, s[40:41], v0, v1
	v_add_co_u32_e64 v1, s[40:41], -1, v1
; %bb.14896:                            ;   in Loop: Header=BB4_14063 Depth=3
	s_or_b64 exec, exec, s[50:51]
	v_add_u32_e32 v2, 0xffffff81, v4
	v_mov_b32_e32 v4, 0xffffff82
	v_cndmask_b32_e32 v2, v2, v4, vcc
	v_lshrrev_b32_e32 v4, 23, v0
	v_add3_u32 v33, v33, v2, v4
	v_add_u32_e32 v4, 14, v33
	v_and_b32_e32 v1, 0x1fffff, v1
	v_add_u32_e32 v0, v1, v0
	v_mov_b32_e32 v1, v17
	v_cmp_ne_u32_e32 vcc, 0, v4
                                        ; implicit-def: $vgpr2
	s_and_saveexec_b64 s[40:41], vcc
	s_xor_b64 s[40:41], exec, s[40:41]
; %bb.14897:                            ;   in Loop: Header=BB4_14063 Depth=3
	v_cmp_lt_u64_e32 vcc, s[88:89], v[0:1]
	v_add_u32_e32 v2, 15, v33
	v_cndmask_b32_e32 v2, v4, v2, vcc
	v_cndmask_b32_e64 v4, 0, 1, vcc
	v_lshrrev_b64 v[0:1], v4, v[0:1]
; %bb.14898:                            ;   in Loop: Header=BB4_14063 Depth=3
	s_andn2_saveexec_b64 s[40:41], s[40:41]
; %bb.14899:                            ;   in Loop: Header=BB4_14063 Depth=3
	v_bfe_u32 v2, v0, 23, 1
; %bb.14900:                            ;   in Loop: Header=BB4_14063 Depth=3
	s_or_b64 exec, exec, s[40:41]
	v_lshrrev_b64 v[0:1], 21, v[0:1]
	v_cmp_gt_i32_e32 vcc, 32, v2
	v_cndmask_b32_e32 v1, 0, v1, vcc
	v_cndmask_b32_e32 v0, 3, v0, vcc
	v_cmp_eq_u64_e64 s[40:41], 0, v[0:1]
	v_min_i32_e32 v1, 31, v2
	v_lshlrev_b32_e32 v1, 2, v1
	v_cmp_eq_u32_e32 vcc, 0, v2
	v_and_b32_e32 v1, 0xfc, v1
	v_and_or_b32 v0, v0, 3, v1
	s_and_b64 s[40:41], vcc, s[40:41]
	v_cndmask_b32_e64 v0, v0, 0, s[40:41]
	v_or_b32_e32 v33, v0, v3
.LBB4_14901:                            ;   in Loop: Header=BB4_14063 Depth=3
	s_or_b64 exec, exec, s[48:49]
                                        ; implicit-def: $vgpr3
.LBB4_14902:                            ;   in Loop: Header=BB4_14063 Depth=3
	s_andn2_saveexec_b64 s[40:41], s[38:39]
; %bb.14903:                            ;   in Loop: Header=BB4_14063 Depth=3
	v_or_b32_e32 v33, 0x7b, v3
; %bb.14904:                            ;   in Loop: Header=BB4_14063 Depth=3
	s_or_b64 exec, exec, s[40:41]
                                        ; implicit-def: $vgpr2
                                        ; implicit-def: $vgpr0_vgpr1
.LBB4_14905:                            ;   in Loop: Header=BB4_14063 Depth=3
	s_andn2_saveexec_b64 s[40:41], s[42:43]
	s_cbranch_execz .LBB4_14911
; %bb.14906:                            ;   in Loop: Header=BB4_14063 Depth=3
	v_cmp_ne_u64_e32 vcc, 0, v[0:1]
                                        ; implicit-def: $vgpr33
	s_and_saveexec_b64 s[42:43], vcc
	s_xor_b64 s[42:43], exec, s[42:43]
; %bb.14907:                            ;   in Loop: Header=BB4_14063 Depth=3
	v_or_b32_sdwa v33, v2, s47 dst_sel:DWORD dst_unused:UNUSED_PAD src0_sel:BYTE_3 src1_sel:DWORD
                                        ; implicit-def: $vgpr2
; %bb.14908:                            ;   in Loop: Header=BB4_14063 Depth=3
	s_andn2_saveexec_b64 s[42:43], s[42:43]
; %bb.14909:                            ;   in Loop: Header=BB4_14063 Depth=3
	v_cmp_lt_i32_e32 vcc, -1, v2
	v_bfrev_b32_e32 v0, 0.5
	v_cndmask_b32_e32 v33, v0, v52, vcc
; %bb.14910:                            ;   in Loop: Header=BB4_14063 Depth=3
	s_or_b64 exec, exec, s[42:43]
.LBB4_14911:                            ;   in Loop: Header=BB4_14063 Depth=3
	s_or_b64 exec, exec, s[40:41]
	v_lshlrev_b32_e32 v0, 24, v32
	v_lshlrev_b32_e32 v1, 16, v27
	v_lshl_or_b32 v25, v25, 8, v22
	v_or3_b32 v0, v1, v0, v25
	v_mov_b32_e32 v1, v17
	v_cmp_ne_u32_e32 vcc, 0, v22
	v_mov_b32_e32 v3, 0
	s_and_saveexec_b64 s[42:43], vcc
	s_cbranch_execz .LBB4_14919
; %bb.14912:                            ;   in Loop: Header=BB4_14063 Depth=3
	v_cmp_ne_u32_e32 vcc, s96, v22
	v_bfrev_b32_e32 v3, 1
	s_and_saveexec_b64 s[38:39], vcc
	s_cbranch_execz .LBB4_14918
; %bb.14913:                            ;   in Loop: Header=BB4_14063 Depth=3
	v_and_b32_e32 v3, 0x7c, v22
	v_and_b32_e32 v2, 3, v22
	v_cmp_ne_u32_e32 vcc, s85, v3
                                        ; implicit-def: $vgpr3
	s_and_saveexec_b64 s[40:41], vcc
	s_xor_b64 s[40:41], exec, s[40:41]
	s_cbranch_execz .LBB4_14915
; %bb.14914:                            ;   in Loop: Header=BB4_14063 Depth=3
	v_ffbh_u32_e32 v3, v2
	v_min_u32_e32 v28, 32, v3
	v_subrev_u32_e32 v3, 29, v28
	v_lshlrev_b64 v[3:4], v3, v[0:1]
	v_bfe_u32 v27, v22, 2, 5
	v_and_b32_e32 v3, 3, v3
	v_cmp_eq_u32_e32 vcc, 0, v27
	v_sub_u32_e32 v1, 30, v28
	v_cndmask_b32_e32 v2, v2, v3, vcc
	v_lshlrev_b32_e32 v3, 24, v22
	v_cndmask_b32_e32 v1, v27, v1, vcc
	v_and_b32_e32 v3, 0x80000000, v3
	v_lshl_add_u32 v1, v1, 23, v3
	v_lshl_or_b32 v1, v2, 21, v1
	v_add_u32_e32 v3, 0x38000000, v1
                                        ; implicit-def: $vgpr2
                                        ; implicit-def: $vgpr22
.LBB4_14915:                            ;   in Loop: Header=BB4_14063 Depth=3
	s_andn2_saveexec_b64 s[48:49], s[40:41]
; %bb.14916:                            ;   in Loop: Header=BB4_14063 Depth=3
	v_and_b32_e32 v1, 0x80, v22
	v_cmp_eq_u32_e32 vcc, 0, v2
	v_cmp_eq_u32_e64 s[40:41], 0, v1
	v_mov_b32_e32 v1, 0xff800000
	v_mov_b32_e32 v2, 0x7f800000
	v_cndmask_b32_e64 v1, v1, v2, s[40:41]
	v_mov_b32_e32 v2, 0x7f800001
	v_cndmask_b32_e32 v3, v2, v1, vcc
; %bb.14917:                            ;   in Loop: Header=BB4_14063 Depth=3
	s_or_b64 exec, exec, s[48:49]
.LBB4_14918:                            ;   in Loop: Header=BB4_14063 Depth=3
	s_or_b64 exec, exec, s[38:39]
.LBB4_14919:                            ;   in Loop: Header=BB4_14063 Depth=3
	s_or_b64 exec, exec, s[42:43]
	v_cmp_gt_i16_sdwa s[42:43], v11, s47 src0_sel:BYTE_0 src1_sel:DWORD
	s_mov_b64 s[40:41], 0
	s_and_saveexec_b64 vcc, s[42:43]
	s_xor_b64 s[42:43], exec, vcc
	s_cbranch_execz .LBB4_14923
; %bb.14920:                            ;   in Loop: Header=BB4_14063 Depth=3
	v_cmp_eq_u16_sdwa s[38:39], v11, s96 src0_sel:BYTE_0 src1_sel:DWORD
	s_mov_b64 s[40:41], -1
	s_and_saveexec_b64 vcc, s[38:39]
; %bb.14921:                            ;   in Loop: Header=BB4_14063 Depth=3
	s_xor_b64 s[40:41], exec, -1
; %bb.14922:                            ;   in Loop: Header=BB4_14063 Depth=3
	s_or_b64 exec, exec, vcc
	s_and_b64 s[40:41], s[40:41], exec
.LBB4_14923:                            ;   in Loop: Header=BB4_14063 Depth=3
	s_or_saveexec_b64 s[42:43], s[42:43]
	v_bfrev_b32_e32 v4, 1
	s_xor_b64 exec, exec, s[42:43]
; %bb.14924:                            ;   in Loop: Header=BB4_14063 Depth=3
	v_cmp_ne_u16_sdwa vcc, v11, v17 src0_sel:BYTE_0 src1_sel:DWORD
	s_andn2_b64 s[40:41], s[40:41], exec
	s_and_b64 vcc, vcc, exec
	v_mov_b32_e32 v4, 0
	s_or_b64 s[40:41], s[40:41], vcc
; %bb.14925:                            ;   in Loop: Header=BB4_14063 Depth=3
	s_or_b64 exec, exec, s[42:43]
	v_mov_b32_e32 v1, v11
	v_mov_b32_e32 v2, v17
	s_and_saveexec_b64 s[38:39], s[40:41]
	s_cbranch_execz .LBB4_14927
; %bb.14926:                            ;   in Loop: Header=BB4_14063 Depth=3
	v_and_b32_e32 v4, 3, v11
	v_and_b32_e32 v27, 0x7c, v11
	v_cmp_eq_u32_e32 vcc, s85, v27
	v_ffbh_u32_e32 v27, v4
	v_min_u32_e32 v27, 32, v27
	v_subrev_u32_e32 v28, 29, v27
	v_lshlrev_b64 v[38:39], v28, v[1:2]
	v_bfe_u32 v22, v11, 2, 5
	v_cmp_eq_u32_e64 s[40:41], 0, v22
	v_sub_u32_e32 v2, 30, v27
	v_and_b32_e32 v27, 3, v38
	v_cndmask_b32_e64 v2, v22, v2, s[40:41]
	v_cndmask_b32_e64 v22, v4, v27, s[40:41]
	v_lshlrev_b32_e32 v27, 24, v11
	v_and_b32_e32 v27, 0x80000000, v27
	v_lshl_add_u32 v2, v2, 23, v27
	v_cmp_eq_u32_e64 s[40:41], 0, v4
	v_mov_b32_e32 v4, -1
	v_lshl_or_b32 v2, v22, 21, v2
	v_cmp_gt_i16_sdwa s[42:43], sext(v11), v4 src0_sel:BYTE_0 src1_sel:DWORD
	v_mov_b32_e32 v4, 0xff800000
	v_mov_b32_e32 v22, 0x7f800000
	v_cndmask_b32_e64 v4, v4, v22, s[42:43]
	v_mov_b32_e32 v22, 0x7f800001
	v_add_u32_e32 v2, 0x38000000, v2
	v_cndmask_b32_e64 v4, v22, v4, s[40:41]
	v_cndmask_b32_e32 v4, v2, v4, vcc
.LBB4_14927:                            ;   in Loop: Header=BB4_14063 Depth=3
	s_or_b64 exec, exec, s[38:39]
	v_add_f32_e32 v27, v3, v4
	v_and_b32_e32 v3, 0x7f800000, v27
	v_mov_b32_e32 v4, v17
	v_cmp_ne_u64_e32 vcc, s[76:77], v[3:4]
	v_and_b32_e32 v2, 0x7fffff, v27
	v_mov_b32_e32 v3, v17
                                        ; implicit-def: $vgpr4
	s_and_saveexec_b64 s[40:41], vcc
	s_xor_b64 s[42:43], exec, s[40:41]
	s_cbranch_execz .LBB4_14941
; %bb.14928:                            ;   in Loop: Header=BB4_14063 Depth=3
	v_and_b32_e32 v38, 0x7fffffff, v27
	v_mov_b32_e32 v39, v17
	v_cmp_gt_u64_e32 vcc, s[78:79], v[38:39]
	v_and_b32_sdwa v22, v27, s96 dst_sel:DWORD dst_unused:UNUSED_PAD src0_sel:BYTE_3 src1_sel:DWORD
                                        ; implicit-def: $vgpr4
	s_and_saveexec_b64 s[40:41], vcc
	s_xor_b64 s[38:39], exec, s[40:41]
	s_cbranch_execz .LBB4_14938
; %bb.14929:                            ;   in Loop: Header=BB4_14063 Depth=3
	v_mov_b32_e32 v4, 0
	v_cmp_ne_u32_e32 vcc, 0, v27
	s_and_saveexec_b64 s[48:49], vcc
	s_cbranch_execz .LBB4_14937
; %bb.14930:                            ;   in Loop: Header=BB4_14063 Depth=3
	v_bfe_u32 v27, v27, 23, 8
	v_cmp_gt_u32_e64 s[40:41], s46, v27
	v_sub_u32_e32 v4, 0x71, v27
	v_cmp_eq_u32_e32 vcc, 0, v27
	v_cndmask_b32_e64 v4, 0, v4, s[40:41]
	v_mov_b32_e32 v29, 0x70
	v_cndmask_b32_e32 v32, v4, v29, vcc
	v_add_u32_e32 v4, 21, v32
	v_or_b32_e32 v28, 0x800000, v2
	v_lshlrev_b64 v[38:39], v4, -1
	v_cndmask_b32_e32 v2, v28, v2, vcc
	v_add_u32_e32 v4, 20, v32
	v_bfi_b32 v38, v38, 0, v2
	v_lshlrev_b64 v[50:51], v4, 1
	v_lshrrev_b64 v[2:3], v32, v[2:3]
	v_bfi_b32 v39, v39, 0, 0
	v_cmp_eq_u64_e64 s[40:41], v[38:39], v[50:51]
	v_mov_b32_e32 v4, v3
	v_mov_b32_e32 v3, v2
	s_and_saveexec_b64 s[50:51], s[40:41]
; %bb.14931:                            ;   in Loop: Header=BB4_14063 Depth=3
	v_bfe_u32 v3, v2, 21, 1
	v_add_co_u32_e64 v3, s[40:41], v2, v3
	v_add_co_u32_e64 v3, s[40:41], -1, v3
; %bb.14932:                            ;   in Loop: Header=BB4_14063 Depth=3
	s_or_b64 exec, exec, s[50:51]
	v_add_u32_e32 v4, 0xffffff81, v27
	v_mov_b32_e32 v27, 0xffffff82
	v_cndmask_b32_e32 v4, v4, v27, vcc
	v_lshrrev_b32_e32 v27, 23, v2
	v_add3_u32 v32, v32, v4, v27
	v_add_u32_e32 v27, 14, v32
	v_and_b32_e32 v3, 0x1fffff, v3
	v_add_u32_e32 v2, v3, v2
	v_mov_b32_e32 v3, v17
	v_cmp_ne_u32_e32 vcc, 0, v27
                                        ; implicit-def: $vgpr4
	s_and_saveexec_b64 s[40:41], vcc
	s_xor_b64 s[40:41], exec, s[40:41]
; %bb.14933:                            ;   in Loop: Header=BB4_14063 Depth=3
	v_cmp_lt_u64_e32 vcc, s[88:89], v[2:3]
	v_add_u32_e32 v4, 15, v32
	v_cndmask_b32_e32 v4, v27, v4, vcc
	v_cndmask_b32_e64 v27, 0, 1, vcc
	v_lshrrev_b64 v[2:3], v27, v[2:3]
; %bb.14934:                            ;   in Loop: Header=BB4_14063 Depth=3
	s_andn2_saveexec_b64 s[40:41], s[40:41]
; %bb.14935:                            ;   in Loop: Header=BB4_14063 Depth=3
	v_bfe_u32 v4, v2, 23, 1
; %bb.14936:                            ;   in Loop: Header=BB4_14063 Depth=3
	s_or_b64 exec, exec, s[40:41]
	v_lshrrev_b64 v[2:3], 21, v[2:3]
	v_cmp_gt_i32_e32 vcc, 32, v4
	v_cndmask_b32_e32 v3, 0, v3, vcc
	v_cndmask_b32_e32 v2, 3, v2, vcc
	v_cmp_eq_u64_e64 s[40:41], 0, v[2:3]
	v_min_i32_e32 v3, 31, v4
	v_lshlrev_b32_e32 v3, 2, v3
	v_cmp_eq_u32_e32 vcc, 0, v4
	v_and_b32_e32 v3, 0xfc, v3
	v_and_or_b32 v2, v2, 3, v3
	s_and_b64 s[40:41], vcc, s[40:41]
	v_cndmask_b32_e64 v2, v2, 0, s[40:41]
	v_or_b32_e32 v4, v2, v22
.LBB4_14937:                            ;   in Loop: Header=BB4_14063 Depth=3
	s_or_b64 exec, exec, s[48:49]
                                        ; implicit-def: $vgpr22
.LBB4_14938:                            ;   in Loop: Header=BB4_14063 Depth=3
	s_andn2_saveexec_b64 s[40:41], s[38:39]
; %bb.14939:                            ;   in Loop: Header=BB4_14063 Depth=3
	v_or_b32_e32 v4, 0x7b, v22
; %bb.14940:                            ;   in Loop: Header=BB4_14063 Depth=3
	s_or_b64 exec, exec, s[40:41]
                                        ; implicit-def: $vgpr27
                                        ; implicit-def: $vgpr2_vgpr3
.LBB4_14941:                            ;   in Loop: Header=BB4_14063 Depth=3
	s_andn2_saveexec_b64 s[40:41], s[42:43]
	s_cbranch_execz .LBB4_14947
; %bb.14942:                            ;   in Loop: Header=BB4_14063 Depth=3
	v_cmp_ne_u64_e32 vcc, 0, v[2:3]
                                        ; implicit-def: $vgpr4
	s_and_saveexec_b64 s[42:43], vcc
	s_xor_b64 s[42:43], exec, s[42:43]
; %bb.14943:                            ;   in Loop: Header=BB4_14063 Depth=3
	v_or_b32_sdwa v4, v27, s47 dst_sel:DWORD dst_unused:UNUSED_PAD src0_sel:BYTE_3 src1_sel:DWORD
                                        ; implicit-def: $vgpr27
; %bb.14944:                            ;   in Loop: Header=BB4_14063 Depth=3
	s_andn2_saveexec_b64 s[42:43], s[42:43]
; %bb.14945:                            ;   in Loop: Header=BB4_14063 Depth=3
	v_cmp_lt_i32_e32 vcc, -1, v27
	v_bfrev_b32_e32 v2, 0.5
	v_cndmask_b32_e32 v4, v2, v52, vcc
; %bb.14946:                            ;   in Loop: Header=BB4_14063 Depth=3
	s_or_b64 exec, exec, s[42:43]
.LBB4_14947:                            ;   in Loop: Header=BB4_14063 Depth=3
	s_or_b64 exec, exec, s[40:41]
	v_lshrrev_b16_e32 v2, 8, v25
	v_cmp_ne_u16_e32 vcc, 0, v2
	v_mov_b32_e32 v22, 0
	s_and_saveexec_b64 s[40:41], vcc
	s_cbranch_execz .LBB4_14955
; %bb.14948:                            ;   in Loop: Header=BB4_14063 Depth=3
	v_cmp_ne_u16_e32 vcc, s96, v2
	v_bfrev_b32_e32 v22, 1
	s_and_saveexec_b64 s[42:43], vcc
	s_cbranch_execz .LBB4_14954
; %bb.14949:                            ;   in Loop: Header=BB4_14063 Depth=3
	v_and_b32_e32 v3, 0x7c, v2
	v_and_b32_e32 v27, 3, v2
	v_cmp_ne_u32_e32 vcc, s85, v3
                                        ; implicit-def: $vgpr22
	s_and_saveexec_b64 s[38:39], vcc
	s_xor_b64 s[38:39], exec, s[38:39]
	s_cbranch_execz .LBB4_14951
; %bb.14950:                            ;   in Loop: Header=BB4_14063 Depth=3
	v_ffbh_u32_e32 v28, v27
	v_min_u32_e32 v28, 32, v28
	v_mov_b32_e32 v3, v17
	v_subrev_u32_e32 v29, 29, v28
	v_bfe_u32 v22, v2, 2, 5
	v_lshlrev_b64 v[2:3], v29, v[2:3]
	v_sub_u32_e32 v3, 30, v28
	v_cmp_eq_u32_e32 vcc, 0, v22
	v_cndmask_b32_e32 v3, v22, v3, vcc
	v_lshlrev_b32_e32 v22, 16, v25
	v_and_b32_e32 v2, 3, v2
	v_and_b32_e32 v22, 0x80000000, v22
	v_cndmask_b32_e32 v2, v27, v2, vcc
	v_lshl_add_u32 v3, v3, 23, v22
	v_lshl_or_b32 v2, v2, 21, v3
	v_add_u32_e32 v22, 0x38000000, v2
                                        ; implicit-def: $vgpr27
                                        ; implicit-def: $vgpr25
.LBB4_14951:                            ;   in Loop: Header=BB4_14063 Depth=3
	s_andn2_saveexec_b64 s[38:39], s[38:39]
; %bb.14952:                            ;   in Loop: Header=BB4_14063 Depth=3
	v_cmp_lt_i16_e32 vcc, -1, v25
	v_mov_b32_e32 v2, 0xff800000
	v_mov_b32_e32 v3, 0x7f800000
	v_cndmask_b32_e32 v2, v2, v3, vcc
	v_cmp_eq_u32_e32 vcc, 0, v27
	v_mov_b32_e32 v3, 0x7f800001
	v_cndmask_b32_e32 v22, v3, v2, vcc
; %bb.14953:                            ;   in Loop: Header=BB4_14063 Depth=3
	s_or_b64 exec, exec, s[38:39]
.LBB4_14954:                            ;   in Loop: Header=BB4_14063 Depth=3
	s_or_b64 exec, exec, s[42:43]
.LBB4_14955:                            ;   in Loop: Header=BB4_14063 Depth=3
	s_or_b64 exec, exec, s[40:41]
	v_lshrrev_b16_e32 v2, 8, v1
	v_cmp_lt_i16_e32 vcc, s47, v2
	s_mov_b64 s[40:41], 0
	s_and_saveexec_b64 s[42:43], vcc
	s_xor_b64 s[42:43], exec, s[42:43]
	s_cbranch_execz .LBB4_15058
; %bb.14956:                            ;   in Loop: Header=BB4_14063 Depth=3
	v_cmp_eq_u16_e32 vcc, s96, v2
	s_mov_b64 s[40:41], -1
	s_and_saveexec_b64 s[38:39], vcc
; %bb.14957:                            ;   in Loop: Header=BB4_14063 Depth=3
	s_xor_b64 s[40:41], exec, -1
; %bb.14958:                            ;   in Loop: Header=BB4_14063 Depth=3
	s_or_b64 exec, exec, s[38:39]
	s_and_b64 s[40:41], s[40:41], exec
	s_or_saveexec_b64 s[42:43], s[42:43]
	v_bfrev_b32_e32 v3, 1
	s_xor_b64 exec, exec, s[42:43]
	s_cbranch_execnz .LBB4_15059
.LBB4_14959:                            ;   in Loop: Header=BB4_14063 Depth=3
	s_or_b64 exec, exec, s[42:43]
	s_and_saveexec_b64 s[38:39], s[40:41]
	s_cbranch_execz .LBB4_14961
.LBB4_14960:                            ;   in Loop: Header=BB4_14063 Depth=3
	v_and_b32_e32 v25, 3, v2
	v_and_b32_e32 v28, 0x7c, v2
	v_cmp_eq_u32_e32 vcc, s85, v28
	v_ffbh_u32_e32 v28, v25
	v_min_u32_e32 v28, 32, v28
	v_mov_b32_e32 v3, v17
	v_subrev_u32_e32 v29, 29, v28
	v_bfe_u32 v27, v2, 2, 5
	v_lshlrev_b64 v[38:39], v29, v[2:3]
	v_cmp_eq_u32_e64 s[40:41], 0, v27
	v_sub_u32_e32 v3, 30, v28
	v_lshlrev_b32_e32 v2, 24, v2
	v_and_b32_e32 v28, 3, v38
	v_cndmask_b32_e64 v3, v27, v3, s[40:41]
	v_and_b32_e32 v2, 0x80000000, v2
	v_cndmask_b32_e64 v27, v25, v28, s[40:41]
	v_lshl_add_u32 v2, v3, 23, v2
	v_cmp_lt_i16_e64 s[42:43], -1, v1
	v_mov_b32_e32 v1, 0xff800000
	v_mov_b32_e32 v3, 0x7f800000
	v_lshl_or_b32 v2, v27, 21, v2
	v_cmp_eq_u32_e64 s[40:41], 0, v25
	v_cndmask_b32_e64 v1, v1, v3, s[42:43]
	v_mov_b32_e32 v3, 0x7f800001
	v_add_u32_e32 v2, 0x38000000, v2
	v_cndmask_b32_e64 v1, v3, v1, s[40:41]
	v_cndmask_b32_e32 v3, v2, v1, vcc
.LBB4_14961:                            ;   in Loop: Header=BB4_14063 Depth=3
	s_or_b64 exec, exec, s[38:39]
	v_add_f32_e32 v3, v22, v3
	v_and_b32_e32 v38, 0x7f800000, v3
	v_mov_b32_e32 v39, v17
	v_cmp_ne_u64_e32 vcc, s[76:77], v[38:39]
	v_and_b32_e32 v1, 0x7fffff, v3
	v_mov_b32_e32 v2, v17
                                        ; implicit-def: $vgpr22
	s_and_saveexec_b64 s[40:41], vcc
	s_xor_b64 s[42:43], exec, s[40:41]
	s_cbranch_execz .LBB4_14975
; %bb.14962:                            ;   in Loop: Header=BB4_14063 Depth=3
	v_and_b32_e32 v38, 0x7fffffff, v3
	v_mov_b32_e32 v39, v17
	v_cmp_gt_u64_e32 vcc, s[78:79], v[38:39]
	v_and_b32_sdwa v25, v3, s96 dst_sel:DWORD dst_unused:UNUSED_PAD src0_sel:BYTE_3 src1_sel:DWORD
                                        ; implicit-def: $vgpr22
	s_and_saveexec_b64 s[40:41], vcc
	s_xor_b64 s[38:39], exec, s[40:41]
	s_cbranch_execz .LBB4_14972
; %bb.14963:                            ;   in Loop: Header=BB4_14063 Depth=3
	v_mov_b32_e32 v22, 0
	v_cmp_ne_u32_e32 vcc, 0, v3
	s_and_saveexec_b64 s[48:49], vcc
	s_cbranch_execz .LBB4_14971
; %bb.14964:                            ;   in Loop: Header=BB4_14063 Depth=3
	v_bfe_u32 v22, v3, 23, 8
	v_cmp_gt_u32_e64 s[40:41], s46, v22
	v_sub_u32_e32 v3, 0x71, v22
	v_cmp_eq_u32_e32 vcc, 0, v22
	v_cndmask_b32_e64 v3, 0, v3, s[40:41]
	v_mov_b32_e32 v27, 0x70
	v_cndmask_b32_e32 v27, v3, v27, vcc
	v_add_u32_e32 v3, 21, v27
	v_or_b32_e32 v28, 0x800000, v1
	v_lshlrev_b64 v[38:39], v3, -1
	v_cndmask_b32_e32 v1, v28, v1, vcc
	v_add_u32_e32 v3, 20, v27
	v_bfi_b32 v38, v38, 0, v1
	v_lshlrev_b64 v[50:51], v3, 1
	v_lshrrev_b64 v[1:2], v27, v[1:2]
	v_bfi_b32 v39, v39, 0, 0
	v_cmp_eq_u64_e64 s[40:41], v[38:39], v[50:51]
	v_mov_b32_e32 v3, v2
	v_mov_b32_e32 v2, v1
	s_and_saveexec_b64 s[50:51], s[40:41]
; %bb.14965:                            ;   in Loop: Header=BB4_14063 Depth=3
	v_bfe_u32 v2, v1, 21, 1
	v_add_co_u32_e64 v2, s[40:41], v1, v2
	v_add_co_u32_e64 v2, s[40:41], -1, v2
; %bb.14966:                            ;   in Loop: Header=BB4_14063 Depth=3
	s_or_b64 exec, exec, s[50:51]
	v_add_u32_e32 v3, 0xffffff81, v22
	v_mov_b32_e32 v22, 0xffffff82
	v_cndmask_b32_e32 v3, v3, v22, vcc
	v_lshrrev_b32_e32 v22, 23, v1
	v_add3_u32 v27, v27, v3, v22
	v_add_u32_e32 v22, 14, v27
	v_and_b32_e32 v2, 0x1fffff, v2
	v_add_u32_e32 v1, v2, v1
	v_mov_b32_e32 v2, v17
	v_cmp_ne_u32_e32 vcc, 0, v22
                                        ; implicit-def: $vgpr3
	s_and_saveexec_b64 s[40:41], vcc
	s_xor_b64 s[40:41], exec, s[40:41]
; %bb.14967:                            ;   in Loop: Header=BB4_14063 Depth=3
	v_cmp_lt_u64_e32 vcc, s[88:89], v[1:2]
	v_add_u32_e32 v3, 15, v27
	v_cndmask_b32_e32 v3, v22, v3, vcc
	v_cndmask_b32_e64 v22, 0, 1, vcc
	v_lshrrev_b64 v[1:2], v22, v[1:2]
; %bb.14968:                            ;   in Loop: Header=BB4_14063 Depth=3
	s_andn2_saveexec_b64 s[40:41], s[40:41]
; %bb.14969:                            ;   in Loop: Header=BB4_14063 Depth=3
	v_bfe_u32 v3, v1, 23, 1
; %bb.14970:                            ;   in Loop: Header=BB4_14063 Depth=3
	s_or_b64 exec, exec, s[40:41]
	v_lshrrev_b64 v[1:2], 21, v[1:2]
	v_cmp_gt_i32_e32 vcc, 32, v3
	v_cndmask_b32_e32 v2, 0, v2, vcc
	v_cndmask_b32_e32 v1, 3, v1, vcc
	v_cmp_eq_u64_e64 s[40:41], 0, v[1:2]
	v_min_i32_e32 v2, 31, v3
	v_lshlrev_b32_e32 v2, 2, v2
	v_cmp_eq_u32_e32 vcc, 0, v3
	v_and_b32_e32 v2, 0xfc, v2
	v_and_or_b32 v1, v1, 3, v2
	s_and_b64 s[40:41], vcc, s[40:41]
	v_cndmask_b32_e64 v1, v1, 0, s[40:41]
	v_or_b32_e32 v22, v1, v25
.LBB4_14971:                            ;   in Loop: Header=BB4_14063 Depth=3
	s_or_b64 exec, exec, s[48:49]
                                        ; implicit-def: $vgpr25
.LBB4_14972:                            ;   in Loop: Header=BB4_14063 Depth=3
	s_andn2_saveexec_b64 s[40:41], s[38:39]
; %bb.14973:                            ;   in Loop: Header=BB4_14063 Depth=3
	v_or_b32_e32 v22, 0x7b, v25
; %bb.14974:                            ;   in Loop: Header=BB4_14063 Depth=3
	s_or_b64 exec, exec, s[40:41]
                                        ; implicit-def: $vgpr3
                                        ; implicit-def: $vgpr1_vgpr2
.LBB4_14975:                            ;   in Loop: Header=BB4_14063 Depth=3
	s_andn2_saveexec_b64 s[40:41], s[42:43]
	s_cbranch_execz .LBB4_14981
; %bb.14976:                            ;   in Loop: Header=BB4_14063 Depth=3
	v_cmp_ne_u64_e32 vcc, 0, v[1:2]
                                        ; implicit-def: $vgpr22
	s_and_saveexec_b64 s[42:43], vcc
	s_xor_b64 s[42:43], exec, s[42:43]
; %bb.14977:                            ;   in Loop: Header=BB4_14063 Depth=3
	v_or_b32_sdwa v22, v3, s47 dst_sel:DWORD dst_unused:UNUSED_PAD src0_sel:BYTE_3 src1_sel:DWORD
                                        ; implicit-def: $vgpr3
; %bb.14978:                            ;   in Loop: Header=BB4_14063 Depth=3
	s_andn2_saveexec_b64 s[42:43], s[42:43]
; %bb.14979:                            ;   in Loop: Header=BB4_14063 Depth=3
	v_cmp_lt_i32_e32 vcc, -1, v3
	v_bfrev_b32_e32 v1, 0.5
	v_cndmask_b32_e32 v22, v1, v52, vcc
; %bb.14980:                            ;   in Loop: Header=BB4_14063 Depth=3
	s_or_b64 exec, exec, s[42:43]
.LBB4_14981:                            ;   in Loop: Header=BB4_14063 Depth=3
	s_or_b64 exec, exec, s[40:41]
	v_and_b32_sdwa v3, v0, s87 dst_sel:DWORD dst_unused:UNUSED_PAD src0_sel:WORD_1 src1_sel:DWORD
	v_lshrrev_b32_e32 v1, 16, v0
	v_cmp_ne_u16_e32 vcc, 0, v3
	v_mov_b32_e32 v2, 0
	s_and_saveexec_b64 s[40:41], vcc
	s_cbranch_execz .LBB4_14989
; %bb.14982:                            ;   in Loop: Header=BB4_14063 Depth=3
	v_cmp_ne_u16_e32 vcc, s96, v3
	v_bfrev_b32_e32 v2, 1
	s_and_saveexec_b64 s[42:43], vcc
	s_cbranch_execz .LBB4_14988
; %bb.14983:                            ;   in Loop: Header=BB4_14063 Depth=3
	v_and_b32_e32 v2, 0x7c0000, v0
	v_bfe_u32 v3, v0, 16, 2
	v_cmp_ne_u32_e32 vcc, s44, v2
                                        ; implicit-def: $vgpr2
	s_and_saveexec_b64 s[38:39], vcc
	s_xor_b64 s[38:39], exec, s[38:39]
	s_cbranch_execz .LBB4_14985
; %bb.14984:                            ;   in Loop: Header=BB4_14063 Depth=3
	v_ffbh_u32_e32 v2, v3
	v_min_u32_e32 v27, 32, v2
	v_subrev_u32_e32 v2, 29, v27
	v_lshlrev_b64 v[1:2], v2, v[1:2]
	v_bfe_u32 v25, v0, 18, 5
	v_and_b32_e32 v1, 3, v1
	v_cmp_eq_u32_e32 vcc, 0, v25
	v_sub_u32_e32 v2, 30, v27
	v_cndmask_b32_e32 v1, v3, v1, vcc
	v_lshlrev_b32_e32 v3, 8, v0
	v_cndmask_b32_e32 v2, v25, v2, vcc
	v_and_b32_e32 v3, 0x80000000, v3
	v_lshl_add_u32 v2, v2, 23, v3
	v_lshl_or_b32 v1, v1, 21, v2
	v_add_u32_e32 v2, 0x38000000, v1
                                        ; implicit-def: $vgpr3
                                        ; implicit-def: $vgpr1
.LBB4_14985:                            ;   in Loop: Header=BB4_14063 Depth=3
	s_andn2_saveexec_b64 s[38:39], s[38:39]
; %bb.14986:                            ;   in Loop: Header=BB4_14063 Depth=3
	v_mov_b32_e32 v2, -1
	v_cmp_gt_i16_sdwa vcc, sext(v1), v2 src0_sel:BYTE_0 src1_sel:DWORD
	v_mov_b32_e32 v1, 0xff800000
	v_mov_b32_e32 v2, 0x7f800000
	v_cndmask_b32_e32 v1, v1, v2, vcc
	v_cmp_eq_u32_e32 vcc, 0, v3
	v_mov_b32_e32 v2, 0x7f800001
	v_cndmask_b32_e32 v2, v2, v1, vcc
; %bb.14987:                            ;   in Loop: Header=BB4_14063 Depth=3
	s_or_b64 exec, exec, s[38:39]
.LBB4_14988:                            ;   in Loop: Header=BB4_14063 Depth=3
	s_or_b64 exec, exec, s[42:43]
.LBB4_14989:                            ;   in Loop: Header=BB4_14063 Depth=3
	s_or_b64 exec, exec, s[40:41]
	v_lshrrev_b32_e32 v1, 16, v11
	v_cmp_gt_i16_sdwa s[42:43], v1, s47 src0_sel:BYTE_0 src1_sel:DWORD
	s_mov_b64 s[40:41], 0
	s_and_saveexec_b64 vcc, s[42:43]
	s_xor_b64 s[42:43], exec, vcc
	s_cbranch_execz .LBB4_15060
; %bb.14990:                            ;   in Loop: Header=BB4_14063 Depth=3
	v_cmp_eq_u16_sdwa s[38:39], v1, s96 src0_sel:BYTE_0 src1_sel:DWORD
	s_mov_b64 s[40:41], -1
	s_and_saveexec_b64 vcc, s[38:39]
; %bb.14991:                            ;   in Loop: Header=BB4_14063 Depth=3
	s_xor_b64 s[40:41], exec, -1
; %bb.14992:                            ;   in Loop: Header=BB4_14063 Depth=3
	s_or_b64 exec, exec, vcc
	s_and_b64 s[40:41], s[40:41], exec
	s_or_saveexec_b64 s[42:43], s[42:43]
	v_bfrev_b32_e32 v3, 1
	s_xor_b64 exec, exec, s[42:43]
	s_cbranch_execnz .LBB4_15061
.LBB4_14993:                            ;   in Loop: Header=BB4_14063 Depth=3
	s_or_b64 exec, exec, s[42:43]
	s_and_saveexec_b64 s[38:39], s[40:41]
	s_cbranch_execz .LBB4_14995
.LBB4_14994:                            ;   in Loop: Header=BB4_14063 Depth=3
	v_and_b32_e32 v3, 3, v1
	v_and_b32_e32 v27, 0x7c0000, v11
	v_cmp_eq_u32_e32 vcc, s44, v27
	v_ffbh_u32_e32 v27, v3
	v_min_u32_e32 v27, 32, v27
	v_subrev_u32_e32 v28, 29, v27
	v_lshlrev_b64 v[38:39], v28, v[1:2]
	v_bfe_u32 v25, v11, 18, 5
	v_cmp_eq_u32_e64 s[40:41], 0, v25
	v_sub_u32_e32 v27, 30, v27
	v_and_b32_e32 v28, 3, v38
	v_cndmask_b32_e64 v25, v25, v27, s[40:41]
	v_cndmask_b32_e64 v27, v3, v28, s[40:41]
	v_lshlrev_b32_e32 v28, 24, v1
	v_and_b32_e32 v28, 0x80000000, v28
	v_cmp_eq_u32_e64 s[40:41], 0, v3
	v_mov_b32_e32 v3, -1
	v_lshl_add_u32 v25, v25, 23, v28
	v_cmp_gt_i16_sdwa s[42:43], sext(v1), v3 src0_sel:BYTE_0 src1_sel:DWORD
	v_mov_b32_e32 v1, 0xff800000
	v_mov_b32_e32 v3, 0x7f800000
	v_lshl_or_b32 v25, v27, 21, v25
	v_cndmask_b32_e64 v1, v1, v3, s[42:43]
	v_mov_b32_e32 v3, 0x7f800001
	v_add_u32_e32 v25, 0x38000000, v25
	v_cndmask_b32_e64 v1, v3, v1, s[40:41]
	v_cndmask_b32_e32 v3, v25, v1, vcc
.LBB4_14995:                            ;   in Loop: Header=BB4_14063 Depth=3
	s_or_b64 exec, exec, s[38:39]
	v_add_f32_e32 v27, v2, v3
	v_and_b32_e32 v2, 0x7f800000, v27
	v_mov_b32_e32 v3, v17
	v_cmp_ne_u64_e32 vcc, s[76:77], v[2:3]
	v_and_b32_e32 v1, 0x7fffff, v27
	v_mov_b32_e32 v2, v17
                                        ; implicit-def: $vgpr3
	s_and_saveexec_b64 s[40:41], vcc
	s_xor_b64 s[42:43], exec, s[40:41]
	s_cbranch_execz .LBB4_15009
; %bb.14996:                            ;   in Loop: Header=BB4_14063 Depth=3
	v_and_b32_e32 v38, 0x7fffffff, v27
	v_mov_b32_e32 v39, v17
	v_cmp_gt_u64_e32 vcc, s[78:79], v[38:39]
	v_and_b32_sdwa v25, v27, s96 dst_sel:DWORD dst_unused:UNUSED_PAD src0_sel:BYTE_3 src1_sel:DWORD
                                        ; implicit-def: $vgpr3
	s_and_saveexec_b64 s[40:41], vcc
	s_xor_b64 s[38:39], exec, s[40:41]
	s_cbranch_execz .LBB4_15006
; %bb.14997:                            ;   in Loop: Header=BB4_14063 Depth=3
	v_mov_b32_e32 v3, 0
	v_cmp_ne_u32_e32 vcc, 0, v27
	s_and_saveexec_b64 s[48:49], vcc
	s_cbranch_execz .LBB4_15005
; %bb.14998:                            ;   in Loop: Header=BB4_14063 Depth=3
	v_bfe_u32 v27, v27, 23, 8
	v_cmp_gt_u32_e64 s[40:41], s46, v27
	v_sub_u32_e32 v3, 0x71, v27
	v_cmp_eq_u32_e32 vcc, 0, v27
	v_cndmask_b32_e64 v3, 0, v3, s[40:41]
	v_mov_b32_e32 v29, 0x70
	v_cndmask_b32_e32 v32, v3, v29, vcc
	v_add_u32_e32 v3, 21, v32
	v_or_b32_e32 v28, 0x800000, v1
	v_lshlrev_b64 v[38:39], v3, -1
	v_cndmask_b32_e32 v1, v28, v1, vcc
	v_add_u32_e32 v3, 20, v32
	v_bfi_b32 v38, v38, 0, v1
	v_lshlrev_b64 v[50:51], v3, 1
	v_lshrrev_b64 v[1:2], v32, v[1:2]
	v_bfi_b32 v39, v39, 0, 0
	v_cmp_eq_u64_e64 s[40:41], v[38:39], v[50:51]
	v_mov_b32_e32 v3, v2
	v_mov_b32_e32 v2, v1
	s_and_saveexec_b64 s[50:51], s[40:41]
; %bb.14999:                            ;   in Loop: Header=BB4_14063 Depth=3
	v_bfe_u32 v2, v1, 21, 1
	v_add_co_u32_e64 v2, s[40:41], v1, v2
	v_add_co_u32_e64 v2, s[40:41], -1, v2
; %bb.15000:                            ;   in Loop: Header=BB4_14063 Depth=3
	s_or_b64 exec, exec, s[50:51]
	v_add_u32_e32 v3, 0xffffff81, v27
	v_mov_b32_e32 v27, 0xffffff82
	v_cndmask_b32_e32 v3, v3, v27, vcc
	v_lshrrev_b32_e32 v27, 23, v1
	v_add3_u32 v32, v32, v3, v27
	v_add_u32_e32 v27, 14, v32
	v_and_b32_e32 v2, 0x1fffff, v2
	v_add_u32_e32 v1, v2, v1
	v_mov_b32_e32 v2, v17
	v_cmp_ne_u32_e32 vcc, 0, v27
                                        ; implicit-def: $vgpr3
	s_and_saveexec_b64 s[40:41], vcc
	s_xor_b64 s[40:41], exec, s[40:41]
; %bb.15001:                            ;   in Loop: Header=BB4_14063 Depth=3
	v_cmp_lt_u64_e32 vcc, s[88:89], v[1:2]
	v_add_u32_e32 v3, 15, v32
	v_cndmask_b32_e32 v3, v27, v3, vcc
	v_cndmask_b32_e64 v27, 0, 1, vcc
	v_lshrrev_b64 v[1:2], v27, v[1:2]
; %bb.15002:                            ;   in Loop: Header=BB4_14063 Depth=3
	s_andn2_saveexec_b64 s[40:41], s[40:41]
; %bb.15003:                            ;   in Loop: Header=BB4_14063 Depth=3
	v_bfe_u32 v3, v1, 23, 1
; %bb.15004:                            ;   in Loop: Header=BB4_14063 Depth=3
	s_or_b64 exec, exec, s[40:41]
	v_lshrrev_b64 v[1:2], 21, v[1:2]
	v_cmp_gt_i32_e32 vcc, 32, v3
	v_cndmask_b32_e32 v2, 0, v2, vcc
	v_cndmask_b32_e32 v1, 3, v1, vcc
	v_cmp_eq_u64_e64 s[40:41], 0, v[1:2]
	v_min_i32_e32 v2, 31, v3
	v_lshlrev_b32_e32 v2, 2, v2
	v_cmp_eq_u32_e32 vcc, 0, v3
	v_and_b32_e32 v2, 0xfc, v2
	v_and_or_b32 v1, v1, 3, v2
	s_and_b64 s[40:41], vcc, s[40:41]
	v_cndmask_b32_e64 v1, v1, 0, s[40:41]
	v_or_b32_e32 v3, v1, v25
.LBB4_15005:                            ;   in Loop: Header=BB4_14063 Depth=3
	s_or_b64 exec, exec, s[48:49]
                                        ; implicit-def: $vgpr25
.LBB4_15006:                            ;   in Loop: Header=BB4_14063 Depth=3
	s_andn2_saveexec_b64 s[40:41], s[38:39]
; %bb.15007:                            ;   in Loop: Header=BB4_14063 Depth=3
	v_or_b32_e32 v3, 0x7b, v25
; %bb.15008:                            ;   in Loop: Header=BB4_14063 Depth=3
	s_or_b64 exec, exec, s[40:41]
                                        ; implicit-def: $vgpr27
                                        ; implicit-def: $vgpr1_vgpr2
.LBB4_15009:                            ;   in Loop: Header=BB4_14063 Depth=3
	s_andn2_saveexec_b64 s[40:41], s[42:43]
	s_cbranch_execz .LBB4_15015
; %bb.15010:                            ;   in Loop: Header=BB4_14063 Depth=3
	v_cmp_ne_u64_e32 vcc, 0, v[1:2]
                                        ; implicit-def: $vgpr3
	s_and_saveexec_b64 s[42:43], vcc
	s_xor_b64 s[42:43], exec, s[42:43]
; %bb.15011:                            ;   in Loop: Header=BB4_14063 Depth=3
	v_or_b32_sdwa v3, v27, s47 dst_sel:DWORD dst_unused:UNUSED_PAD src0_sel:BYTE_3 src1_sel:DWORD
                                        ; implicit-def: $vgpr27
; %bb.15012:                            ;   in Loop: Header=BB4_14063 Depth=3
	s_andn2_saveexec_b64 s[42:43], s[42:43]
; %bb.15013:                            ;   in Loop: Header=BB4_14063 Depth=3
	v_cmp_lt_i32_e32 vcc, -1, v27
	v_bfrev_b32_e32 v1, 0.5
	v_cndmask_b32_e32 v3, v1, v52, vcc
; %bb.15014:                            ;   in Loop: Header=BB4_14063 Depth=3
	s_or_b64 exec, exec, s[42:43]
.LBB4_15015:                            ;   in Loop: Header=BB4_14063 Depth=3
	s_or_b64 exec, exec, s[40:41]
	v_cmp_lt_u32_e32 vcc, s57, v0
	v_mov_b32_e32 v2, 0
	s_and_saveexec_b64 s[40:41], vcc
	s_cbranch_execz .LBB4_15023
; %bb.15016:                            ;   in Loop: Header=BB4_14063 Depth=3
	v_lshrrev_b32_e32 v1, 24, v0
	v_cmp_ne_u32_e32 vcc, s96, v1
	v_bfrev_b32_e32 v2, 1
	s_and_saveexec_b64 s[42:43], vcc
	s_cbranch_execz .LBB4_15022
; %bb.15017:                            ;   in Loop: Header=BB4_14063 Depth=3
	v_and_b32_e32 v2, 0x7c000000, v0
	v_bfe_u32 v25, v0, 24, 2
	v_cmp_ne_u32_e32 vcc, s45, v2
                                        ; implicit-def: $vgpr2
	s_and_saveexec_b64 s[38:39], vcc
	s_xor_b64 s[38:39], exec, s[38:39]
	s_cbranch_execz .LBB4_15019
; %bb.15018:                            ;   in Loop: Header=BB4_14063 Depth=3
	v_ffbh_u32_e32 v2, v25
	v_min_u32_e32 v28, 32, v2
	v_subrev_u32_e32 v2, 29, v28
	v_bfe_u32 v27, v0, 26, 5
	v_lshlrev_b64 v[1:2], v2, v[1:2]
	v_sub_u32_e32 v2, 30, v28
	v_cmp_eq_u32_e32 vcc, 0, v27
	v_and_b32_e32 v1, 3, v1
	v_cndmask_b32_e32 v2, v27, v2, vcc
	v_and_b32_e32 v0, 0x80000000, v0
	v_cndmask_b32_e32 v1, v25, v1, vcc
	v_lshl_add_u32 v0, v2, 23, v0
	v_lshl_or_b32 v0, v1, 21, v0
	v_add_u32_e32 v2, 0x38000000, v0
                                        ; implicit-def: $vgpr25
                                        ; implicit-def: $vgpr0_vgpr1
.LBB4_15019:                            ;   in Loop: Header=BB4_14063 Depth=3
	s_andn2_saveexec_b64 s[38:39], s[38:39]
; %bb.15020:                            ;   in Loop: Header=BB4_14063 Depth=3
	v_cmp_lt_i32_e32 vcc, -1, v0
	v_mov_b32_e32 v0, 0xff800000
	v_mov_b32_e32 v1, 0x7f800000
	v_cndmask_b32_e32 v0, v0, v1, vcc
	v_cmp_eq_u32_e32 vcc, 0, v25
	v_mov_b32_e32 v1, 0x7f800001
	v_cndmask_b32_e32 v2, v1, v0, vcc
; %bb.15021:                            ;   in Loop: Header=BB4_14063 Depth=3
	s_or_b64 exec, exec, s[38:39]
.LBB4_15022:                            ;   in Loop: Header=BB4_14063 Depth=3
	s_or_b64 exec, exec, s[42:43]
.LBB4_15023:                            ;   in Loop: Header=BB4_14063 Depth=3
	s_or_b64 exec, exec, s[40:41]
	v_bfe_u32 v1, v11, 24, 2
	v_and_b32_e32 v27, 0x7c000000, v11
	v_cmp_eq_u32_e32 vcc, s45, v27
	v_ffbh_u32_e32 v27, v1
	v_min_u32_e32 v27, 32, v27
	v_lshrrev_b32_e32 v0, 24, v11
	v_subrev_u32_e32 v28, 29, v27
	v_lshlrev_b64 v[38:39], v28, v[0:1]
	v_bfe_u32 v25, v11, 26, 5
	v_cmp_eq_u32_e64 s[40:41], 0, v25
	v_sub_u32_e32 v27, 30, v27
	v_and_b32_e32 v28, 3, v38
	v_cndmask_b32_e64 v25, v25, v27, s[40:41]
	v_cndmask_b32_e64 v27, v1, v28, s[40:41]
	v_and_b32_e32 v28, 0x80000000, v11
	v_lshl_add_u32 v25, v25, 23, v28
	v_cmp_lt_i64_e64 s[42:43], -1, v[10:11]
	v_lshl_or_b32 v25, v27, 21, v25
	v_cmp_eq_u32_e64 s[40:41], 0, v1
	v_mov_b32_e32 v1, 0xff800000
	v_mov_b32_e32 v27, 0x7f800000
	v_cndmask_b32_e64 v1, v1, v27, s[42:43]
	v_mov_b32_e32 v27, 0x7f800001
	v_add_u32_e32 v25, 0x38000000, v25
	v_cndmask_b32_e64 v1, v27, v1, s[40:41]
	v_cndmask_b32_e32 v1, v25, v1, vcc
	v_cmp_ne_u32_e32 vcc, s96, v0
	v_bfrev_b32_e32 v0, 1
	v_cndmask_b32_e32 v0, v0, v1, vcc
	v_cmp_lt_u64_e32 vcc, s[56:57], v[10:11]
	v_mov_b32_e32 v39, v17
	v_cndmask_b32_e32 v0, 0, v0, vcc
	v_add_f32_e32 v11, v0, v2
	v_and_b32_e32 v38, 0x7f800000, v11
	v_cmp_ne_u64_e32 vcc, s[76:77], v[38:39]
	v_and_b32_e32 v0, 0x7fffff, v11
	v_mov_b32_e32 v1, v17
                                        ; implicit-def: $vgpr2
	s_and_saveexec_b64 s[40:41], vcc
	s_xor_b64 s[42:43], exec, s[40:41]
	s_cbranch_execz .LBB4_15037
; %bb.15024:                            ;   in Loop: Header=BB4_14063 Depth=3
	v_and_b32_e32 v38, 0x7fffffff, v11
	v_mov_b32_e32 v39, v17
	v_cmp_gt_u64_e32 vcc, s[78:79], v[38:39]
	v_and_b32_sdwa v10, v11, s96 dst_sel:DWORD dst_unused:UNUSED_PAD src0_sel:BYTE_3 src1_sel:DWORD
                                        ; implicit-def: $vgpr2
	s_and_saveexec_b64 s[40:41], vcc
	s_xor_b64 s[38:39], exec, s[40:41]
	s_cbranch_execz .LBB4_15034
; %bb.15025:                            ;   in Loop: Header=BB4_14063 Depth=3
	v_mov_b32_e32 v2, 0
	v_cmp_ne_u32_e32 vcc, 0, v11
	s_and_saveexec_b64 s[48:49], vcc
	s_cbranch_execz .LBB4_15033
; %bb.15026:                            ;   in Loop: Header=BB4_14063 Depth=3
	v_bfe_u32 v11, v11, 23, 8
	v_cmp_gt_u32_e64 s[40:41], s46, v11
	v_sub_u32_e32 v2, 0x71, v11
	v_cmp_eq_u32_e32 vcc, 0, v11
	v_cndmask_b32_e64 v2, 0, v2, s[40:41]
	v_mov_b32_e32 v25, 0x70
	v_cndmask_b32_e32 v25, v2, v25, vcc
	v_add_u32_e32 v2, 21, v25
	v_or_b32_e32 v27, 0x800000, v0
	v_lshlrev_b64 v[38:39], v2, -1
	v_cndmask_b32_e32 v0, v27, v0, vcc
	v_add_u32_e32 v2, 20, v25
	v_bfi_b32 v38, v38, 0, v0
	v_lshlrev_b64 v[50:51], v2, 1
	v_lshrrev_b64 v[0:1], v25, v[0:1]
	v_bfi_b32 v39, v39, 0, 0
	v_cmp_eq_u64_e64 s[40:41], v[38:39], v[50:51]
	v_mov_b32_e32 v2, v1
	v_mov_b32_e32 v1, v0
	s_and_saveexec_b64 s[50:51], s[40:41]
; %bb.15027:                            ;   in Loop: Header=BB4_14063 Depth=3
	v_bfe_u32 v1, v0, 21, 1
	v_add_co_u32_e64 v1, s[40:41], v0, v1
	v_add_co_u32_e64 v1, s[40:41], -1, v1
; %bb.15028:                            ;   in Loop: Header=BB4_14063 Depth=3
	s_or_b64 exec, exec, s[50:51]
	v_add_u32_e32 v2, 0xffffff81, v11
	v_mov_b32_e32 v11, 0xffffff82
	v_cndmask_b32_e32 v2, v2, v11, vcc
	v_lshrrev_b32_e32 v11, 23, v0
	v_add3_u32 v25, v25, v2, v11
	v_add_u32_e32 v11, 14, v25
	v_and_b32_e32 v1, 0x1fffff, v1
	v_add_u32_e32 v0, v1, v0
	v_mov_b32_e32 v1, v17
	v_cmp_ne_u32_e32 vcc, 0, v11
                                        ; implicit-def: $vgpr2
	s_and_saveexec_b64 s[40:41], vcc
	s_xor_b64 s[40:41], exec, s[40:41]
; %bb.15029:                            ;   in Loop: Header=BB4_14063 Depth=3
	v_cmp_lt_u64_e32 vcc, s[88:89], v[0:1]
	v_add_u32_e32 v2, 15, v25
	v_cndmask_b32_e32 v2, v11, v2, vcc
	v_cndmask_b32_e64 v11, 0, 1, vcc
	v_lshrrev_b64 v[0:1], v11, v[0:1]
; %bb.15030:                            ;   in Loop: Header=BB4_14063 Depth=3
	s_andn2_saveexec_b64 s[40:41], s[40:41]
; %bb.15031:                            ;   in Loop: Header=BB4_14063 Depth=3
	v_bfe_u32 v2, v0, 23, 1
; %bb.15032:                            ;   in Loop: Header=BB4_14063 Depth=3
	s_or_b64 exec, exec, s[40:41]
	v_lshrrev_b64 v[0:1], 21, v[0:1]
	v_cmp_gt_i32_e32 vcc, 32, v2
	v_cndmask_b32_e32 v1, 0, v1, vcc
	v_cndmask_b32_e32 v0, 3, v0, vcc
	v_cmp_eq_u64_e64 s[40:41], 0, v[0:1]
	v_min_i32_e32 v1, 31, v2
	v_lshlrev_b32_e32 v1, 2, v1
	v_cmp_eq_u32_e32 vcc, 0, v2
	v_and_b32_e32 v1, 0xfc, v1
	v_and_or_b32 v0, v0, 3, v1
	s_and_b64 s[40:41], vcc, s[40:41]
	v_cndmask_b32_e64 v0, v0, 0, s[40:41]
	v_or_b32_e32 v2, v0, v10
.LBB4_15033:                            ;   in Loop: Header=BB4_14063 Depth=3
	s_or_b64 exec, exec, s[48:49]
                                        ; implicit-def: $vgpr10
.LBB4_15034:                            ;   in Loop: Header=BB4_14063 Depth=3
	s_andn2_saveexec_b64 s[40:41], s[38:39]
; %bb.15035:                            ;   in Loop: Header=BB4_14063 Depth=3
	v_or_b32_e32 v2, 0x7b, v10
; %bb.15036:                            ;   in Loop: Header=BB4_14063 Depth=3
	s_or_b64 exec, exec, s[40:41]
                                        ; implicit-def: $vgpr11
                                        ; implicit-def: $vgpr0_vgpr1
.LBB4_15037:                            ;   in Loop: Header=BB4_14063 Depth=3
	s_andn2_saveexec_b64 s[40:41], s[42:43]
	s_cbranch_execz .LBB4_14062
; %bb.15038:                            ;   in Loop: Header=BB4_14063 Depth=3
	v_cmp_ne_u64_e32 vcc, 0, v[0:1]
                                        ; implicit-def: $vgpr2
	s_and_saveexec_b64 s[42:43], vcc
	s_xor_b64 s[42:43], exec, s[42:43]
; %bb.15039:                            ;   in Loop: Header=BB4_14063 Depth=3
	v_or_b32_sdwa v2, v11, s47 dst_sel:DWORD dst_unused:UNUSED_PAD src0_sel:BYTE_3 src1_sel:DWORD
                                        ; implicit-def: $vgpr11
; %bb.15040:                            ;   in Loop: Header=BB4_14063 Depth=3
	s_andn2_saveexec_b64 s[42:43], s[42:43]
	s_cbranch_execz .LBB4_14061
; %bb.15041:                            ;   in Loop: Header=BB4_14063 Depth=3
	v_cmp_lt_i32_e32 vcc, -1, v11
	v_bfrev_b32_e32 v0, 0.5
	v_cndmask_b32_e32 v2, v0, v52, vcc
	s_branch .LBB4_14061
.LBB4_15042:                            ;   in Loop: Header=BB4_14063 Depth=3
	s_or_saveexec_b64 s[42:43], s[42:43]
	v_bfrev_b32_e32 v1, 1
	s_xor_b64 exec, exec, s[42:43]
	s_cbranch_execz .LBB4_14531
.LBB4_15043:                            ;   in Loop: Header=BB4_14063 Depth=3
	v_cmp_ne_u16_sdwa vcc, v8, v17 src0_sel:BYTE_0 src1_sel:DWORD
	s_andn2_b64 s[40:41], s[40:41], exec
	s_and_b64 vcc, vcc, exec
	v_mov_b32_e32 v1, 0
	s_or_b64 s[40:41], s[40:41], vcc
	s_or_b64 exec, exec, s[42:43]
	s_and_saveexec_b64 s[38:39], s[40:41]
	s_cbranch_execnz .LBB4_14532
	s_branch .LBB4_14533
.LBB4_15044:                            ;   in Loop: Header=BB4_14063 Depth=3
	s_or_saveexec_b64 s[42:43], s[42:43]
	v_bfrev_b32_e32 v2, 1
	s_xor_b64 exec, exec, s[42:43]
	s_cbranch_execz .LBB4_14565
.LBB4_15045:                            ;   in Loop: Header=BB4_14063 Depth=3
	v_cmp_ne_u16_e32 vcc, 0, v1
	s_andn2_b64 s[40:41], s[40:41], exec
	s_and_b64 vcc, vcc, exec
	v_mov_b32_e32 v2, 0
	s_or_b64 s[40:41], s[40:41], vcc
	s_or_b64 exec, exec, s[42:43]
	s_and_saveexec_b64 s[38:39], s[40:41]
	s_cbranch_execnz .LBB4_14566
	s_branch .LBB4_14567
.LBB4_15046:                            ;   in Loop: Header=BB4_14063 Depth=3
	s_or_saveexec_b64 s[42:43], s[42:43]
	v_bfrev_b32_e32 v3, 1
	s_xor_b64 exec, exec, s[42:43]
	s_cbranch_execz .LBB4_14599
.LBB4_15047:                            ;   in Loop: Header=BB4_14063 Depth=3
	v_cmp_ne_u16_sdwa vcc, v1, v17 src0_sel:BYTE_0 src1_sel:DWORD
	s_andn2_b64 s[40:41], s[40:41], exec
	s_and_b64 vcc, vcc, exec
	v_mov_b32_e32 v3, 0
	s_or_b64 s[40:41], s[40:41], vcc
	s_or_b64 exec, exec, s[42:43]
	s_and_saveexec_b64 s[38:39], s[40:41]
	s_cbranch_execnz .LBB4_14600
	s_branch .LBB4_14601
.LBB4_15048:                            ;   in Loop: Header=BB4_14063 Depth=3
	s_or_saveexec_b64 s[42:43], s[42:43]
	v_bfrev_b32_e32 v3, 1
	s_xor_b64 exec, exec, s[42:43]
	s_cbranch_execz .LBB4_14697
.LBB4_15049:                            ;   in Loop: Header=BB4_14063 Depth=3
	v_cmp_ne_u16_e32 vcc, 0, v2
	s_andn2_b64 s[40:41], s[40:41], exec
	s_and_b64 vcc, vcc, exec
	v_mov_b32_e32 v3, 0
	s_or_b64 s[40:41], s[40:41], vcc
	s_or_b64 exec, exec, s[42:43]
	s_and_saveexec_b64 s[38:39], s[40:41]
	s_cbranch_execnz .LBB4_14698
	s_branch .LBB4_14699
.LBB4_15050:                            ;   in Loop: Header=BB4_14063 Depth=3
	s_or_saveexec_b64 s[42:43], s[42:43]
	v_bfrev_b32_e32 v3, 1
	s_xor_b64 exec, exec, s[42:43]
	s_cbranch_execz .LBB4_14731
.LBB4_15051:                            ;   in Loop: Header=BB4_14063 Depth=3
	v_cmp_ne_u16_sdwa vcc, v1, v17 src0_sel:BYTE_0 src1_sel:DWORD
	s_andn2_b64 s[40:41], s[40:41], exec
	s_and_b64 vcc, vcc, exec
	v_mov_b32_e32 v3, 0
	s_or_b64 s[40:41], s[40:41], vcc
	s_or_b64 exec, exec, s[42:43]
	s_and_saveexec_b64 s[38:39], s[40:41]
	s_cbranch_execnz .LBB4_14732
	s_branch .LBB4_14733
.LBB4_15052:                            ;   in Loop: Header=BB4_14063 Depth=3
	s_or_saveexec_b64 s[42:43], s[42:43]
	v_bfrev_b32_e32 v1, 1
	s_xor_b64 exec, exec, s[42:43]
	s_cbranch_execz .LBB4_14793
.LBB4_15053:                            ;   in Loop: Header=BB4_14063 Depth=3
	v_cmp_ne_u16_sdwa vcc, v10, v17 src0_sel:BYTE_0 src1_sel:DWORD
	s_andn2_b64 s[40:41], s[40:41], exec
	s_and_b64 vcc, vcc, exec
	v_mov_b32_e32 v1, 0
	s_or_b64 s[40:41], s[40:41], vcc
	s_or_b64 exec, exec, s[42:43]
	s_and_saveexec_b64 s[38:39], s[40:41]
	s_cbranch_execnz .LBB4_14794
	s_branch .LBB4_14795
.LBB4_15054:                            ;   in Loop: Header=BB4_14063 Depth=3
	s_or_saveexec_b64 s[42:43], s[42:43]
	v_bfrev_b32_e32 v2, 1
	s_xor_b64 exec, exec, s[42:43]
	s_cbranch_execz .LBB4_14827
.LBB4_15055:                            ;   in Loop: Header=BB4_14063 Depth=3
	v_cmp_ne_u16_e32 vcc, 0, v1
	s_andn2_b64 s[40:41], s[40:41], exec
	s_and_b64 vcc, vcc, exec
	v_mov_b32_e32 v2, 0
	s_or_b64 s[40:41], s[40:41], vcc
	s_or_b64 exec, exec, s[42:43]
	s_and_saveexec_b64 s[38:39], s[40:41]
	s_cbranch_execnz .LBB4_14828
	s_branch .LBB4_14829
.LBB4_15056:                            ;   in Loop: Header=BB4_14063 Depth=3
	s_or_saveexec_b64 s[42:43], s[42:43]
	v_bfrev_b32_e32 v3, 1
	s_xor_b64 exec, exec, s[42:43]
	s_cbranch_execz .LBB4_14861
.LBB4_15057:                            ;   in Loop: Header=BB4_14063 Depth=3
	v_cmp_ne_u16_sdwa vcc, v1, v17 src0_sel:BYTE_0 src1_sel:DWORD
	s_andn2_b64 s[40:41], s[40:41], exec
	s_and_b64 vcc, vcc, exec
	v_mov_b32_e32 v3, 0
	s_or_b64 s[40:41], s[40:41], vcc
	s_or_b64 exec, exec, s[42:43]
	s_and_saveexec_b64 s[38:39], s[40:41]
	s_cbranch_execnz .LBB4_14862
	s_branch .LBB4_14863
.LBB4_15058:                            ;   in Loop: Header=BB4_14063 Depth=3
	s_or_saveexec_b64 s[42:43], s[42:43]
	v_bfrev_b32_e32 v3, 1
	s_xor_b64 exec, exec, s[42:43]
	s_cbranch_execz .LBB4_14959
.LBB4_15059:                            ;   in Loop: Header=BB4_14063 Depth=3
	v_cmp_ne_u16_e32 vcc, 0, v2
	s_andn2_b64 s[40:41], s[40:41], exec
	s_and_b64 vcc, vcc, exec
	v_mov_b32_e32 v3, 0
	s_or_b64 s[40:41], s[40:41], vcc
	s_or_b64 exec, exec, s[42:43]
	s_and_saveexec_b64 s[38:39], s[40:41]
	s_cbranch_execnz .LBB4_14960
	s_branch .LBB4_14961
.LBB4_15060:                            ;   in Loop: Header=BB4_14063 Depth=3
	s_or_saveexec_b64 s[42:43], s[42:43]
	v_bfrev_b32_e32 v3, 1
	s_xor_b64 exec, exec, s[42:43]
	s_cbranch_execz .LBB4_14993
.LBB4_15061:                            ;   in Loop: Header=BB4_14063 Depth=3
	v_cmp_ne_u16_sdwa vcc, v1, v17 src0_sel:BYTE_0 src1_sel:DWORD
	s_andn2_b64 s[40:41], s[40:41], exec
	s_and_b64 vcc, vcc, exec
	v_mov_b32_e32 v3, 0
	s_or_b64 s[40:41], s[40:41], vcc
	s_or_b64 exec, exec, s[42:43]
	s_and_saveexec_b64 s[38:39], s[40:41]
	s_cbranch_execnz .LBB4_14994
	s_branch .LBB4_14995
.LBB4_15062:                            ;   in Loop: Header=BB4_7595 Depth=2
	s_or_b64 exec, exec, s[36:37]
.LBB4_15063:                            ;   in Loop: Header=BB4_7595 Depth=2
	s_or_b64 exec, exec, s[34:35]
	buffer_load_dword v0, off, s[0:3], s33 offset:204 ; 4-byte Folded Reload
	v_cmp_lt_i32_e32 vcc, 0, v18
	s_waitcnt vmcnt(0)
	v_and_b32_e32 v0, 15, v0
	v_sub_u32_e32 v1, v16, v0
	v_cndmask_b32_e64 v23, v16, v0, s[28:29]
	buffer_load_dword v0, off, s[0:3], s33 offset:92 ; 4-byte Folded Reload
	v_cndmask_b32_e64 v1, 0, v1, s[28:29]
	v_add3_u32 v29, v7, v5, v1
	s_waitcnt vmcnt(0)
	v_cndmask_b32_e32 v0, 0, v0, vcc
	v_sub_u32_e32 v0, v0, v18
	v_cmp_ne_u32_e32 vcc, 0, v23
	v_lshl_add_u32 v2, v0, 6, v6
	s_and_b64 s[28:29], vcc, exec
.LBB4_15064:                            ;   in Loop: Header=BB4_7595 Depth=2
	s_or_b64 exec, exec, s[30:31]
	s_and_saveexec_b64 s[40:41], s[28:29]
	s_cbranch_execz .LBB4_16309
.LBB4_15065:                            ;   in Loop: Header=BB4_7595 Depth=2
	s_waitcnt vmcnt(0)
	v_ashrrev_i32_e32 v0, 31, v2
	v_ashrrev_i32_e32 v1, 31, v23
	v_lshrrev_b32_e32 v0, 26, v0
	v_lshrrev_b32_e32 v1, 22, v1
	v_add_u32_e32 v0, v2, v0
	v_add_u32_e32 v1, v23, v1
	v_ashrrev_i32_e32 v3, 6, v0
	v_ashrrev_i32_e32 v1, 10, v1
	v_sub_u32_e32 v22, v1, v3
	v_cmp_lt_i32_e32 vcc, 0, v22
	s_and_saveexec_b64 s[42:43], vcc
	s_cbranch_execz .LBB4_16227
; %bb.15066:                            ;   in Loop: Header=BB4_7595 Depth=2
	v_and_b32_e32 v0, 0xffffffc0, v0
	buffer_store_dword v1, off, s[0:3], s33 offset:264 ; 4-byte Folded Spill
	v_sub_u32_e32 v0, v2, v0
	v_lshlrev_b32_e32 v1, 10, v3
	buffer_store_dword v2, off, s[0:3], s33 offset:252 ; 4-byte Folded Spill
	buffer_store_dword v3, off, s[0:3], s33 offset:260 ; 4-byte Folded Spill
	v_add3_u32 v2, v29, v0, v1
	s_trap 2
	ds_read_b64 v[0:1], v0
	buffer_load_dword v4, off, s[0:3], s33 offset:212 ; 4-byte Folded Reload
	buffer_load_dword v5, off, s[0:3], s33 offset:216 ; 4-byte Folded Reload
	v_ashrrev_i32_e32 v3, 31, v2
	s_mov_b64 s[30:31], 0
	s_waitcnt vmcnt(0)
	v_add_co_u32_e32 v8, vcc, v2, v4
	v_addc_co_u32_e32 v9, vcc, v3, v5, vcc
	s_waitcnt lgkmcnt(0)
	v_add_co_u32_e32 v10, vcc, v0, v2
	v_addc_co_u32_e32 v11, vcc, v1, v3, vcc
	buffer_load_dword v0, off, s[0:3], s33 offset:228 ; 4-byte Folded Reload
	buffer_load_dword v1, off, s[0:3], s33 offset:232 ; 4-byte Folded Reload
	s_waitcnt vmcnt(1)
	v_add_co_u32_e32 v0, vcc, 0x3c0, v0
	s_waitcnt vmcnt(0)
	v_addc_co_u32_e32 v1, vcc, 0, v1, vcc
	v_add_co_u32_e32 v12, vcc, v0, v2
	v_addc_co_u32_e32 v13, vcc, v1, v3, vcc
	s_branch .LBB4_15069
.LBB4_15067:                            ;   in Loop: Header=BB4_15069 Depth=3
	s_or_b64 exec, exec, s[34:35]
.LBB4_15068:                            ;   in Loop: Header=BB4_15069 Depth=3
	s_or_b64 exec, exec, s[28:29]
	v_add_co_u32_e32 v0, vcc, 0xfffffc40, v12
	v_addc_co_u32_e32 v1, vcc, -1, v13, vcc
	flat_store_byte v[0:1], v50 glc slc
	v_add_co_u32_e32 v0, vcc, 0xfffffc80, v12
	v_addc_co_u32_e32 v1, vcc, -1, v13, vcc
	flat_store_byte v[0:1], v33 glc slc
	;; [unrolled: 3-line block ×15, first 2 shown]
	flat_store_byte v[12:13], v2 glc slc
	buffer_load_dword v1, off, s[0:3], s33 offset:96 ; 4-byte Folded Reload
	s_nop 0
	buffer_load_dword v0, off, s[0:3], s33 offset:92 ; 4-byte Folded Reload
	s_waitcnt vmcnt(0)
	v_add_co_u32_e32 v8, vcc, v8, v1
	v_addc_co_u32_e32 v9, vcc, 0, v9, vcc
	v_add_co_u32_e32 v10, vcc, v10, v1
	v_addc_co_u32_e32 v11, vcc, 0, v11, vcc
	v_sub_u32_e32 v22, v22, v0
	v_cmp_gt_i32_e32 vcc, 1, v22
	s_or_b64 s[30:31], vcc, s[30:31]
	v_add_co_u32_e32 v12, vcc, v12, v1
	v_addc_co_u32_e32 v13, vcc, 0, v13, vcc
	s_andn2_b64 exec, exec, s[30:31]
	s_cbranch_execz .LBB4_16226
.LBB4_15069:                            ;   Parent Loop BB4_47 Depth=1
                                        ;     Parent Loop BB4_7595 Depth=2
                                        ; =>    This Inner Loop Header: Depth=3
	s_trap 2
	ds_read_b64 v[0:1], v0
	v_mov_b32_e32 v7, 0
	s_waitcnt lgkmcnt(0)
	v_cmp_eq_u32_sdwa vcc, v0, v17 src0_sel:BYTE_0 src1_sel:DWORD
	v_readfirstlane_b32 s28, v0
	v_readfirstlane_b32 s29, v1
	v_mov_b32_e32 v1, 0
	s_and_b64 vcc, exec, vcc
	s_cbranch_vccnz .LBB4_15075
; %bb.15070:                            ;   in Loop: Header=BB4_15069 Depth=3
	s_bfe_i32 s35, s28, 0x80000
	s_and_b32 vcc_lo, 0xffff, s35
	s_cmpk_eq_u32 vcc_lo, 0xff80
	v_bfrev_b32_e32 v7, 1
	s_cbranch_scc1 .LBB4_15075
; %bb.15071:                            ;   in Loop: Header=BB4_15069 Depth=3
	s_and_b32 s34, s28, 3
	s_and_b32 s36, s28, 0x7c
	s_mov_b64 vcc, -1
	s_cmpk_lg_i32 s36, 0x7c
	s_sext_i32_i16 s35, s35
                                        ; implicit-def: $sgpr36
	s_cbranch_scc0 .LBB4_15073
; %bb.15072:                            ;   in Loop: Header=BB4_15069 Depth=3
	s_flbit_i32_b32 vcc_hi, s34
	s_min_u32 vcc_hi, vcc_hi, 32
	s_sub_i32 s36, vcc_hi, 29
	s_bfe_u32 vcc_lo, s28, 0x50002
	s_lshl_b64 s[28:29], s[28:29], s36
	s_sub_i32 s29, 30, vcc_hi
	s_and_b32 s28, s28, 3
	s_cmp_eq_u32 vcc_lo, 0
	s_cselect_b32 s29, s29, vcc_lo
	s_cselect_b32 s28, s28, s34
	s_and_b32 vcc_lo, s35, 0x80000000
	s_lshl_b32 s29, s29, 23
	s_add_i32 s29, s29, vcc_lo
	s_lshl_b32 s28, s28, 21
	s_or_b32 s28, s29, s28
	s_add_i32 s36, s28, 0x38000000
	s_mov_b64 vcc, 0
.LBB4_15073:                            ;   in Loop: Header=BB4_15069 Depth=3
	s_andn2_b64 vcc, exec, vcc
	v_mov_b32_e32 v7, s36
	s_cbranch_vccnz .LBB4_15075
; %bb.15074:                            ;   in Loop: Header=BB4_15069 Depth=3
	s_cmp_eq_u32 s34, 0
	s_cselect_b64 vcc, -1, 0
	s_cmp_gt_i32 s35, -1
	s_cselect_b64 s[28:29], -1, 0
	v_mov_b32_e32 v0, 0xff800000
	v_mov_b32_e32 v2, 0x7f800000
	v_cndmask_b32_e64 v0, v0, v2, s[28:29]
	v_mov_b32_e32 v2, 0x7f800001
	v_cndmask_b32_e32 v7, v2, v0, vcc
.LBB4_15075:                            ;   in Loop: Header=BB4_15069 Depth=3
	flat_load_sbyte v0, v[8:9] glc slc
	s_waitcnt vmcnt(0) lgkmcnt(0)
	v_cmp_ne_u16_e32 vcc, 0, v0
	s_and_saveexec_b64 s[28:29], vcc
	s_cbranch_execz .LBB4_15083
; %bb.15076:                            ;   in Loop: Header=BB4_15069 Depth=3
	v_cmp_ne_u16_e32 vcc, s97, v0
	v_bfrev_b32_e32 v1, 1
	s_and_saveexec_b64 s[34:35], vcc
	s_cbranch_execz .LBB4_15082
; %bb.15077:                            ;   in Loop: Header=BB4_15069 Depth=3
	v_and_b32_e32 v1, 0x7c, v0
	v_and_b32_e32 v2, 3, v0
	v_cmp_ne_u32_e32 vcc, s85, v1
                                        ; implicit-def: $vgpr1
	s_and_saveexec_b64 s[36:37], vcc
	s_xor_b64 s[36:37], exec, s[36:37]
	s_cbranch_execz .LBB4_15079
; %bb.15078:                            ;   in Loop: Header=BB4_15069 Depth=3
	v_and_b32_e32 v3, 0xff, v0
	v_bfe_u32 v5, v3, 2, 5
	v_ffbh_u32_e32 v3, v2
	v_min_u32_e32 v6, 32, v3
	v_mov_b32_e32 v1, v17
	v_subrev_u32_e32 v3, 29, v6
	v_lshlrev_b64 v[3:4], v3, v[0:1]
	v_sub_u32_e32 v1, 30, v6
	v_cmp_eq_u32_e32 vcc, 0, v5
	v_and_b32_e32 v3, 3, v3
	v_cndmask_b32_e32 v1, v5, v1, vcc
	v_and_b32_sdwa v0, sext(v0), s86 dst_sel:DWORD dst_unused:UNUSED_PAD src0_sel:WORD_0 src1_sel:DWORD
	v_cndmask_b32_e32 v2, v2, v3, vcc
	v_lshl_add_u32 v0, v1, 23, v0
	v_lshl_or_b32 v0, v2, 21, v0
	v_add_u32_e32 v1, 0x38000000, v0
                                        ; implicit-def: $vgpr2
                                        ; implicit-def: $vgpr0
.LBB4_15079:                            ;   in Loop: Header=BB4_15069 Depth=3
	s_andn2_saveexec_b64 s[36:37], s[36:37]
; %bb.15080:                            ;   in Loop: Header=BB4_15069 Depth=3
	v_cmp_lt_i16_e32 vcc, -1, v0
	v_mov_b32_e32 v0, 0xff800000
	v_mov_b32_e32 v1, 0x7f800000
	v_cndmask_b32_e32 v0, v0, v1, vcc
	v_cmp_eq_u32_e32 vcc, 0, v2
	v_mov_b32_e32 v1, 0x7f800001
	v_cndmask_b32_e32 v1, v1, v0, vcc
; %bb.15081:                            ;   in Loop: Header=BB4_15069 Depth=3
	s_or_b64 exec, exec, s[36:37]
.LBB4_15082:                            ;   in Loop: Header=BB4_15069 Depth=3
	s_or_b64 exec, exec, s[34:35]
.LBB4_15083:                            ;   in Loop: Header=BB4_15069 Depth=3
	s_or_b64 exec, exec, s[28:29]
	v_mul_f32_e32 v2, v7, v1
	v_and_b32_e32 v3, 0x7f800000, v2
	v_mov_b32_e32 v4, v17
	v_cmp_ne_u64_e32 vcc, s[76:77], v[3:4]
	v_and_b32_e32 v0, 0x7fffff, v2
	v_mov_b32_e32 v1, v17
                                        ; implicit-def: $vgpr50
	s_and_saveexec_b64 s[28:29], vcc
	s_xor_b64 s[34:35], exec, s[28:29]
	s_cbranch_execz .LBB4_15101
; %bb.15084:                            ;   in Loop: Header=BB4_15069 Depth=3
	v_and_b32_e32 v3, 0x7fffffff, v2
	v_mov_b32_e32 v4, v17
	v_cmp_gt_u64_e32 vcc, s[78:79], v[3:4]
	v_and_b32_sdwa v3, v2, s96 dst_sel:DWORD dst_unused:UNUSED_PAD src0_sel:BYTE_3 src1_sel:DWORD
                                        ; implicit-def: $vgpr50
	s_and_saveexec_b64 s[28:29], vcc
	s_xor_b64 s[36:37], exec, s[28:29]
	s_cbranch_execz .LBB4_15098
; %bb.15085:                            ;   in Loop: Header=BB4_15069 Depth=3
	v_cmp_ne_u32_e32 vcc, 0, v2
	v_mov_b32_e32 v50, 0
	s_and_saveexec_b64 s[38:39], vcc
	s_cbranch_execz .LBB4_15097
; %bb.15086:                            ;   in Loop: Header=BB4_15069 Depth=3
	v_bfe_u32 v4, v2, 23, 8
	v_cmp_gt_u32_e64 s[28:29], s46, v4
	v_sub_u32_e32 v2, 0x71, v4
	v_cmp_eq_u32_e32 vcc, 0, v4
	v_cndmask_b32_e64 v2, 0, v2, s[28:29]
	v_mov_b32_e32 v5, 0x70
	v_cndmask_b32_e32 v5, v2, v5, vcc
	v_add_u32_e32 v2, 21, v5
	v_or_b32_e32 v6, 0x800000, v0
	v_lshlrev_b64 v[14:15], v2, -1
	v_cndmask_b32_e32 v0, v6, v0, vcc
	v_add_u32_e32 v2, 20, v5
	v_bfi_b32 v14, v14, 0, v0
	v_lshlrev_b64 v[18:19], v2, 1
	v_lshrrev_b64 v[0:1], v5, v[0:1]
	v_bfi_b32 v15, v15, 0, 0
	v_cmp_eq_u64_e64 s[28:29], v[14:15], v[18:19]
	v_mov_b32_e32 v2, v1
	v_mov_b32_e32 v1, v0
	s_and_saveexec_b64 s[48:49], s[28:29]
; %bb.15087:                            ;   in Loop: Header=BB4_15069 Depth=3
	v_bfe_u32 v1, v0, 21, 1
	v_add_co_u32_e64 v1, s[28:29], v0, v1
	v_add_co_u32_e64 v1, s[28:29], -1, v1
; %bb.15088:                            ;   in Loop: Header=BB4_15069 Depth=3
	s_or_b64 exec, exec, s[48:49]
	v_add_u32_e32 v2, 0xffffff81, v4
	v_mov_b32_e32 v4, 0xffffff82
	v_cndmask_b32_e32 v2, v2, v4, vcc
	v_lshrrev_b32_e32 v4, 23, v0
	v_add3_u32 v5, v5, v2, v4
	v_add_u32_e32 v4, 14, v5
	v_and_b32_e32 v1, 0x1fffff, v1
	v_add_u32_e32 v0, v1, v0
	v_mov_b32_e32 v1, v17
	v_cmp_ne_u32_e32 vcc, 0, v4
                                        ; implicit-def: $vgpr2
	s_and_saveexec_b64 s[28:29], vcc
	s_xor_b64 s[28:29], exec, s[28:29]
; %bb.15089:                            ;   in Loop: Header=BB4_15069 Depth=3
	v_cmp_lt_u64_e32 vcc, s[88:89], v[0:1]
	v_add_u32_e32 v2, 15, v5
	v_cndmask_b32_e32 v2, v4, v2, vcc
	v_cndmask_b32_e64 v4, 0, 1, vcc
	v_lshrrev_b64 v[0:1], v4, v[0:1]
; %bb.15090:                            ;   in Loop: Header=BB4_15069 Depth=3
	s_andn2_saveexec_b64 s[28:29], s[28:29]
; %bb.15091:                            ;   in Loop: Header=BB4_15069 Depth=3
	v_bfe_u32 v2, v0, 23, 1
; %bb.15092:                            ;   in Loop: Header=BB4_15069 Depth=3
	s_or_b64 exec, exec, s[28:29]
	v_lshrrev_b64 v[0:1], 21, v[0:1]
	v_cmp_gt_i32_e32 vcc, 32, v2
	v_cndmask_b32_e32 v1, 0, v1, vcc
	v_cndmask_b32_e32 v0, 3, v0, vcc
	v_cmp_ne_u64_e32 vcc, 0, v[0:1]
	v_cmp_ne_u32_e64 s[28:29], 0, v2
	s_or_b64 s[28:29], s[28:29], vcc
                                        ; implicit-def: $vgpr50
	s_and_saveexec_b64 vcc, s[28:29]
	s_xor_b64 s[28:29], exec, vcc
; %bb.15093:                            ;   in Loop: Header=BB4_15069 Depth=3
	v_min_i32_e32 v1, 31, v2
	v_lshl_or_b32 v1, v1, 2, v3
	v_and_or_b32 v50, v0, 3, v1
                                        ; implicit-def: $vgpr3
; %bb.15094:                            ;   in Loop: Header=BB4_15069 Depth=3
	s_andn2_saveexec_b64 s[28:29], s[28:29]
; %bb.15095:                            ;   in Loop: Header=BB4_15069 Depth=3
	v_mov_b32_e32 v50, v3
; %bb.15096:                            ;   in Loop: Header=BB4_15069 Depth=3
	s_or_b64 exec, exec, s[28:29]
.LBB4_15097:                            ;   in Loop: Header=BB4_15069 Depth=3
	s_or_b64 exec, exec, s[38:39]
                                        ; implicit-def: $vgpr3
.LBB4_15098:                            ;   in Loop: Header=BB4_15069 Depth=3
	s_andn2_saveexec_b64 s[28:29], s[36:37]
; %bb.15099:                            ;   in Loop: Header=BB4_15069 Depth=3
	v_or_b32_e32 v50, 0x7b, v3
; %bb.15100:                            ;   in Loop: Header=BB4_15069 Depth=3
	s_or_b64 exec, exec, s[28:29]
                                        ; implicit-def: $vgpr2
                                        ; implicit-def: $vgpr0_vgpr1
.LBB4_15101:                            ;   in Loop: Header=BB4_15069 Depth=3
	s_andn2_saveexec_b64 s[28:29], s[34:35]
	s_cbranch_execz .LBB4_15107
; %bb.15102:                            ;   in Loop: Header=BB4_15069 Depth=3
	v_cmp_ne_u64_e32 vcc, 0, v[0:1]
                                        ; implicit-def: $vgpr50
	s_and_saveexec_b64 s[34:35], vcc
	s_xor_b64 vcc, exec, s[34:35]
; %bb.15103:                            ;   in Loop: Header=BB4_15069 Depth=3
	v_or_b32_sdwa v50, v2, s47 dst_sel:DWORD dst_unused:UNUSED_PAD src0_sel:BYTE_3 src1_sel:DWORD
                                        ; implicit-def: $vgpr2
; %bb.15104:                            ;   in Loop: Header=BB4_15069 Depth=3
	s_andn2_saveexec_b64 s[34:35], vcc
; %bb.15105:                            ;   in Loop: Header=BB4_15069 Depth=3
	v_cmp_lt_i32_e32 vcc, -1, v2
	v_cndmask_b32_e32 v50, -4, v52, vcc
; %bb.15106:                            ;   in Loop: Header=BB4_15069 Depth=3
	s_or_b64 exec, exec, s[34:35]
.LBB4_15107:                            ;   in Loop: Header=BB4_15069 Depth=3
	s_or_b64 exec, exec, s[28:29]
	flat_load_sbyte v0, v[8:9] offset:64 glc slc
	v_mov_b32_e32 v1, 0
	s_waitcnt vmcnt(0) lgkmcnt(0)
	v_cmp_ne_u16_e32 vcc, 0, v0
	s_and_saveexec_b64 s[28:29], vcc
	s_cbranch_execz .LBB4_15115
; %bb.15108:                            ;   in Loop: Header=BB4_15069 Depth=3
	v_cmp_ne_u16_e32 vcc, s97, v0
	v_bfrev_b32_e32 v1, 1
	s_and_saveexec_b64 s[34:35], vcc
	s_cbranch_execz .LBB4_15114
; %bb.15109:                            ;   in Loop: Header=BB4_15069 Depth=3
	v_and_b32_e32 v1, 0x7c, v0
	v_and_b32_e32 v2, 3, v0
	v_cmp_ne_u32_e32 vcc, s85, v1
                                        ; implicit-def: $vgpr1
	s_and_saveexec_b64 s[36:37], vcc
	s_xor_b64 s[36:37], exec, s[36:37]
	s_cbranch_execz .LBB4_15111
; %bb.15110:                            ;   in Loop: Header=BB4_15069 Depth=3
	v_and_b32_e32 v3, 0xff, v0
	v_bfe_u32 v5, v3, 2, 5
	v_ffbh_u32_e32 v3, v2
	v_min_u32_e32 v6, 32, v3
	v_mov_b32_e32 v1, v17
	v_subrev_u32_e32 v3, 29, v6
	v_lshlrev_b64 v[3:4], v3, v[0:1]
	v_sub_u32_e32 v1, 30, v6
	v_cmp_eq_u32_e32 vcc, 0, v5
	v_and_b32_e32 v3, 3, v3
	v_cndmask_b32_e32 v1, v5, v1, vcc
	v_and_b32_sdwa v0, sext(v0), s86 dst_sel:DWORD dst_unused:UNUSED_PAD src0_sel:WORD_0 src1_sel:DWORD
	v_cndmask_b32_e32 v2, v2, v3, vcc
	v_lshl_add_u32 v0, v1, 23, v0
	v_lshl_or_b32 v0, v2, 21, v0
	v_add_u32_e32 v1, 0x38000000, v0
                                        ; implicit-def: $vgpr2
                                        ; implicit-def: $vgpr0
.LBB4_15111:                            ;   in Loop: Header=BB4_15069 Depth=3
	s_andn2_saveexec_b64 s[36:37], s[36:37]
; %bb.15112:                            ;   in Loop: Header=BB4_15069 Depth=3
	v_cmp_lt_i16_e32 vcc, -1, v0
	v_mov_b32_e32 v0, 0xff800000
	v_mov_b32_e32 v1, 0x7f800000
	v_cndmask_b32_e32 v0, v0, v1, vcc
	v_cmp_eq_u32_e32 vcc, 0, v2
	v_mov_b32_e32 v1, 0x7f800001
	v_cndmask_b32_e32 v1, v1, v0, vcc
; %bb.15113:                            ;   in Loop: Header=BB4_15069 Depth=3
	s_or_b64 exec, exec, s[36:37]
.LBB4_15114:                            ;   in Loop: Header=BB4_15069 Depth=3
	s_or_b64 exec, exec, s[34:35]
.LBB4_15115:                            ;   in Loop: Header=BB4_15069 Depth=3
	s_or_b64 exec, exec, s[28:29]
	v_mul_f32_e32 v2, v7, v1
	v_and_b32_e32 v3, 0x7f800000, v2
	v_mov_b32_e32 v4, v17
	v_cmp_ne_u64_e32 vcc, s[76:77], v[3:4]
	v_and_b32_e32 v0, 0x7fffff, v2
	v_mov_b32_e32 v1, v17
                                        ; implicit-def: $vgpr34
	s_and_saveexec_b64 s[28:29], vcc
	s_xor_b64 s[34:35], exec, s[28:29]
	s_cbranch_execz .LBB4_15133
; %bb.15116:                            ;   in Loop: Header=BB4_15069 Depth=3
	v_and_b32_e32 v3, 0x7fffffff, v2
	v_mov_b32_e32 v4, v17
	v_cmp_gt_u64_e32 vcc, s[78:79], v[3:4]
	v_and_b32_sdwa v3, v2, s96 dst_sel:DWORD dst_unused:UNUSED_PAD src0_sel:BYTE_3 src1_sel:DWORD
                                        ; implicit-def: $vgpr34
	s_and_saveexec_b64 s[28:29], vcc
	s_xor_b64 s[36:37], exec, s[28:29]
	s_cbranch_execz .LBB4_15130
; %bb.15117:                            ;   in Loop: Header=BB4_15069 Depth=3
	v_cmp_ne_u32_e32 vcc, 0, v2
	v_mov_b32_e32 v34, 0
	s_and_saveexec_b64 s[38:39], vcc
	s_cbranch_execz .LBB4_15129
; %bb.15118:                            ;   in Loop: Header=BB4_15069 Depth=3
	v_bfe_u32 v4, v2, 23, 8
	v_cmp_gt_u32_e64 s[28:29], s46, v4
	v_sub_u32_e32 v2, 0x71, v4
	v_cmp_eq_u32_e32 vcc, 0, v4
	v_cndmask_b32_e64 v2, 0, v2, s[28:29]
	v_mov_b32_e32 v5, 0x70
	v_cndmask_b32_e32 v5, v2, v5, vcc
	v_add_u32_e32 v2, 21, v5
	v_or_b32_e32 v6, 0x800000, v0
	v_lshlrev_b64 v[14:15], v2, -1
	v_cndmask_b32_e32 v0, v6, v0, vcc
	v_add_u32_e32 v2, 20, v5
	v_bfi_b32 v14, v14, 0, v0
	v_lshlrev_b64 v[18:19], v2, 1
	v_lshrrev_b64 v[0:1], v5, v[0:1]
	v_bfi_b32 v15, v15, 0, 0
	v_cmp_eq_u64_e64 s[28:29], v[14:15], v[18:19]
	v_mov_b32_e32 v2, v1
	v_mov_b32_e32 v1, v0
	s_and_saveexec_b64 s[48:49], s[28:29]
; %bb.15119:                            ;   in Loop: Header=BB4_15069 Depth=3
	v_bfe_u32 v1, v0, 21, 1
	v_add_co_u32_e64 v1, s[28:29], v0, v1
	v_add_co_u32_e64 v1, s[28:29], -1, v1
; %bb.15120:                            ;   in Loop: Header=BB4_15069 Depth=3
	s_or_b64 exec, exec, s[48:49]
	v_add_u32_e32 v2, 0xffffff81, v4
	v_mov_b32_e32 v4, 0xffffff82
	v_cndmask_b32_e32 v2, v2, v4, vcc
	v_lshrrev_b32_e32 v4, 23, v0
	v_add3_u32 v5, v5, v2, v4
	v_add_u32_e32 v4, 14, v5
	v_and_b32_e32 v1, 0x1fffff, v1
	v_add_u32_e32 v0, v1, v0
	v_mov_b32_e32 v1, v17
	v_cmp_ne_u32_e32 vcc, 0, v4
                                        ; implicit-def: $vgpr2
	s_and_saveexec_b64 s[28:29], vcc
	s_xor_b64 s[28:29], exec, s[28:29]
; %bb.15121:                            ;   in Loop: Header=BB4_15069 Depth=3
	v_cmp_lt_u64_e32 vcc, s[88:89], v[0:1]
	v_add_u32_e32 v2, 15, v5
	v_cndmask_b32_e32 v2, v4, v2, vcc
	v_cndmask_b32_e64 v4, 0, 1, vcc
	v_lshrrev_b64 v[0:1], v4, v[0:1]
; %bb.15122:                            ;   in Loop: Header=BB4_15069 Depth=3
	s_andn2_saveexec_b64 s[28:29], s[28:29]
; %bb.15123:                            ;   in Loop: Header=BB4_15069 Depth=3
	v_bfe_u32 v2, v0, 23, 1
; %bb.15124:                            ;   in Loop: Header=BB4_15069 Depth=3
	s_or_b64 exec, exec, s[28:29]
	v_lshrrev_b64 v[0:1], 21, v[0:1]
	v_cmp_gt_i32_e32 vcc, 32, v2
	v_cndmask_b32_e32 v1, 0, v1, vcc
	v_cndmask_b32_e32 v0, 3, v0, vcc
	v_cmp_ne_u64_e32 vcc, 0, v[0:1]
	v_cmp_ne_u32_e64 s[28:29], 0, v2
	s_or_b64 s[28:29], s[28:29], vcc
                                        ; implicit-def: $vgpr34
	s_and_saveexec_b64 vcc, s[28:29]
	s_xor_b64 s[28:29], exec, vcc
; %bb.15125:                            ;   in Loop: Header=BB4_15069 Depth=3
	v_min_i32_e32 v1, 31, v2
	v_lshl_or_b32 v1, v1, 2, v3
	v_and_or_b32 v34, v0, 3, v1
                                        ; implicit-def: $vgpr3
; %bb.15126:                            ;   in Loop: Header=BB4_15069 Depth=3
	s_andn2_saveexec_b64 s[28:29], s[28:29]
; %bb.15127:                            ;   in Loop: Header=BB4_15069 Depth=3
	v_mov_b32_e32 v34, v3
; %bb.15128:                            ;   in Loop: Header=BB4_15069 Depth=3
	s_or_b64 exec, exec, s[28:29]
.LBB4_15129:                            ;   in Loop: Header=BB4_15069 Depth=3
	s_or_b64 exec, exec, s[38:39]
                                        ; implicit-def: $vgpr3
.LBB4_15130:                            ;   in Loop: Header=BB4_15069 Depth=3
	s_andn2_saveexec_b64 s[28:29], s[36:37]
; %bb.15131:                            ;   in Loop: Header=BB4_15069 Depth=3
	v_or_b32_e32 v34, 0x7b, v3
; %bb.15132:                            ;   in Loop: Header=BB4_15069 Depth=3
	s_or_b64 exec, exec, s[28:29]
                                        ; implicit-def: $vgpr2
                                        ; implicit-def: $vgpr0_vgpr1
.LBB4_15133:                            ;   in Loop: Header=BB4_15069 Depth=3
	s_andn2_saveexec_b64 s[28:29], s[34:35]
	s_cbranch_execz .LBB4_15139
; %bb.15134:                            ;   in Loop: Header=BB4_15069 Depth=3
	v_cmp_ne_u64_e32 vcc, 0, v[0:1]
                                        ; implicit-def: $vgpr34
	s_and_saveexec_b64 s[34:35], vcc
	s_xor_b64 vcc, exec, s[34:35]
; %bb.15135:                            ;   in Loop: Header=BB4_15069 Depth=3
	v_or_b32_sdwa v34, v2, s47 dst_sel:DWORD dst_unused:UNUSED_PAD src0_sel:BYTE_3 src1_sel:DWORD
                                        ; implicit-def: $vgpr2
; %bb.15136:                            ;   in Loop: Header=BB4_15069 Depth=3
	s_andn2_saveexec_b64 s[34:35], vcc
; %bb.15137:                            ;   in Loop: Header=BB4_15069 Depth=3
	v_cmp_lt_i32_e32 vcc, -1, v2
	v_cndmask_b32_e32 v34, -4, v52, vcc
; %bb.15138:                            ;   in Loop: Header=BB4_15069 Depth=3
	s_or_b64 exec, exec, s[34:35]
.LBB4_15139:                            ;   in Loop: Header=BB4_15069 Depth=3
	s_or_b64 exec, exec, s[28:29]
	flat_load_sbyte v0, v[8:9] offset:128 glc slc
	v_mov_b32_e32 v1, 0
	s_waitcnt vmcnt(0) lgkmcnt(0)
	v_cmp_ne_u16_e32 vcc, 0, v0
	s_and_saveexec_b64 s[28:29], vcc
	s_cbranch_execz .LBB4_15147
; %bb.15140:                            ;   in Loop: Header=BB4_15069 Depth=3
	v_cmp_ne_u16_e32 vcc, s97, v0
	v_bfrev_b32_e32 v1, 1
	s_and_saveexec_b64 s[34:35], vcc
	s_cbranch_execz .LBB4_15146
; %bb.15141:                            ;   in Loop: Header=BB4_15069 Depth=3
	v_and_b32_e32 v1, 0x7c, v0
	v_and_b32_e32 v2, 3, v0
	v_cmp_ne_u32_e32 vcc, s85, v1
                                        ; implicit-def: $vgpr1
	s_and_saveexec_b64 s[36:37], vcc
	s_xor_b64 s[36:37], exec, s[36:37]
	s_cbranch_execz .LBB4_15143
; %bb.15142:                            ;   in Loop: Header=BB4_15069 Depth=3
	v_and_b32_e32 v3, 0xff, v0
	v_bfe_u32 v5, v3, 2, 5
	v_ffbh_u32_e32 v3, v2
	v_min_u32_e32 v6, 32, v3
	v_mov_b32_e32 v1, v17
	v_subrev_u32_e32 v3, 29, v6
	v_lshlrev_b64 v[3:4], v3, v[0:1]
	v_sub_u32_e32 v1, 30, v6
	v_cmp_eq_u32_e32 vcc, 0, v5
	v_and_b32_e32 v3, 3, v3
	v_cndmask_b32_e32 v1, v5, v1, vcc
	v_and_b32_sdwa v0, sext(v0), s86 dst_sel:DWORD dst_unused:UNUSED_PAD src0_sel:WORD_0 src1_sel:DWORD
	v_cndmask_b32_e32 v2, v2, v3, vcc
	v_lshl_add_u32 v0, v1, 23, v0
	v_lshl_or_b32 v0, v2, 21, v0
	v_add_u32_e32 v1, 0x38000000, v0
                                        ; implicit-def: $vgpr2
                                        ; implicit-def: $vgpr0
.LBB4_15143:                            ;   in Loop: Header=BB4_15069 Depth=3
	s_andn2_saveexec_b64 s[36:37], s[36:37]
; %bb.15144:                            ;   in Loop: Header=BB4_15069 Depth=3
	v_cmp_lt_i16_e32 vcc, -1, v0
	v_mov_b32_e32 v0, 0xff800000
	v_mov_b32_e32 v1, 0x7f800000
	v_cndmask_b32_e32 v0, v0, v1, vcc
	v_cmp_eq_u32_e32 vcc, 0, v2
	v_mov_b32_e32 v1, 0x7f800001
	v_cndmask_b32_e32 v1, v1, v0, vcc
; %bb.15145:                            ;   in Loop: Header=BB4_15069 Depth=3
	s_or_b64 exec, exec, s[36:37]
.LBB4_15146:                            ;   in Loop: Header=BB4_15069 Depth=3
	s_or_b64 exec, exec, s[34:35]
.LBB4_15147:                            ;   in Loop: Header=BB4_15069 Depth=3
	s_or_b64 exec, exec, s[28:29]
	v_mul_f32_e32 v4, v7, v1
	v_and_b32_e32 v1, 0x7f800000, v4
	v_mov_b32_e32 v2, v17
	v_cmp_ne_u64_e32 vcc, s[76:77], v[1:2]
	v_and_b32_e32 v0, 0x7fffff, v4
	v_mov_b32_e32 v1, v17
                                        ; implicit-def: $vgpr2
	s_and_saveexec_b64 s[28:29], vcc
	s_xor_b64 s[34:35], exec, s[28:29]
	s_cbranch_execz .LBB4_15165
; %bb.15148:                            ;   in Loop: Header=BB4_15069 Depth=3
	v_and_b32_e32 v2, 0x7fffffff, v4
	v_mov_b32_e32 v3, v17
	v_cmp_gt_u64_e32 vcc, s[78:79], v[2:3]
	v_and_b32_sdwa v3, v4, s96 dst_sel:DWORD dst_unused:UNUSED_PAD src0_sel:BYTE_3 src1_sel:DWORD
                                        ; implicit-def: $vgpr2
	s_and_saveexec_b64 s[28:29], vcc
	s_xor_b64 s[36:37], exec, s[28:29]
	s_cbranch_execz .LBB4_15162
; %bb.15149:                            ;   in Loop: Header=BB4_15069 Depth=3
	v_cmp_ne_u32_e32 vcc, 0, v4
	v_mov_b32_e32 v2, 0
	s_and_saveexec_b64 s[38:39], vcc
	s_cbranch_execz .LBB4_15161
; %bb.15150:                            ;   in Loop: Header=BB4_15069 Depth=3
	v_bfe_u32 v4, v4, 23, 8
	v_cmp_gt_u32_e64 s[28:29], s46, v4
	v_sub_u32_e32 v2, 0x71, v4
	v_cmp_eq_u32_e32 vcc, 0, v4
	v_cndmask_b32_e64 v2, 0, v2, s[28:29]
	v_mov_b32_e32 v5, 0x70
	v_cndmask_b32_e32 v5, v2, v5, vcc
	v_add_u32_e32 v2, 21, v5
	v_or_b32_e32 v6, 0x800000, v0
	v_lshlrev_b64 v[14:15], v2, -1
	v_cndmask_b32_e32 v0, v6, v0, vcc
	v_add_u32_e32 v2, 20, v5
	v_bfi_b32 v14, v14, 0, v0
	v_lshlrev_b64 v[18:19], v2, 1
	v_lshrrev_b64 v[0:1], v5, v[0:1]
	v_bfi_b32 v15, v15, 0, 0
	v_cmp_eq_u64_e64 s[28:29], v[14:15], v[18:19]
	v_mov_b32_e32 v2, v1
	v_mov_b32_e32 v1, v0
	s_and_saveexec_b64 s[48:49], s[28:29]
; %bb.15151:                            ;   in Loop: Header=BB4_15069 Depth=3
	v_bfe_u32 v1, v0, 21, 1
	v_add_co_u32_e64 v1, s[28:29], v0, v1
	v_add_co_u32_e64 v1, s[28:29], -1, v1
; %bb.15152:                            ;   in Loop: Header=BB4_15069 Depth=3
	s_or_b64 exec, exec, s[48:49]
	v_add_u32_e32 v2, 0xffffff81, v4
	v_mov_b32_e32 v4, 0xffffff82
	v_cndmask_b32_e32 v2, v2, v4, vcc
	v_lshrrev_b32_e32 v4, 23, v0
	v_add3_u32 v5, v5, v2, v4
	v_add_u32_e32 v2, 14, v5
	v_and_b32_e32 v1, 0x1fffff, v1
	v_add_u32_e32 v0, v1, v0
	v_mov_b32_e32 v1, v17
	v_cmp_ne_u32_e32 vcc, 0, v2
                                        ; implicit-def: $vgpr4
	s_and_saveexec_b64 s[28:29], vcc
	s_xor_b64 s[28:29], exec, s[28:29]
; %bb.15153:                            ;   in Loop: Header=BB4_15069 Depth=3
	v_cmp_lt_u64_e32 vcc, s[88:89], v[0:1]
	v_add_u32_e32 v4, 15, v5
	v_cndmask_b32_e32 v4, v2, v4, vcc
	v_cndmask_b32_e64 v2, 0, 1, vcc
	v_lshrrev_b64 v[0:1], v2, v[0:1]
; %bb.15154:                            ;   in Loop: Header=BB4_15069 Depth=3
	s_andn2_saveexec_b64 s[28:29], s[28:29]
; %bb.15155:                            ;   in Loop: Header=BB4_15069 Depth=3
	v_bfe_u32 v4, v0, 23, 1
; %bb.15156:                            ;   in Loop: Header=BB4_15069 Depth=3
	s_or_b64 exec, exec, s[28:29]
	v_lshrrev_b64 v[0:1], 21, v[0:1]
	v_cmp_gt_i32_e32 vcc, 32, v4
	v_cndmask_b32_e32 v1, 0, v1, vcc
	v_cndmask_b32_e32 v0, 3, v0, vcc
	v_cmp_ne_u64_e32 vcc, 0, v[0:1]
	v_cmp_ne_u32_e64 s[28:29], 0, v4
	s_or_b64 s[28:29], s[28:29], vcc
                                        ; implicit-def: $vgpr2
	s_and_saveexec_b64 vcc, s[28:29]
	s_xor_b64 s[28:29], exec, vcc
; %bb.15157:                            ;   in Loop: Header=BB4_15069 Depth=3
	v_min_i32_e32 v1, 31, v4
	v_lshl_or_b32 v1, v1, 2, v3
	v_and_or_b32 v2, v0, 3, v1
                                        ; implicit-def: $vgpr3
; %bb.15158:                            ;   in Loop: Header=BB4_15069 Depth=3
	s_andn2_saveexec_b64 s[28:29], s[28:29]
; %bb.15159:                            ;   in Loop: Header=BB4_15069 Depth=3
	v_mov_b32_e32 v2, v3
; %bb.15160:                            ;   in Loop: Header=BB4_15069 Depth=3
	s_or_b64 exec, exec, s[28:29]
.LBB4_15161:                            ;   in Loop: Header=BB4_15069 Depth=3
	s_or_b64 exec, exec, s[38:39]
                                        ; implicit-def: $vgpr3
.LBB4_15162:                            ;   in Loop: Header=BB4_15069 Depth=3
	s_andn2_saveexec_b64 s[28:29], s[36:37]
; %bb.15163:                            ;   in Loop: Header=BB4_15069 Depth=3
	v_or_b32_e32 v2, 0x7b, v3
; %bb.15164:                            ;   in Loop: Header=BB4_15069 Depth=3
	s_or_b64 exec, exec, s[28:29]
                                        ; implicit-def: $vgpr4
                                        ; implicit-def: $vgpr0_vgpr1
.LBB4_15165:                            ;   in Loop: Header=BB4_15069 Depth=3
	s_andn2_saveexec_b64 s[28:29], s[34:35]
	s_cbranch_execz .LBB4_15171
; %bb.15166:                            ;   in Loop: Header=BB4_15069 Depth=3
	v_cmp_ne_u64_e32 vcc, 0, v[0:1]
                                        ; implicit-def: $vgpr2
	s_and_saveexec_b64 s[34:35], vcc
	s_xor_b64 vcc, exec, s[34:35]
; %bb.15167:                            ;   in Loop: Header=BB4_15069 Depth=3
	v_or_b32_sdwa v2, v4, s47 dst_sel:DWORD dst_unused:UNUSED_PAD src0_sel:BYTE_3 src1_sel:DWORD
                                        ; implicit-def: $vgpr4
; %bb.15168:                            ;   in Loop: Header=BB4_15069 Depth=3
	s_andn2_saveexec_b64 s[34:35], vcc
; %bb.15169:                            ;   in Loop: Header=BB4_15069 Depth=3
	v_cmp_lt_i32_e32 vcc, -1, v4
	v_cndmask_b32_e32 v2, -4, v52, vcc
; %bb.15170:                            ;   in Loop: Header=BB4_15069 Depth=3
	s_or_b64 exec, exec, s[34:35]
.LBB4_15171:                            ;   in Loop: Header=BB4_15069 Depth=3
	s_or_b64 exec, exec, s[28:29]
	flat_load_sbyte v0, v[8:9] offset:192 glc slc
	v_mov_b32_e32 v1, 0
	s_waitcnt vmcnt(0) lgkmcnt(0)
	v_cmp_ne_u16_e32 vcc, 0, v0
	s_and_saveexec_b64 s[28:29], vcc
	s_cbranch_execz .LBB4_15179
; %bb.15172:                            ;   in Loop: Header=BB4_15069 Depth=3
	v_cmp_ne_u16_e32 vcc, s97, v0
	v_bfrev_b32_e32 v1, 1
	s_and_saveexec_b64 s[34:35], vcc
	s_cbranch_execz .LBB4_15178
; %bb.15173:                            ;   in Loop: Header=BB4_15069 Depth=3
	v_and_b32_e32 v1, 0x7c, v0
	v_and_b32_e32 v3, 3, v0
	v_cmp_ne_u32_e32 vcc, s85, v1
                                        ; implicit-def: $vgpr1
	s_and_saveexec_b64 s[36:37], vcc
	s_xor_b64 s[36:37], exec, s[36:37]
	s_cbranch_execz .LBB4_15175
; %bb.15174:                            ;   in Loop: Header=BB4_15069 Depth=3
	v_and_b32_e32 v4, 0xff, v0
	v_bfe_u32 v6, v4, 2, 5
	v_ffbh_u32_e32 v4, v3
	v_min_u32_e32 v14, 32, v4
	v_mov_b32_e32 v1, v17
	v_subrev_u32_e32 v4, 29, v14
	v_lshlrev_b64 v[4:5], v4, v[0:1]
	v_sub_u32_e32 v1, 30, v14
	v_cmp_eq_u32_e32 vcc, 0, v6
	v_and_b32_e32 v4, 3, v4
	v_cndmask_b32_e32 v1, v6, v1, vcc
	v_and_b32_sdwa v0, sext(v0), s86 dst_sel:DWORD dst_unused:UNUSED_PAD src0_sel:WORD_0 src1_sel:DWORD
	v_cndmask_b32_e32 v3, v3, v4, vcc
	v_lshl_add_u32 v0, v1, 23, v0
	v_lshl_or_b32 v0, v3, 21, v0
	v_add_u32_e32 v1, 0x38000000, v0
                                        ; implicit-def: $vgpr3
                                        ; implicit-def: $vgpr0
.LBB4_15175:                            ;   in Loop: Header=BB4_15069 Depth=3
	s_andn2_saveexec_b64 s[36:37], s[36:37]
; %bb.15176:                            ;   in Loop: Header=BB4_15069 Depth=3
	v_cmp_lt_i16_e32 vcc, -1, v0
	v_mov_b32_e32 v0, 0xff800000
	v_mov_b32_e32 v1, 0x7f800000
	v_cndmask_b32_e32 v0, v0, v1, vcc
	v_cmp_eq_u32_e32 vcc, 0, v3
	v_mov_b32_e32 v1, 0x7f800001
	v_cndmask_b32_e32 v1, v1, v0, vcc
; %bb.15177:                            ;   in Loop: Header=BB4_15069 Depth=3
	s_or_b64 exec, exec, s[36:37]
.LBB4_15178:                            ;   in Loop: Header=BB4_15069 Depth=3
	s_or_b64 exec, exec, s[34:35]
.LBB4_15179:                            ;   in Loop: Header=BB4_15069 Depth=3
	s_or_b64 exec, exec, s[28:29]
	v_mul_f32_e32 v3, v7, v1
	v_and_b32_e32 v4, 0x7f800000, v3
	v_mov_b32_e32 v5, v17
	v_cmp_ne_u64_e32 vcc, s[76:77], v[4:5]
	v_and_b32_e32 v0, 0x7fffff, v3
	v_mov_b32_e32 v1, v17
                                        ; implicit-def: $vgpr4
	s_and_saveexec_b64 s[28:29], vcc
	s_xor_b64 s[34:35], exec, s[28:29]
	s_cbranch_execz .LBB4_15197
; %bb.15180:                            ;   in Loop: Header=BB4_15069 Depth=3
	v_and_b32_e32 v4, 0x7fffffff, v3
	v_mov_b32_e32 v5, v17
	v_cmp_gt_u64_e32 vcc, s[78:79], v[4:5]
	v_and_b32_sdwa v5, v3, s96 dst_sel:DWORD dst_unused:UNUSED_PAD src0_sel:BYTE_3 src1_sel:DWORD
                                        ; implicit-def: $vgpr4
	s_and_saveexec_b64 s[28:29], vcc
	s_xor_b64 s[36:37], exec, s[28:29]
	s_cbranch_execz .LBB4_15194
; %bb.15181:                            ;   in Loop: Header=BB4_15069 Depth=3
	v_cmp_ne_u32_e32 vcc, 0, v3
	v_mov_b32_e32 v4, 0
	s_and_saveexec_b64 s[38:39], vcc
	s_cbranch_execz .LBB4_15193
; %bb.15182:                            ;   in Loop: Header=BB4_15069 Depth=3
	v_bfe_u32 v6, v3, 23, 8
	v_cmp_gt_u32_e64 s[28:29], s46, v6
	v_sub_u32_e32 v3, 0x71, v6
	v_cmp_eq_u32_e32 vcc, 0, v6
	v_cndmask_b32_e64 v3, 0, v3, s[28:29]
	v_mov_b32_e32 v14, 0x70
	v_cndmask_b32_e32 v14, v3, v14, vcc
	v_or_b32_e32 v4, 0x800000, v0
	v_add_u32_e32 v3, 21, v14
	v_cndmask_b32_e32 v0, v4, v0, vcc
	v_lshlrev_b64 v[3:4], v3, -1
	v_add_u32_e32 v15, 20, v14
	v_bfi_b32 v3, v3, 0, v0
	v_lshlrev_b64 v[15:16], v15, 1
	v_lshrrev_b64 v[0:1], v14, v[0:1]
	v_bfi_b32 v4, v4, 0, 0
	v_cmp_eq_u64_e64 s[28:29], v[3:4], v[15:16]
	v_mov_b32_e32 v4, v1
	v_mov_b32_e32 v3, v0
	s_and_saveexec_b64 s[48:49], s[28:29]
; %bb.15183:                            ;   in Loop: Header=BB4_15069 Depth=3
	v_bfe_u32 v1, v0, 21, 1
	v_add_co_u32_e64 v1, s[28:29], v0, v1
	v_add_co_u32_e64 v3, s[28:29], -1, v1
; %bb.15184:                            ;   in Loop: Header=BB4_15069 Depth=3
	s_or_b64 exec, exec, s[48:49]
	v_add_u32_e32 v1, 0xffffff81, v6
	v_mov_b32_e32 v4, 0xffffff82
	v_cndmask_b32_e32 v1, v1, v4, vcc
	v_lshrrev_b32_e32 v4, 23, v0
	v_add3_u32 v6, v14, v1, v4
	v_add_u32_e32 v4, 14, v6
	v_and_b32_e32 v1, 0x1fffff, v3
	v_add_u32_e32 v0, v1, v0
	v_mov_b32_e32 v1, v17
	v_cmp_ne_u32_e32 vcc, 0, v4
                                        ; implicit-def: $vgpr3
	s_and_saveexec_b64 s[28:29], vcc
	s_xor_b64 s[28:29], exec, s[28:29]
; %bb.15185:                            ;   in Loop: Header=BB4_15069 Depth=3
	v_cmp_lt_u64_e32 vcc, s[88:89], v[0:1]
	v_add_u32_e32 v3, 15, v6
	v_cndmask_b32_e32 v3, v4, v3, vcc
	v_cndmask_b32_e64 v4, 0, 1, vcc
	v_lshrrev_b64 v[0:1], v4, v[0:1]
; %bb.15186:                            ;   in Loop: Header=BB4_15069 Depth=3
	s_andn2_saveexec_b64 s[28:29], s[28:29]
; %bb.15187:                            ;   in Loop: Header=BB4_15069 Depth=3
	v_bfe_u32 v3, v0, 23, 1
; %bb.15188:                            ;   in Loop: Header=BB4_15069 Depth=3
	s_or_b64 exec, exec, s[28:29]
	v_lshrrev_b64 v[0:1], 21, v[0:1]
	v_cmp_gt_i32_e32 vcc, 32, v3
	v_cndmask_b32_e32 v1, 0, v1, vcc
	v_cndmask_b32_e32 v0, 3, v0, vcc
	v_cmp_ne_u64_e32 vcc, 0, v[0:1]
	v_cmp_ne_u32_e64 s[28:29], 0, v3
	s_or_b64 s[28:29], s[28:29], vcc
                                        ; implicit-def: $vgpr4
	s_and_saveexec_b64 vcc, s[28:29]
	s_xor_b64 s[28:29], exec, vcc
; %bb.15189:                            ;   in Loop: Header=BB4_15069 Depth=3
	v_min_i32_e32 v1, 31, v3
	v_lshl_or_b32 v1, v1, 2, v5
	v_and_or_b32 v4, v0, 3, v1
                                        ; implicit-def: $vgpr5
; %bb.15190:                            ;   in Loop: Header=BB4_15069 Depth=3
	s_andn2_saveexec_b64 s[28:29], s[28:29]
; %bb.15191:                            ;   in Loop: Header=BB4_15069 Depth=3
	v_mov_b32_e32 v4, v5
; %bb.15192:                            ;   in Loop: Header=BB4_15069 Depth=3
	s_or_b64 exec, exec, s[28:29]
.LBB4_15193:                            ;   in Loop: Header=BB4_15069 Depth=3
	s_or_b64 exec, exec, s[38:39]
                                        ; implicit-def: $vgpr5
.LBB4_15194:                            ;   in Loop: Header=BB4_15069 Depth=3
	s_andn2_saveexec_b64 s[28:29], s[36:37]
; %bb.15195:                            ;   in Loop: Header=BB4_15069 Depth=3
	v_or_b32_e32 v4, 0x7b, v5
; %bb.15196:                            ;   in Loop: Header=BB4_15069 Depth=3
	s_or_b64 exec, exec, s[28:29]
                                        ; implicit-def: $vgpr3
                                        ; implicit-def: $vgpr0_vgpr1
.LBB4_15197:                            ;   in Loop: Header=BB4_15069 Depth=3
	s_andn2_saveexec_b64 s[28:29], s[34:35]
	s_cbranch_execz .LBB4_15203
; %bb.15198:                            ;   in Loop: Header=BB4_15069 Depth=3
	v_cmp_ne_u64_e32 vcc, 0, v[0:1]
                                        ; implicit-def: $vgpr4
	s_and_saveexec_b64 s[34:35], vcc
	s_xor_b64 vcc, exec, s[34:35]
; %bb.15199:                            ;   in Loop: Header=BB4_15069 Depth=3
	v_or_b32_sdwa v4, v3, s47 dst_sel:DWORD dst_unused:UNUSED_PAD src0_sel:BYTE_3 src1_sel:DWORD
                                        ; implicit-def: $vgpr3
; %bb.15200:                            ;   in Loop: Header=BB4_15069 Depth=3
	s_andn2_saveexec_b64 s[34:35], vcc
; %bb.15201:                            ;   in Loop: Header=BB4_15069 Depth=3
	v_cmp_lt_i32_e32 vcc, -1, v3
	v_cndmask_b32_e32 v4, -4, v52, vcc
; %bb.15202:                            ;   in Loop: Header=BB4_15069 Depth=3
	s_or_b64 exec, exec, s[34:35]
.LBB4_15203:                            ;   in Loop: Header=BB4_15069 Depth=3
	s_or_b64 exec, exec, s[28:29]
	flat_load_sbyte v0, v[8:9] offset:256 glc slc
	v_mov_b32_e32 v1, 0
	s_waitcnt vmcnt(0) lgkmcnt(0)
	v_cmp_ne_u16_e32 vcc, 0, v0
	s_and_saveexec_b64 s[28:29], vcc
	s_cbranch_execz .LBB4_15211
; %bb.15204:                            ;   in Loop: Header=BB4_15069 Depth=3
	v_cmp_ne_u16_e32 vcc, s97, v0
	v_bfrev_b32_e32 v1, 1
	s_and_saveexec_b64 s[34:35], vcc
	s_cbranch_execz .LBB4_15210
; %bb.15205:                            ;   in Loop: Header=BB4_15069 Depth=3
	v_and_b32_e32 v1, 0x7c, v0
	v_and_b32_e32 v3, 3, v0
	v_cmp_ne_u32_e32 vcc, s85, v1
                                        ; implicit-def: $vgpr1
	s_and_saveexec_b64 s[36:37], vcc
	s_xor_b64 s[36:37], exec, s[36:37]
	s_cbranch_execz .LBB4_15207
; %bb.15206:                            ;   in Loop: Header=BB4_15069 Depth=3
	v_and_b32_e32 v5, 0xff, v0
	v_bfe_u32 v14, v5, 2, 5
	v_ffbh_u32_e32 v5, v3
	v_min_u32_e32 v15, 32, v5
	v_mov_b32_e32 v1, v17
	v_subrev_u32_e32 v5, 29, v15
	v_lshlrev_b64 v[5:6], v5, v[0:1]
	v_sub_u32_e32 v1, 30, v15
	v_cmp_eq_u32_e32 vcc, 0, v14
	v_and_b32_e32 v5, 3, v5
	v_cndmask_b32_e32 v1, v14, v1, vcc
	v_and_b32_sdwa v0, sext(v0), s86 dst_sel:DWORD dst_unused:UNUSED_PAD src0_sel:WORD_0 src1_sel:DWORD
	v_cndmask_b32_e32 v3, v3, v5, vcc
	v_lshl_add_u32 v0, v1, 23, v0
	v_lshl_or_b32 v0, v3, 21, v0
	v_add_u32_e32 v1, 0x38000000, v0
                                        ; implicit-def: $vgpr3
                                        ; implicit-def: $vgpr0
.LBB4_15207:                            ;   in Loop: Header=BB4_15069 Depth=3
	s_andn2_saveexec_b64 s[36:37], s[36:37]
; %bb.15208:                            ;   in Loop: Header=BB4_15069 Depth=3
	v_cmp_lt_i16_e32 vcc, -1, v0
	v_mov_b32_e32 v0, 0xff800000
	v_mov_b32_e32 v1, 0x7f800000
	v_cndmask_b32_e32 v0, v0, v1, vcc
	v_cmp_eq_u32_e32 vcc, 0, v3
	v_mov_b32_e32 v1, 0x7f800001
	v_cndmask_b32_e32 v1, v1, v0, vcc
; %bb.15209:                            ;   in Loop: Header=BB4_15069 Depth=3
	s_or_b64 exec, exec, s[36:37]
.LBB4_15210:                            ;   in Loop: Header=BB4_15069 Depth=3
	s_or_b64 exec, exec, s[34:35]
.LBB4_15211:                            ;   in Loop: Header=BB4_15069 Depth=3
	s_or_b64 exec, exec, s[28:29]
	v_mul_f32_e32 v5, v7, v1
	v_and_b32_e32 v14, 0x7f800000, v5
	v_mov_b32_e32 v15, v17
	v_cmp_ne_u64_e32 vcc, s[76:77], v[14:15]
	v_and_b32_e32 v0, 0x7fffff, v5
	v_mov_b32_e32 v1, v17
                                        ; implicit-def: $vgpr15
	s_and_saveexec_b64 s[28:29], vcc
	s_xor_b64 s[34:35], exec, s[28:29]
	s_cbranch_execz .LBB4_15229
; %bb.15212:                            ;   in Loop: Header=BB4_15069 Depth=3
	v_and_b32_e32 v14, 0x7fffffff, v5
	v_mov_b32_e32 v15, v17
	v_cmp_gt_u64_e32 vcc, s[78:79], v[14:15]
	v_and_b32_sdwa v3, v5, s96 dst_sel:DWORD dst_unused:UNUSED_PAD src0_sel:BYTE_3 src1_sel:DWORD
                                        ; implicit-def: $vgpr15
	s_and_saveexec_b64 s[28:29], vcc
	s_xor_b64 s[36:37], exec, s[28:29]
	s_cbranch_execz .LBB4_15226
; %bb.15213:                            ;   in Loop: Header=BB4_15069 Depth=3
	v_cmp_ne_u32_e32 vcc, 0, v5
	v_mov_b32_e32 v15, 0
	s_and_saveexec_b64 s[38:39], vcc
	s_cbranch_execz .LBB4_15225
; %bb.15214:                            ;   in Loop: Header=BB4_15069 Depth=3
	v_bfe_u32 v14, v5, 23, 8
	v_cmp_gt_u32_e64 s[28:29], s46, v14
	v_sub_u32_e32 v5, 0x71, v14
	v_cmp_eq_u32_e32 vcc, 0, v14
	v_cndmask_b32_e64 v5, 0, v5, s[28:29]
	v_mov_b32_e32 v15, 0x70
	v_cndmask_b32_e32 v15, v5, v15, vcc
	v_or_b32_e32 v6, 0x800000, v0
	v_add_u32_e32 v5, 21, v15
	v_cndmask_b32_e32 v0, v6, v0, vcc
	v_lshlrev_b64 v[5:6], v5, -1
	v_add_u32_e32 v16, 20, v15
	v_bfi_b32 v5, v5, 0, v0
	v_lshlrev_b64 v[18:19], v16, 1
	v_lshrrev_b64 v[0:1], v15, v[0:1]
	v_bfi_b32 v6, v6, 0, 0
	v_cmp_eq_u64_e64 s[28:29], v[5:6], v[18:19]
	v_mov_b32_e32 v6, v1
	v_mov_b32_e32 v5, v0
	s_and_saveexec_b64 s[48:49], s[28:29]
; %bb.15215:                            ;   in Loop: Header=BB4_15069 Depth=3
	v_bfe_u32 v1, v0, 21, 1
	v_add_co_u32_e64 v1, s[28:29], v0, v1
	v_add_co_u32_e64 v5, s[28:29], -1, v1
; %bb.15216:                            ;   in Loop: Header=BB4_15069 Depth=3
	s_or_b64 exec, exec, s[48:49]
	v_add_u32_e32 v1, 0xffffff81, v14
	v_mov_b32_e32 v6, 0xffffff82
	v_cndmask_b32_e32 v1, v1, v6, vcc
	v_lshrrev_b32_e32 v6, 23, v0
	v_add3_u32 v14, v15, v1, v6
	v_add_u32_e32 v6, 14, v14
	v_and_b32_e32 v1, 0x1fffff, v5
	v_add_u32_e32 v0, v1, v0
	v_mov_b32_e32 v1, v17
	v_cmp_ne_u32_e32 vcc, 0, v6
                                        ; implicit-def: $vgpr5
	s_and_saveexec_b64 s[28:29], vcc
	s_xor_b64 s[28:29], exec, s[28:29]
; %bb.15217:                            ;   in Loop: Header=BB4_15069 Depth=3
	v_cmp_lt_u64_e32 vcc, s[88:89], v[0:1]
	v_add_u32_e32 v5, 15, v14
	v_cndmask_b32_e32 v5, v6, v5, vcc
	v_cndmask_b32_e64 v6, 0, 1, vcc
	v_lshrrev_b64 v[0:1], v6, v[0:1]
; %bb.15218:                            ;   in Loop: Header=BB4_15069 Depth=3
	s_andn2_saveexec_b64 s[28:29], s[28:29]
; %bb.15219:                            ;   in Loop: Header=BB4_15069 Depth=3
	v_bfe_u32 v5, v0, 23, 1
; %bb.15220:                            ;   in Loop: Header=BB4_15069 Depth=3
	s_or_b64 exec, exec, s[28:29]
	v_lshrrev_b64 v[0:1], 21, v[0:1]
	v_cmp_gt_i32_e32 vcc, 32, v5
	v_cndmask_b32_e32 v1, 0, v1, vcc
	v_cndmask_b32_e32 v0, 3, v0, vcc
	v_cmp_ne_u64_e32 vcc, 0, v[0:1]
	v_cmp_ne_u32_e64 s[28:29], 0, v5
	s_or_b64 s[28:29], s[28:29], vcc
                                        ; implicit-def: $vgpr15
	s_and_saveexec_b64 vcc, s[28:29]
	s_xor_b64 s[28:29], exec, vcc
; %bb.15221:                            ;   in Loop: Header=BB4_15069 Depth=3
	v_min_i32_e32 v1, 31, v5
	v_lshl_or_b32 v1, v1, 2, v3
	v_and_or_b32 v15, v0, 3, v1
                                        ; implicit-def: $vgpr3
; %bb.15222:                            ;   in Loop: Header=BB4_15069 Depth=3
	s_andn2_saveexec_b64 s[28:29], s[28:29]
; %bb.15223:                            ;   in Loop: Header=BB4_15069 Depth=3
	v_mov_b32_e32 v15, v3
; %bb.15224:                            ;   in Loop: Header=BB4_15069 Depth=3
	s_or_b64 exec, exec, s[28:29]
.LBB4_15225:                            ;   in Loop: Header=BB4_15069 Depth=3
	s_or_b64 exec, exec, s[38:39]
                                        ; implicit-def: $vgpr3
.LBB4_15226:                            ;   in Loop: Header=BB4_15069 Depth=3
	s_andn2_saveexec_b64 s[28:29], s[36:37]
; %bb.15227:                            ;   in Loop: Header=BB4_15069 Depth=3
	v_or_b32_e32 v15, 0x7b, v3
; %bb.15228:                            ;   in Loop: Header=BB4_15069 Depth=3
	s_or_b64 exec, exec, s[28:29]
                                        ; implicit-def: $vgpr5
                                        ; implicit-def: $vgpr0_vgpr1
.LBB4_15229:                            ;   in Loop: Header=BB4_15069 Depth=3
	s_andn2_saveexec_b64 s[28:29], s[34:35]
	s_cbranch_execz .LBB4_15235
; %bb.15230:                            ;   in Loop: Header=BB4_15069 Depth=3
	v_cmp_ne_u64_e32 vcc, 0, v[0:1]
                                        ; implicit-def: $vgpr15
	s_and_saveexec_b64 s[34:35], vcc
	s_xor_b64 vcc, exec, s[34:35]
; %bb.15231:                            ;   in Loop: Header=BB4_15069 Depth=3
	v_or_b32_sdwa v15, v5, s47 dst_sel:DWORD dst_unused:UNUSED_PAD src0_sel:BYTE_3 src1_sel:DWORD
                                        ; implicit-def: $vgpr5
; %bb.15232:                            ;   in Loop: Header=BB4_15069 Depth=3
	s_andn2_saveexec_b64 s[34:35], vcc
; %bb.15233:                            ;   in Loop: Header=BB4_15069 Depth=3
	v_cmp_lt_i32_e32 vcc, -1, v5
	v_cndmask_b32_e32 v15, -4, v52, vcc
; %bb.15234:                            ;   in Loop: Header=BB4_15069 Depth=3
	s_or_b64 exec, exec, s[34:35]
.LBB4_15235:                            ;   in Loop: Header=BB4_15069 Depth=3
	s_or_b64 exec, exec, s[28:29]
	flat_load_sbyte v0, v[8:9] offset:320 glc slc
	v_mov_b32_e32 v1, 0
	s_waitcnt vmcnt(0) lgkmcnt(0)
	v_cmp_ne_u16_e32 vcc, 0, v0
	s_and_saveexec_b64 s[28:29], vcc
	s_cbranch_execz .LBB4_15243
; %bb.15236:                            ;   in Loop: Header=BB4_15069 Depth=3
	v_cmp_ne_u16_e32 vcc, s97, v0
	v_bfrev_b32_e32 v1, 1
	s_and_saveexec_b64 s[34:35], vcc
	s_cbranch_execz .LBB4_15242
; %bb.15237:                            ;   in Loop: Header=BB4_15069 Depth=3
	v_and_b32_e32 v1, 0x7c, v0
	v_and_b32_e32 v3, 3, v0
	v_cmp_ne_u32_e32 vcc, s85, v1
                                        ; implicit-def: $vgpr1
	s_and_saveexec_b64 s[36:37], vcc
	s_xor_b64 s[36:37], exec, s[36:37]
	s_cbranch_execz .LBB4_15239
; %bb.15238:                            ;   in Loop: Header=BB4_15069 Depth=3
	v_and_b32_e32 v5, 0xff, v0
	v_bfe_u32 v14, v5, 2, 5
	v_ffbh_u32_e32 v5, v3
	v_min_u32_e32 v16, 32, v5
	v_mov_b32_e32 v1, v17
	v_subrev_u32_e32 v5, 29, v16
	v_lshlrev_b64 v[5:6], v5, v[0:1]
	v_sub_u32_e32 v1, 30, v16
	v_cmp_eq_u32_e32 vcc, 0, v14
	v_and_b32_e32 v5, 3, v5
	v_cndmask_b32_e32 v1, v14, v1, vcc
	v_and_b32_sdwa v0, sext(v0), s86 dst_sel:DWORD dst_unused:UNUSED_PAD src0_sel:WORD_0 src1_sel:DWORD
	v_cndmask_b32_e32 v3, v3, v5, vcc
	v_lshl_add_u32 v0, v1, 23, v0
	v_lshl_or_b32 v0, v3, 21, v0
	v_add_u32_e32 v1, 0x38000000, v0
                                        ; implicit-def: $vgpr3
                                        ; implicit-def: $vgpr0
.LBB4_15239:                            ;   in Loop: Header=BB4_15069 Depth=3
	s_andn2_saveexec_b64 s[36:37], s[36:37]
; %bb.15240:                            ;   in Loop: Header=BB4_15069 Depth=3
	v_cmp_lt_i16_e32 vcc, -1, v0
	v_mov_b32_e32 v0, 0xff800000
	v_mov_b32_e32 v1, 0x7f800000
	v_cndmask_b32_e32 v0, v0, v1, vcc
	v_cmp_eq_u32_e32 vcc, 0, v3
	v_mov_b32_e32 v1, 0x7f800001
	v_cndmask_b32_e32 v1, v1, v0, vcc
; %bb.15241:                            ;   in Loop: Header=BB4_15069 Depth=3
	s_or_b64 exec, exec, s[36:37]
.LBB4_15242:                            ;   in Loop: Header=BB4_15069 Depth=3
	s_or_b64 exec, exec, s[34:35]
.LBB4_15243:                            ;   in Loop: Header=BB4_15069 Depth=3
	s_or_b64 exec, exec, s[28:29]
	v_mul_f32_e32 v5, v7, v1
	v_and_b32_e32 v18, 0x7f800000, v5
	v_mov_b32_e32 v19, v17
	v_cmp_ne_u64_e32 vcc, s[76:77], v[18:19]
	v_and_b32_e32 v0, 0x7fffff, v5
	v_mov_b32_e32 v1, v17
                                        ; implicit-def: $vgpr30
	s_and_saveexec_b64 s[28:29], vcc
	s_xor_b64 s[34:35], exec, s[28:29]
	s_cbranch_execz .LBB4_15261
; %bb.15244:                            ;   in Loop: Header=BB4_15069 Depth=3
	v_and_b32_e32 v18, 0x7fffffff, v5
	v_mov_b32_e32 v19, v17
	v_cmp_gt_u64_e32 vcc, s[78:79], v[18:19]
	v_and_b32_sdwa v3, v5, s96 dst_sel:DWORD dst_unused:UNUSED_PAD src0_sel:BYTE_3 src1_sel:DWORD
                                        ; implicit-def: $vgpr30
	s_and_saveexec_b64 s[28:29], vcc
	s_xor_b64 s[36:37], exec, s[28:29]
	s_cbranch_execz .LBB4_15258
; %bb.15245:                            ;   in Loop: Header=BB4_15069 Depth=3
	v_cmp_ne_u32_e32 vcc, 0, v5
	v_mov_b32_e32 v30, 0
	s_and_saveexec_b64 s[38:39], vcc
	s_cbranch_execz .LBB4_15257
; %bb.15246:                            ;   in Loop: Header=BB4_15069 Depth=3
	v_bfe_u32 v14, v5, 23, 8
	v_cmp_gt_u32_e64 s[28:29], s46, v14
	v_sub_u32_e32 v5, 0x71, v14
	v_cmp_eq_u32_e32 vcc, 0, v14
	v_cndmask_b32_e64 v5, 0, v5, s[28:29]
	v_mov_b32_e32 v16, 0x70
	v_cndmask_b32_e32 v16, v5, v16, vcc
	v_or_b32_e32 v6, 0x800000, v0
	v_add_u32_e32 v5, 21, v16
	v_cndmask_b32_e32 v0, v6, v0, vcc
	v_lshlrev_b64 v[5:6], v5, -1
	v_add_u32_e32 v18, 20, v16
	v_bfi_b32 v5, v5, 0, v0
	v_lshlrev_b64 v[18:19], v18, 1
	v_lshrrev_b64 v[0:1], v16, v[0:1]
	v_bfi_b32 v6, v6, 0, 0
	v_cmp_eq_u64_e64 s[28:29], v[5:6], v[18:19]
	v_mov_b32_e32 v6, v1
	v_mov_b32_e32 v5, v0
	s_and_saveexec_b64 s[48:49], s[28:29]
; %bb.15247:                            ;   in Loop: Header=BB4_15069 Depth=3
	v_bfe_u32 v1, v0, 21, 1
	v_add_co_u32_e64 v1, s[28:29], v0, v1
	v_add_co_u32_e64 v5, s[28:29], -1, v1
; %bb.15248:                            ;   in Loop: Header=BB4_15069 Depth=3
	s_or_b64 exec, exec, s[48:49]
	v_add_u32_e32 v1, 0xffffff81, v14
	v_mov_b32_e32 v6, 0xffffff82
	v_cndmask_b32_e32 v1, v1, v6, vcc
	v_lshrrev_b32_e32 v6, 23, v0
	v_add3_u32 v14, v16, v1, v6
	v_add_u32_e32 v6, 14, v14
	v_and_b32_e32 v1, 0x1fffff, v5
	v_add_u32_e32 v0, v1, v0
	v_mov_b32_e32 v1, v17
	v_cmp_ne_u32_e32 vcc, 0, v6
                                        ; implicit-def: $vgpr5
	s_and_saveexec_b64 s[28:29], vcc
	s_xor_b64 s[28:29], exec, s[28:29]
; %bb.15249:                            ;   in Loop: Header=BB4_15069 Depth=3
	v_cmp_lt_u64_e32 vcc, s[88:89], v[0:1]
	v_add_u32_e32 v5, 15, v14
	v_cndmask_b32_e32 v5, v6, v5, vcc
	v_cndmask_b32_e64 v6, 0, 1, vcc
	v_lshrrev_b64 v[0:1], v6, v[0:1]
; %bb.15250:                            ;   in Loop: Header=BB4_15069 Depth=3
	s_andn2_saveexec_b64 s[28:29], s[28:29]
; %bb.15251:                            ;   in Loop: Header=BB4_15069 Depth=3
	v_bfe_u32 v5, v0, 23, 1
; %bb.15252:                            ;   in Loop: Header=BB4_15069 Depth=3
	s_or_b64 exec, exec, s[28:29]
	v_lshrrev_b64 v[0:1], 21, v[0:1]
	v_cmp_gt_i32_e32 vcc, 32, v5
	v_cndmask_b32_e32 v1, 0, v1, vcc
	v_cndmask_b32_e32 v0, 3, v0, vcc
	v_cmp_ne_u64_e32 vcc, 0, v[0:1]
	v_cmp_ne_u32_e64 s[28:29], 0, v5
	s_or_b64 s[28:29], s[28:29], vcc
                                        ; implicit-def: $vgpr30
	s_and_saveexec_b64 vcc, s[28:29]
	s_xor_b64 s[28:29], exec, vcc
; %bb.15253:                            ;   in Loop: Header=BB4_15069 Depth=3
	v_min_i32_e32 v1, 31, v5
	v_lshl_or_b32 v1, v1, 2, v3
	v_and_or_b32 v30, v0, 3, v1
                                        ; implicit-def: $vgpr3
; %bb.15254:                            ;   in Loop: Header=BB4_15069 Depth=3
	s_andn2_saveexec_b64 s[28:29], s[28:29]
; %bb.15255:                            ;   in Loop: Header=BB4_15069 Depth=3
	v_mov_b32_e32 v30, v3
; %bb.15256:                            ;   in Loop: Header=BB4_15069 Depth=3
	s_or_b64 exec, exec, s[28:29]
.LBB4_15257:                            ;   in Loop: Header=BB4_15069 Depth=3
	s_or_b64 exec, exec, s[38:39]
                                        ; implicit-def: $vgpr3
.LBB4_15258:                            ;   in Loop: Header=BB4_15069 Depth=3
	s_andn2_saveexec_b64 s[28:29], s[36:37]
; %bb.15259:                            ;   in Loop: Header=BB4_15069 Depth=3
	v_or_b32_e32 v30, 0x7b, v3
; %bb.15260:                            ;   in Loop: Header=BB4_15069 Depth=3
	s_or_b64 exec, exec, s[28:29]
                                        ; implicit-def: $vgpr5
                                        ; implicit-def: $vgpr0_vgpr1
.LBB4_15261:                            ;   in Loop: Header=BB4_15069 Depth=3
	s_andn2_saveexec_b64 s[28:29], s[34:35]
	s_cbranch_execz .LBB4_15267
; %bb.15262:                            ;   in Loop: Header=BB4_15069 Depth=3
	v_cmp_ne_u64_e32 vcc, 0, v[0:1]
                                        ; implicit-def: $vgpr30
	s_and_saveexec_b64 s[34:35], vcc
	s_xor_b64 vcc, exec, s[34:35]
; %bb.15263:                            ;   in Loop: Header=BB4_15069 Depth=3
	v_or_b32_sdwa v30, v5, s47 dst_sel:DWORD dst_unused:UNUSED_PAD src0_sel:BYTE_3 src1_sel:DWORD
                                        ; implicit-def: $vgpr5
; %bb.15264:                            ;   in Loop: Header=BB4_15069 Depth=3
	s_andn2_saveexec_b64 s[34:35], vcc
; %bb.15265:                            ;   in Loop: Header=BB4_15069 Depth=3
	v_cmp_lt_i32_e32 vcc, -1, v5
	v_cndmask_b32_e32 v30, -4, v52, vcc
; %bb.15266:                            ;   in Loop: Header=BB4_15069 Depth=3
	s_or_b64 exec, exec, s[34:35]
.LBB4_15267:                            ;   in Loop: Header=BB4_15069 Depth=3
	s_or_b64 exec, exec, s[28:29]
	flat_load_sbyte v0, v[8:9] offset:384 glc slc
	v_mov_b32_e32 v1, 0
	s_waitcnt vmcnt(0) lgkmcnt(0)
	v_cmp_ne_u16_e32 vcc, 0, v0
	s_and_saveexec_b64 s[28:29], vcc
	s_cbranch_execz .LBB4_15275
; %bb.15268:                            ;   in Loop: Header=BB4_15069 Depth=3
	v_cmp_ne_u16_e32 vcc, s97, v0
	v_bfrev_b32_e32 v1, 1
	s_and_saveexec_b64 s[34:35], vcc
	s_cbranch_execz .LBB4_15274
; %bb.15269:                            ;   in Loop: Header=BB4_15069 Depth=3
	v_and_b32_e32 v1, 0x7c, v0
	v_and_b32_e32 v3, 3, v0
	v_cmp_ne_u32_e32 vcc, s85, v1
                                        ; implicit-def: $vgpr1
	s_and_saveexec_b64 s[36:37], vcc
	s_xor_b64 s[36:37], exec, s[36:37]
	s_cbranch_execz .LBB4_15271
; %bb.15270:                            ;   in Loop: Header=BB4_15069 Depth=3
	v_and_b32_e32 v5, 0xff, v0
	v_bfe_u32 v14, v5, 2, 5
	v_ffbh_u32_e32 v5, v3
	v_min_u32_e32 v16, 32, v5
	v_mov_b32_e32 v1, v17
	v_subrev_u32_e32 v5, 29, v16
	v_lshlrev_b64 v[5:6], v5, v[0:1]
	v_sub_u32_e32 v1, 30, v16
	v_cmp_eq_u32_e32 vcc, 0, v14
	v_and_b32_e32 v5, 3, v5
	v_cndmask_b32_e32 v1, v14, v1, vcc
	v_and_b32_sdwa v0, sext(v0), s86 dst_sel:DWORD dst_unused:UNUSED_PAD src0_sel:WORD_0 src1_sel:DWORD
	v_cndmask_b32_e32 v3, v3, v5, vcc
	v_lshl_add_u32 v0, v1, 23, v0
	v_lshl_or_b32 v0, v3, 21, v0
	v_add_u32_e32 v1, 0x38000000, v0
                                        ; implicit-def: $vgpr3
                                        ; implicit-def: $vgpr0
.LBB4_15271:                            ;   in Loop: Header=BB4_15069 Depth=3
	s_andn2_saveexec_b64 s[36:37], s[36:37]
; %bb.15272:                            ;   in Loop: Header=BB4_15069 Depth=3
	v_cmp_lt_i16_e32 vcc, -1, v0
	v_mov_b32_e32 v0, 0xff800000
	v_mov_b32_e32 v1, 0x7f800000
	v_cndmask_b32_e32 v0, v0, v1, vcc
	v_cmp_eq_u32_e32 vcc, 0, v3
	v_mov_b32_e32 v1, 0x7f800001
	v_cndmask_b32_e32 v1, v1, v0, vcc
; %bb.15273:                            ;   in Loop: Header=BB4_15069 Depth=3
	s_or_b64 exec, exec, s[36:37]
.LBB4_15274:                            ;   in Loop: Header=BB4_15069 Depth=3
	s_or_b64 exec, exec, s[34:35]
.LBB4_15275:                            ;   in Loop: Header=BB4_15069 Depth=3
	s_or_b64 exec, exec, s[28:29]
	v_mul_f32_e32 v5, v7, v1
	v_and_b32_e32 v18, 0x7f800000, v5
	v_mov_b32_e32 v19, v17
	v_cmp_ne_u64_e32 vcc, s[76:77], v[18:19]
	v_and_b32_e32 v0, 0x7fffff, v5
	v_mov_b32_e32 v1, v17
                                        ; implicit-def: $vgpr20
	s_and_saveexec_b64 s[28:29], vcc
	s_xor_b64 s[34:35], exec, s[28:29]
	s_cbranch_execz .LBB4_15293
; %bb.15276:                            ;   in Loop: Header=BB4_15069 Depth=3
	v_and_b32_e32 v18, 0x7fffffff, v5
	v_mov_b32_e32 v19, v17
	v_cmp_gt_u64_e32 vcc, s[78:79], v[18:19]
	v_and_b32_sdwa v3, v5, s96 dst_sel:DWORD dst_unused:UNUSED_PAD src0_sel:BYTE_3 src1_sel:DWORD
                                        ; implicit-def: $vgpr20
	s_and_saveexec_b64 s[28:29], vcc
	s_xor_b64 s[36:37], exec, s[28:29]
	s_cbranch_execz .LBB4_15290
; %bb.15277:                            ;   in Loop: Header=BB4_15069 Depth=3
	v_cmp_ne_u32_e32 vcc, 0, v5
	v_mov_b32_e32 v20, 0
	s_and_saveexec_b64 s[38:39], vcc
	s_cbranch_execz .LBB4_15289
; %bb.15278:                            ;   in Loop: Header=BB4_15069 Depth=3
	v_bfe_u32 v14, v5, 23, 8
	v_cmp_gt_u32_e64 s[28:29], s46, v14
	v_sub_u32_e32 v5, 0x71, v14
	v_cmp_eq_u32_e32 vcc, 0, v14
	v_cndmask_b32_e64 v5, 0, v5, s[28:29]
	v_mov_b32_e32 v16, 0x70
	v_cndmask_b32_e32 v16, v5, v16, vcc
	v_or_b32_e32 v6, 0x800000, v0
	v_add_u32_e32 v5, 21, v16
	v_cndmask_b32_e32 v0, v6, v0, vcc
	v_lshlrev_b64 v[5:6], v5, -1
	v_add_u32_e32 v18, 20, v16
	v_bfi_b32 v5, v5, 0, v0
	v_lshlrev_b64 v[18:19], v18, 1
	v_lshrrev_b64 v[0:1], v16, v[0:1]
	v_bfi_b32 v6, v6, 0, 0
	v_cmp_eq_u64_e64 s[28:29], v[5:6], v[18:19]
	v_mov_b32_e32 v6, v1
	v_mov_b32_e32 v5, v0
	s_and_saveexec_b64 s[48:49], s[28:29]
; %bb.15279:                            ;   in Loop: Header=BB4_15069 Depth=3
	v_bfe_u32 v1, v0, 21, 1
	v_add_co_u32_e64 v1, s[28:29], v0, v1
	v_add_co_u32_e64 v5, s[28:29], -1, v1
; %bb.15280:                            ;   in Loop: Header=BB4_15069 Depth=3
	s_or_b64 exec, exec, s[48:49]
	v_add_u32_e32 v1, 0xffffff81, v14
	v_mov_b32_e32 v6, 0xffffff82
	v_cndmask_b32_e32 v1, v1, v6, vcc
	v_lshrrev_b32_e32 v6, 23, v0
	v_add3_u32 v14, v16, v1, v6
	v_add_u32_e32 v6, 14, v14
	v_and_b32_e32 v1, 0x1fffff, v5
	v_add_u32_e32 v0, v1, v0
	v_mov_b32_e32 v1, v17
	v_cmp_ne_u32_e32 vcc, 0, v6
                                        ; implicit-def: $vgpr5
	s_and_saveexec_b64 s[28:29], vcc
	s_xor_b64 s[28:29], exec, s[28:29]
; %bb.15281:                            ;   in Loop: Header=BB4_15069 Depth=3
	v_cmp_lt_u64_e32 vcc, s[88:89], v[0:1]
	v_add_u32_e32 v5, 15, v14
	v_cndmask_b32_e32 v5, v6, v5, vcc
	v_cndmask_b32_e64 v6, 0, 1, vcc
	v_lshrrev_b64 v[0:1], v6, v[0:1]
; %bb.15282:                            ;   in Loop: Header=BB4_15069 Depth=3
	s_andn2_saveexec_b64 s[28:29], s[28:29]
; %bb.15283:                            ;   in Loop: Header=BB4_15069 Depth=3
	v_bfe_u32 v5, v0, 23, 1
; %bb.15284:                            ;   in Loop: Header=BB4_15069 Depth=3
	s_or_b64 exec, exec, s[28:29]
	v_lshrrev_b64 v[0:1], 21, v[0:1]
	v_cmp_gt_i32_e32 vcc, 32, v5
	v_cndmask_b32_e32 v1, 0, v1, vcc
	v_cndmask_b32_e32 v0, 3, v0, vcc
	v_cmp_ne_u64_e32 vcc, 0, v[0:1]
	v_cmp_ne_u32_e64 s[28:29], 0, v5
	s_or_b64 s[28:29], s[28:29], vcc
                                        ; implicit-def: $vgpr20
	s_and_saveexec_b64 vcc, s[28:29]
	s_xor_b64 s[28:29], exec, vcc
; %bb.15285:                            ;   in Loop: Header=BB4_15069 Depth=3
	v_min_i32_e32 v1, 31, v5
	v_lshl_or_b32 v1, v1, 2, v3
	v_and_or_b32 v20, v0, 3, v1
                                        ; implicit-def: $vgpr3
; %bb.15286:                            ;   in Loop: Header=BB4_15069 Depth=3
	s_andn2_saveexec_b64 s[28:29], s[28:29]
; %bb.15287:                            ;   in Loop: Header=BB4_15069 Depth=3
	v_mov_b32_e32 v20, v3
; %bb.15288:                            ;   in Loop: Header=BB4_15069 Depth=3
	s_or_b64 exec, exec, s[28:29]
.LBB4_15289:                            ;   in Loop: Header=BB4_15069 Depth=3
	s_or_b64 exec, exec, s[38:39]
                                        ; implicit-def: $vgpr3
.LBB4_15290:                            ;   in Loop: Header=BB4_15069 Depth=3
	s_andn2_saveexec_b64 s[28:29], s[36:37]
; %bb.15291:                            ;   in Loop: Header=BB4_15069 Depth=3
	v_or_b32_e32 v20, 0x7b, v3
; %bb.15292:                            ;   in Loop: Header=BB4_15069 Depth=3
	s_or_b64 exec, exec, s[28:29]
                                        ; implicit-def: $vgpr5
                                        ; implicit-def: $vgpr0_vgpr1
.LBB4_15293:                            ;   in Loop: Header=BB4_15069 Depth=3
	s_andn2_saveexec_b64 s[28:29], s[34:35]
	s_cbranch_execz .LBB4_15299
; %bb.15294:                            ;   in Loop: Header=BB4_15069 Depth=3
	v_cmp_ne_u64_e32 vcc, 0, v[0:1]
                                        ; implicit-def: $vgpr20
	s_and_saveexec_b64 s[34:35], vcc
	s_xor_b64 vcc, exec, s[34:35]
; %bb.15295:                            ;   in Loop: Header=BB4_15069 Depth=3
	v_or_b32_sdwa v20, v5, s47 dst_sel:DWORD dst_unused:UNUSED_PAD src0_sel:BYTE_3 src1_sel:DWORD
                                        ; implicit-def: $vgpr5
; %bb.15296:                            ;   in Loop: Header=BB4_15069 Depth=3
	s_andn2_saveexec_b64 s[34:35], vcc
; %bb.15297:                            ;   in Loop: Header=BB4_15069 Depth=3
	v_cmp_lt_i32_e32 vcc, -1, v5
	v_cndmask_b32_e32 v20, -4, v52, vcc
; %bb.15298:                            ;   in Loop: Header=BB4_15069 Depth=3
	s_or_b64 exec, exec, s[34:35]
.LBB4_15299:                            ;   in Loop: Header=BB4_15069 Depth=3
	s_or_b64 exec, exec, s[28:29]
	flat_load_sbyte v0, v[8:9] offset:448 glc slc
	v_mov_b32_e32 v1, 0
	s_waitcnt vmcnt(0) lgkmcnt(0)
	v_cmp_ne_u16_e32 vcc, 0, v0
	s_and_saveexec_b64 s[28:29], vcc
	s_cbranch_execz .LBB4_15307
; %bb.15300:                            ;   in Loop: Header=BB4_15069 Depth=3
	v_cmp_ne_u16_e32 vcc, s97, v0
	v_bfrev_b32_e32 v1, 1
	s_and_saveexec_b64 s[34:35], vcc
	s_cbranch_execz .LBB4_15306
; %bb.15301:                            ;   in Loop: Header=BB4_15069 Depth=3
	v_and_b32_e32 v1, 0x7c, v0
	v_and_b32_e32 v3, 3, v0
	v_cmp_ne_u32_e32 vcc, s85, v1
                                        ; implicit-def: $vgpr1
	s_and_saveexec_b64 s[36:37], vcc
	s_xor_b64 s[36:37], exec, s[36:37]
	s_cbranch_execz .LBB4_15303
; %bb.15302:                            ;   in Loop: Header=BB4_15069 Depth=3
	v_and_b32_e32 v5, 0xff, v0
	v_bfe_u32 v14, v5, 2, 5
	v_ffbh_u32_e32 v5, v3
	v_min_u32_e32 v16, 32, v5
	v_mov_b32_e32 v1, v17
	v_subrev_u32_e32 v5, 29, v16
	v_lshlrev_b64 v[5:6], v5, v[0:1]
	v_sub_u32_e32 v1, 30, v16
	v_cmp_eq_u32_e32 vcc, 0, v14
	v_and_b32_e32 v5, 3, v5
	v_cndmask_b32_e32 v1, v14, v1, vcc
	v_and_b32_sdwa v0, sext(v0), s86 dst_sel:DWORD dst_unused:UNUSED_PAD src0_sel:WORD_0 src1_sel:DWORD
	v_cndmask_b32_e32 v3, v3, v5, vcc
	v_lshl_add_u32 v0, v1, 23, v0
	v_lshl_or_b32 v0, v3, 21, v0
	v_add_u32_e32 v1, 0x38000000, v0
                                        ; implicit-def: $vgpr3
                                        ; implicit-def: $vgpr0
.LBB4_15303:                            ;   in Loop: Header=BB4_15069 Depth=3
	s_andn2_saveexec_b64 s[36:37], s[36:37]
; %bb.15304:                            ;   in Loop: Header=BB4_15069 Depth=3
	v_cmp_lt_i16_e32 vcc, -1, v0
	v_mov_b32_e32 v0, 0xff800000
	v_mov_b32_e32 v1, 0x7f800000
	v_cndmask_b32_e32 v0, v0, v1, vcc
	v_cmp_eq_u32_e32 vcc, 0, v3
	v_mov_b32_e32 v1, 0x7f800001
	v_cndmask_b32_e32 v1, v1, v0, vcc
; %bb.15305:                            ;   in Loop: Header=BB4_15069 Depth=3
	s_or_b64 exec, exec, s[36:37]
.LBB4_15306:                            ;   in Loop: Header=BB4_15069 Depth=3
	s_or_b64 exec, exec, s[34:35]
.LBB4_15307:                            ;   in Loop: Header=BB4_15069 Depth=3
	s_or_b64 exec, exec, s[28:29]
	v_mul_f32_e32 v5, v7, v1
	v_and_b32_e32 v18, 0x7f800000, v5
	v_mov_b32_e32 v19, v17
	v_cmp_ne_u64_e32 vcc, s[76:77], v[18:19]
	v_and_b32_e32 v0, 0x7fffff, v5
	v_mov_b32_e32 v1, v17
                                        ; implicit-def: $vgpr19
	s_and_saveexec_b64 s[28:29], vcc
	s_xor_b64 s[34:35], exec, s[28:29]
	s_cbranch_execz .LBB4_15325
; %bb.15308:                            ;   in Loop: Header=BB4_15069 Depth=3
	v_and_b32_e32 v18, 0x7fffffff, v5
	v_mov_b32_e32 v19, v17
	v_cmp_gt_u64_e32 vcc, s[78:79], v[18:19]
	v_and_b32_sdwa v3, v5, s96 dst_sel:DWORD dst_unused:UNUSED_PAD src0_sel:BYTE_3 src1_sel:DWORD
                                        ; implicit-def: $vgpr19
	s_and_saveexec_b64 s[28:29], vcc
	s_xor_b64 s[36:37], exec, s[28:29]
	s_cbranch_execz .LBB4_15322
; %bb.15309:                            ;   in Loop: Header=BB4_15069 Depth=3
	v_cmp_ne_u32_e32 vcc, 0, v5
	v_mov_b32_e32 v19, 0
	s_and_saveexec_b64 s[38:39], vcc
	s_cbranch_execz .LBB4_15321
; %bb.15310:                            ;   in Loop: Header=BB4_15069 Depth=3
	v_bfe_u32 v14, v5, 23, 8
	v_cmp_gt_u32_e64 s[28:29], s46, v14
	v_sub_u32_e32 v5, 0x71, v14
	v_cmp_eq_u32_e32 vcc, 0, v14
	v_cndmask_b32_e64 v5, 0, v5, s[28:29]
	v_mov_b32_e32 v16, 0x70
	v_cndmask_b32_e32 v16, v5, v16, vcc
	v_or_b32_e32 v6, 0x800000, v0
	v_add_u32_e32 v5, 21, v16
	v_cndmask_b32_e32 v0, v6, v0, vcc
	v_lshlrev_b64 v[5:6], v5, -1
	v_add_u32_e32 v18, 20, v16
	v_bfi_b32 v5, v5, 0, v0
	v_lshlrev_b64 v[18:19], v18, 1
	v_lshrrev_b64 v[0:1], v16, v[0:1]
	v_bfi_b32 v6, v6, 0, 0
	v_cmp_eq_u64_e64 s[28:29], v[5:6], v[18:19]
	v_mov_b32_e32 v6, v1
	v_mov_b32_e32 v5, v0
	s_and_saveexec_b64 s[48:49], s[28:29]
; %bb.15311:                            ;   in Loop: Header=BB4_15069 Depth=3
	v_bfe_u32 v1, v0, 21, 1
	v_add_co_u32_e64 v1, s[28:29], v0, v1
	v_add_co_u32_e64 v5, s[28:29], -1, v1
; %bb.15312:                            ;   in Loop: Header=BB4_15069 Depth=3
	s_or_b64 exec, exec, s[48:49]
	v_add_u32_e32 v1, 0xffffff81, v14
	v_mov_b32_e32 v6, 0xffffff82
	v_cndmask_b32_e32 v1, v1, v6, vcc
	v_lshrrev_b32_e32 v6, 23, v0
	v_add3_u32 v14, v16, v1, v6
	v_add_u32_e32 v6, 14, v14
	v_and_b32_e32 v1, 0x1fffff, v5
	v_add_u32_e32 v0, v1, v0
	v_mov_b32_e32 v1, v17
	v_cmp_ne_u32_e32 vcc, 0, v6
                                        ; implicit-def: $vgpr5
	s_and_saveexec_b64 s[28:29], vcc
	s_xor_b64 s[28:29], exec, s[28:29]
; %bb.15313:                            ;   in Loop: Header=BB4_15069 Depth=3
	v_cmp_lt_u64_e32 vcc, s[88:89], v[0:1]
	v_add_u32_e32 v5, 15, v14
	v_cndmask_b32_e32 v5, v6, v5, vcc
	v_cndmask_b32_e64 v6, 0, 1, vcc
	v_lshrrev_b64 v[0:1], v6, v[0:1]
; %bb.15314:                            ;   in Loop: Header=BB4_15069 Depth=3
	s_andn2_saveexec_b64 s[28:29], s[28:29]
; %bb.15315:                            ;   in Loop: Header=BB4_15069 Depth=3
	v_bfe_u32 v5, v0, 23, 1
; %bb.15316:                            ;   in Loop: Header=BB4_15069 Depth=3
	s_or_b64 exec, exec, s[28:29]
	v_lshrrev_b64 v[0:1], 21, v[0:1]
	v_cmp_gt_i32_e32 vcc, 32, v5
	v_cndmask_b32_e32 v1, 0, v1, vcc
	v_cndmask_b32_e32 v0, 3, v0, vcc
	v_cmp_ne_u64_e32 vcc, 0, v[0:1]
	v_cmp_ne_u32_e64 s[28:29], 0, v5
	s_or_b64 s[28:29], s[28:29], vcc
                                        ; implicit-def: $vgpr19
	s_and_saveexec_b64 vcc, s[28:29]
	s_xor_b64 s[28:29], exec, vcc
; %bb.15317:                            ;   in Loop: Header=BB4_15069 Depth=3
	v_min_i32_e32 v1, 31, v5
	v_lshl_or_b32 v1, v1, 2, v3
	v_and_or_b32 v19, v0, 3, v1
                                        ; implicit-def: $vgpr3
; %bb.15318:                            ;   in Loop: Header=BB4_15069 Depth=3
	s_andn2_saveexec_b64 s[28:29], s[28:29]
; %bb.15319:                            ;   in Loop: Header=BB4_15069 Depth=3
	v_mov_b32_e32 v19, v3
; %bb.15320:                            ;   in Loop: Header=BB4_15069 Depth=3
	s_or_b64 exec, exec, s[28:29]
.LBB4_15321:                            ;   in Loop: Header=BB4_15069 Depth=3
	s_or_b64 exec, exec, s[38:39]
                                        ; implicit-def: $vgpr3
.LBB4_15322:                            ;   in Loop: Header=BB4_15069 Depth=3
	s_andn2_saveexec_b64 s[28:29], s[36:37]
; %bb.15323:                            ;   in Loop: Header=BB4_15069 Depth=3
	v_or_b32_e32 v19, 0x7b, v3
; %bb.15324:                            ;   in Loop: Header=BB4_15069 Depth=3
	s_or_b64 exec, exec, s[28:29]
                                        ; implicit-def: $vgpr5
                                        ; implicit-def: $vgpr0_vgpr1
.LBB4_15325:                            ;   in Loop: Header=BB4_15069 Depth=3
	s_andn2_saveexec_b64 s[28:29], s[34:35]
	s_cbranch_execz .LBB4_15331
; %bb.15326:                            ;   in Loop: Header=BB4_15069 Depth=3
	v_cmp_ne_u64_e32 vcc, 0, v[0:1]
                                        ; implicit-def: $vgpr19
	s_and_saveexec_b64 s[34:35], vcc
	s_xor_b64 vcc, exec, s[34:35]
; %bb.15327:                            ;   in Loop: Header=BB4_15069 Depth=3
	v_or_b32_sdwa v19, v5, s47 dst_sel:DWORD dst_unused:UNUSED_PAD src0_sel:BYTE_3 src1_sel:DWORD
                                        ; implicit-def: $vgpr5
; %bb.15328:                            ;   in Loop: Header=BB4_15069 Depth=3
	s_andn2_saveexec_b64 s[34:35], vcc
; %bb.15329:                            ;   in Loop: Header=BB4_15069 Depth=3
	v_cmp_lt_i32_e32 vcc, -1, v5
	v_cndmask_b32_e32 v19, -4, v52, vcc
; %bb.15330:                            ;   in Loop: Header=BB4_15069 Depth=3
	s_or_b64 exec, exec, s[34:35]
.LBB4_15331:                            ;   in Loop: Header=BB4_15069 Depth=3
	s_or_b64 exec, exec, s[28:29]
	flat_load_sbyte v0, v[8:9] offset:512 glc slc
	v_mov_b32_e32 v1, 0
	s_waitcnt vmcnt(0) lgkmcnt(0)
	v_cmp_ne_u16_e32 vcc, 0, v0
	s_and_saveexec_b64 s[28:29], vcc
	s_cbranch_execz .LBB4_15339
; %bb.15332:                            ;   in Loop: Header=BB4_15069 Depth=3
	v_cmp_ne_u16_e32 vcc, s97, v0
	v_bfrev_b32_e32 v1, 1
	s_and_saveexec_b64 s[34:35], vcc
	s_cbranch_execz .LBB4_15338
; %bb.15333:                            ;   in Loop: Header=BB4_15069 Depth=3
	v_and_b32_e32 v1, 0x7c, v0
	v_and_b32_e32 v3, 3, v0
	v_cmp_ne_u32_e32 vcc, s85, v1
                                        ; implicit-def: $vgpr1
	s_and_saveexec_b64 s[36:37], vcc
	s_xor_b64 s[36:37], exec, s[36:37]
	s_cbranch_execz .LBB4_15335
; %bb.15334:                            ;   in Loop: Header=BB4_15069 Depth=3
	v_and_b32_e32 v5, 0xff, v0
	v_bfe_u32 v14, v5, 2, 5
	v_ffbh_u32_e32 v5, v3
	v_min_u32_e32 v16, 32, v5
	v_mov_b32_e32 v1, v17
	v_subrev_u32_e32 v5, 29, v16
	v_lshlrev_b64 v[5:6], v5, v[0:1]
	v_sub_u32_e32 v1, 30, v16
	v_cmp_eq_u32_e32 vcc, 0, v14
	v_and_b32_e32 v5, 3, v5
	v_cndmask_b32_e32 v1, v14, v1, vcc
	v_and_b32_sdwa v0, sext(v0), s86 dst_sel:DWORD dst_unused:UNUSED_PAD src0_sel:WORD_0 src1_sel:DWORD
	v_cndmask_b32_e32 v3, v3, v5, vcc
	v_lshl_add_u32 v0, v1, 23, v0
	v_lshl_or_b32 v0, v3, 21, v0
	v_add_u32_e32 v1, 0x38000000, v0
                                        ; implicit-def: $vgpr3
                                        ; implicit-def: $vgpr0
.LBB4_15335:                            ;   in Loop: Header=BB4_15069 Depth=3
	s_andn2_saveexec_b64 s[36:37], s[36:37]
; %bb.15336:                            ;   in Loop: Header=BB4_15069 Depth=3
	v_cmp_lt_i16_e32 vcc, -1, v0
	v_mov_b32_e32 v0, 0xff800000
	v_mov_b32_e32 v1, 0x7f800000
	v_cndmask_b32_e32 v0, v0, v1, vcc
	v_cmp_eq_u32_e32 vcc, 0, v3
	v_mov_b32_e32 v1, 0x7f800001
	v_cndmask_b32_e32 v1, v1, v0, vcc
; %bb.15337:                            ;   in Loop: Header=BB4_15069 Depth=3
	s_or_b64 exec, exec, s[36:37]
.LBB4_15338:                            ;   in Loop: Header=BB4_15069 Depth=3
	s_or_b64 exec, exec, s[34:35]
.LBB4_15339:                            ;   in Loop: Header=BB4_15069 Depth=3
	s_or_b64 exec, exec, s[28:29]
	v_mul_f32_e32 v5, v7, v1
	v_and_b32_e32 v24, 0x7f800000, v5
	v_mov_b32_e32 v25, v17
	v_cmp_ne_u64_e32 vcc, s[76:77], v[24:25]
	v_and_b32_e32 v0, 0x7fffff, v5
	v_mov_b32_e32 v1, v17
                                        ; implicit-def: $vgpr18
	s_and_saveexec_b64 s[28:29], vcc
	s_xor_b64 s[34:35], exec, s[28:29]
	s_cbranch_execz .LBB4_15357
; %bb.15340:                            ;   in Loop: Header=BB4_15069 Depth=3
	v_and_b32_e32 v24, 0x7fffffff, v5
	v_mov_b32_e32 v25, v17
	v_cmp_gt_u64_e32 vcc, s[78:79], v[24:25]
	v_and_b32_sdwa v3, v5, s96 dst_sel:DWORD dst_unused:UNUSED_PAD src0_sel:BYTE_3 src1_sel:DWORD
                                        ; implicit-def: $vgpr18
	s_and_saveexec_b64 s[28:29], vcc
	s_xor_b64 s[36:37], exec, s[28:29]
	s_cbranch_execz .LBB4_15354
; %bb.15341:                            ;   in Loop: Header=BB4_15069 Depth=3
	v_cmp_ne_u32_e32 vcc, 0, v5
	v_mov_b32_e32 v18, 0
	s_and_saveexec_b64 s[38:39], vcc
	s_cbranch_execz .LBB4_15353
; %bb.15342:                            ;   in Loop: Header=BB4_15069 Depth=3
	v_bfe_u32 v14, v5, 23, 8
	v_cmp_gt_u32_e64 s[28:29], s46, v14
	v_sub_u32_e32 v5, 0x71, v14
	v_cmp_eq_u32_e32 vcc, 0, v14
	v_cndmask_b32_e64 v5, 0, v5, s[28:29]
	v_mov_b32_e32 v16, 0x70
	v_cndmask_b32_e32 v16, v5, v16, vcc
	v_or_b32_e32 v6, 0x800000, v0
	v_add_u32_e32 v5, 21, v16
	v_cndmask_b32_e32 v0, v6, v0, vcc
	v_lshlrev_b64 v[5:6], v5, -1
	v_add_u32_e32 v18, 20, v16
	v_bfi_b32 v5, v5, 0, v0
	v_lshlrev_b64 v[24:25], v18, 1
	v_lshrrev_b64 v[0:1], v16, v[0:1]
	v_bfi_b32 v6, v6, 0, 0
	v_cmp_eq_u64_e64 s[28:29], v[5:6], v[24:25]
	v_mov_b32_e32 v6, v1
	v_mov_b32_e32 v5, v0
	s_and_saveexec_b64 s[48:49], s[28:29]
; %bb.15343:                            ;   in Loop: Header=BB4_15069 Depth=3
	v_bfe_u32 v1, v0, 21, 1
	v_add_co_u32_e64 v1, s[28:29], v0, v1
	v_add_co_u32_e64 v5, s[28:29], -1, v1
; %bb.15344:                            ;   in Loop: Header=BB4_15069 Depth=3
	s_or_b64 exec, exec, s[48:49]
	v_add_u32_e32 v1, 0xffffff81, v14
	v_mov_b32_e32 v6, 0xffffff82
	v_cndmask_b32_e32 v1, v1, v6, vcc
	v_lshrrev_b32_e32 v6, 23, v0
	v_add3_u32 v14, v16, v1, v6
	v_add_u32_e32 v6, 14, v14
	v_and_b32_e32 v1, 0x1fffff, v5
	v_add_u32_e32 v0, v1, v0
	v_mov_b32_e32 v1, v17
	v_cmp_ne_u32_e32 vcc, 0, v6
                                        ; implicit-def: $vgpr5
	s_and_saveexec_b64 s[28:29], vcc
	s_xor_b64 s[28:29], exec, s[28:29]
; %bb.15345:                            ;   in Loop: Header=BB4_15069 Depth=3
	v_cmp_lt_u64_e32 vcc, s[88:89], v[0:1]
	v_add_u32_e32 v5, 15, v14
	v_cndmask_b32_e32 v5, v6, v5, vcc
	v_cndmask_b32_e64 v6, 0, 1, vcc
	v_lshrrev_b64 v[0:1], v6, v[0:1]
; %bb.15346:                            ;   in Loop: Header=BB4_15069 Depth=3
	s_andn2_saveexec_b64 s[28:29], s[28:29]
; %bb.15347:                            ;   in Loop: Header=BB4_15069 Depth=3
	v_bfe_u32 v5, v0, 23, 1
; %bb.15348:                            ;   in Loop: Header=BB4_15069 Depth=3
	s_or_b64 exec, exec, s[28:29]
	v_lshrrev_b64 v[0:1], 21, v[0:1]
	v_cmp_gt_i32_e32 vcc, 32, v5
	v_cndmask_b32_e32 v1, 0, v1, vcc
	v_cndmask_b32_e32 v0, 3, v0, vcc
	v_cmp_ne_u64_e32 vcc, 0, v[0:1]
	v_cmp_ne_u32_e64 s[28:29], 0, v5
	s_or_b64 s[28:29], s[28:29], vcc
                                        ; implicit-def: $vgpr18
	s_and_saveexec_b64 vcc, s[28:29]
	s_xor_b64 s[28:29], exec, vcc
; %bb.15349:                            ;   in Loop: Header=BB4_15069 Depth=3
	v_min_i32_e32 v1, 31, v5
	v_lshl_or_b32 v1, v1, 2, v3
	v_and_or_b32 v18, v0, 3, v1
                                        ; implicit-def: $vgpr3
; %bb.15350:                            ;   in Loop: Header=BB4_15069 Depth=3
	s_andn2_saveexec_b64 s[28:29], s[28:29]
; %bb.15351:                            ;   in Loop: Header=BB4_15069 Depth=3
	v_mov_b32_e32 v18, v3
; %bb.15352:                            ;   in Loop: Header=BB4_15069 Depth=3
	s_or_b64 exec, exec, s[28:29]
.LBB4_15353:                            ;   in Loop: Header=BB4_15069 Depth=3
	s_or_b64 exec, exec, s[38:39]
                                        ; implicit-def: $vgpr3
.LBB4_15354:                            ;   in Loop: Header=BB4_15069 Depth=3
	s_andn2_saveexec_b64 s[28:29], s[36:37]
; %bb.15355:                            ;   in Loop: Header=BB4_15069 Depth=3
	v_or_b32_e32 v18, 0x7b, v3
; %bb.15356:                            ;   in Loop: Header=BB4_15069 Depth=3
	s_or_b64 exec, exec, s[28:29]
                                        ; implicit-def: $vgpr5
                                        ; implicit-def: $vgpr0_vgpr1
.LBB4_15357:                            ;   in Loop: Header=BB4_15069 Depth=3
	s_andn2_saveexec_b64 s[28:29], s[34:35]
	s_cbranch_execz .LBB4_15363
; %bb.15358:                            ;   in Loop: Header=BB4_15069 Depth=3
	v_cmp_ne_u64_e32 vcc, 0, v[0:1]
                                        ; implicit-def: $vgpr18
	s_and_saveexec_b64 s[34:35], vcc
	s_xor_b64 vcc, exec, s[34:35]
; %bb.15359:                            ;   in Loop: Header=BB4_15069 Depth=3
	v_or_b32_sdwa v18, v5, s47 dst_sel:DWORD dst_unused:UNUSED_PAD src0_sel:BYTE_3 src1_sel:DWORD
                                        ; implicit-def: $vgpr5
; %bb.15360:                            ;   in Loop: Header=BB4_15069 Depth=3
	s_andn2_saveexec_b64 s[34:35], vcc
; %bb.15361:                            ;   in Loop: Header=BB4_15069 Depth=3
	v_cmp_lt_i32_e32 vcc, -1, v5
	v_cndmask_b32_e32 v18, -4, v52, vcc
; %bb.15362:                            ;   in Loop: Header=BB4_15069 Depth=3
	s_or_b64 exec, exec, s[34:35]
.LBB4_15363:                            ;   in Loop: Header=BB4_15069 Depth=3
	s_or_b64 exec, exec, s[28:29]
	flat_load_sbyte v0, v[8:9] offset:576 glc slc
	v_mov_b32_e32 v1, 0
	s_waitcnt vmcnt(0) lgkmcnt(0)
	v_cmp_ne_u16_e32 vcc, 0, v0
	s_and_saveexec_b64 s[28:29], vcc
	s_cbranch_execz .LBB4_15371
; %bb.15364:                            ;   in Loop: Header=BB4_15069 Depth=3
	v_cmp_ne_u16_e32 vcc, s97, v0
	v_bfrev_b32_e32 v1, 1
	s_and_saveexec_b64 s[34:35], vcc
	s_cbranch_execz .LBB4_15370
; %bb.15365:                            ;   in Loop: Header=BB4_15069 Depth=3
	v_and_b32_e32 v1, 0x7c, v0
	v_and_b32_e32 v3, 3, v0
	v_cmp_ne_u32_e32 vcc, s85, v1
                                        ; implicit-def: $vgpr1
	s_and_saveexec_b64 s[36:37], vcc
	s_xor_b64 s[36:37], exec, s[36:37]
	s_cbranch_execz .LBB4_15367
; %bb.15366:                            ;   in Loop: Header=BB4_15069 Depth=3
	v_and_b32_e32 v5, 0xff, v0
	v_bfe_u32 v14, v5, 2, 5
	v_ffbh_u32_e32 v5, v3
	v_min_u32_e32 v16, 32, v5
	v_mov_b32_e32 v1, v17
	v_subrev_u32_e32 v5, 29, v16
	v_lshlrev_b64 v[5:6], v5, v[0:1]
	v_sub_u32_e32 v1, 30, v16
	v_cmp_eq_u32_e32 vcc, 0, v14
	v_and_b32_e32 v5, 3, v5
	v_cndmask_b32_e32 v1, v14, v1, vcc
	v_and_b32_sdwa v0, sext(v0), s86 dst_sel:DWORD dst_unused:UNUSED_PAD src0_sel:WORD_0 src1_sel:DWORD
	v_cndmask_b32_e32 v3, v3, v5, vcc
	v_lshl_add_u32 v0, v1, 23, v0
	v_lshl_or_b32 v0, v3, 21, v0
	v_add_u32_e32 v1, 0x38000000, v0
                                        ; implicit-def: $vgpr3
                                        ; implicit-def: $vgpr0
.LBB4_15367:                            ;   in Loop: Header=BB4_15069 Depth=3
	s_andn2_saveexec_b64 s[36:37], s[36:37]
; %bb.15368:                            ;   in Loop: Header=BB4_15069 Depth=3
	v_cmp_lt_i16_e32 vcc, -1, v0
	v_mov_b32_e32 v0, 0xff800000
	v_mov_b32_e32 v1, 0x7f800000
	v_cndmask_b32_e32 v0, v0, v1, vcc
	v_cmp_eq_u32_e32 vcc, 0, v3
	v_mov_b32_e32 v1, 0x7f800001
	v_cndmask_b32_e32 v1, v1, v0, vcc
; %bb.15369:                            ;   in Loop: Header=BB4_15069 Depth=3
	s_or_b64 exec, exec, s[36:37]
.LBB4_15370:                            ;   in Loop: Header=BB4_15069 Depth=3
	s_or_b64 exec, exec, s[34:35]
.LBB4_15371:                            ;   in Loop: Header=BB4_15069 Depth=3
	s_or_b64 exec, exec, s[28:29]
	v_mul_f32_e32 v5, v7, v1
	v_and_b32_e32 v24, 0x7f800000, v5
	v_mov_b32_e32 v25, v17
	v_cmp_ne_u64_e32 vcc, s[76:77], v[24:25]
	v_and_b32_e32 v0, 0x7fffff, v5
	v_mov_b32_e32 v1, v17
                                        ; implicit-def: $vgpr44
	s_and_saveexec_b64 s[28:29], vcc
	s_xor_b64 s[34:35], exec, s[28:29]
	s_cbranch_execz .LBB4_15389
; %bb.15372:                            ;   in Loop: Header=BB4_15069 Depth=3
	v_and_b32_e32 v24, 0x7fffffff, v5
	v_mov_b32_e32 v25, v17
	v_cmp_gt_u64_e32 vcc, s[78:79], v[24:25]
	v_and_b32_sdwa v3, v5, s96 dst_sel:DWORD dst_unused:UNUSED_PAD src0_sel:BYTE_3 src1_sel:DWORD
                                        ; implicit-def: $vgpr44
	s_and_saveexec_b64 s[28:29], vcc
	s_xor_b64 s[36:37], exec, s[28:29]
	s_cbranch_execz .LBB4_15386
; %bb.15373:                            ;   in Loop: Header=BB4_15069 Depth=3
	v_cmp_ne_u32_e32 vcc, 0, v5
	v_mov_b32_e32 v44, 0
	s_and_saveexec_b64 s[38:39], vcc
	s_cbranch_execz .LBB4_15385
; %bb.15374:                            ;   in Loop: Header=BB4_15069 Depth=3
	v_bfe_u32 v14, v5, 23, 8
	v_cmp_gt_u32_e64 s[28:29], s46, v14
	v_sub_u32_e32 v5, 0x71, v14
	v_cmp_eq_u32_e32 vcc, 0, v14
	v_cndmask_b32_e64 v5, 0, v5, s[28:29]
	v_mov_b32_e32 v16, 0x70
	v_cndmask_b32_e32 v16, v5, v16, vcc
	v_or_b32_e32 v6, 0x800000, v0
	v_add_u32_e32 v5, 21, v16
	v_cndmask_b32_e32 v0, v6, v0, vcc
	v_lshlrev_b64 v[5:6], v5, -1
	v_add_u32_e32 v21, 20, v16
	v_bfi_b32 v5, v5, 0, v0
	v_lshlrev_b64 v[24:25], v21, 1
	v_lshrrev_b64 v[0:1], v16, v[0:1]
	v_bfi_b32 v6, v6, 0, 0
	v_cmp_eq_u64_e64 s[28:29], v[5:6], v[24:25]
	v_mov_b32_e32 v6, v1
	v_mov_b32_e32 v5, v0
	s_and_saveexec_b64 s[48:49], s[28:29]
; %bb.15375:                            ;   in Loop: Header=BB4_15069 Depth=3
	v_bfe_u32 v1, v0, 21, 1
	v_add_co_u32_e64 v1, s[28:29], v0, v1
	v_add_co_u32_e64 v5, s[28:29], -1, v1
; %bb.15376:                            ;   in Loop: Header=BB4_15069 Depth=3
	s_or_b64 exec, exec, s[48:49]
	v_add_u32_e32 v1, 0xffffff81, v14
	v_mov_b32_e32 v6, 0xffffff82
	v_cndmask_b32_e32 v1, v1, v6, vcc
	v_lshrrev_b32_e32 v6, 23, v0
	v_add3_u32 v14, v16, v1, v6
	v_add_u32_e32 v6, 14, v14
	v_and_b32_e32 v1, 0x1fffff, v5
	v_add_u32_e32 v0, v1, v0
	v_mov_b32_e32 v1, v17
	v_cmp_ne_u32_e32 vcc, 0, v6
                                        ; implicit-def: $vgpr5
	s_and_saveexec_b64 s[28:29], vcc
	s_xor_b64 s[28:29], exec, s[28:29]
; %bb.15377:                            ;   in Loop: Header=BB4_15069 Depth=3
	v_cmp_lt_u64_e32 vcc, s[88:89], v[0:1]
	v_add_u32_e32 v5, 15, v14
	v_cndmask_b32_e32 v5, v6, v5, vcc
	v_cndmask_b32_e64 v6, 0, 1, vcc
	v_lshrrev_b64 v[0:1], v6, v[0:1]
; %bb.15378:                            ;   in Loop: Header=BB4_15069 Depth=3
	s_andn2_saveexec_b64 s[28:29], s[28:29]
; %bb.15379:                            ;   in Loop: Header=BB4_15069 Depth=3
	v_bfe_u32 v5, v0, 23, 1
; %bb.15380:                            ;   in Loop: Header=BB4_15069 Depth=3
	s_or_b64 exec, exec, s[28:29]
	v_lshrrev_b64 v[0:1], 21, v[0:1]
	v_cmp_gt_i32_e32 vcc, 32, v5
	v_cndmask_b32_e32 v1, 0, v1, vcc
	v_cndmask_b32_e32 v0, 3, v0, vcc
	v_cmp_ne_u64_e32 vcc, 0, v[0:1]
	v_cmp_ne_u32_e64 s[28:29], 0, v5
	s_or_b64 s[28:29], s[28:29], vcc
                                        ; implicit-def: $vgpr44
	s_and_saveexec_b64 vcc, s[28:29]
	s_xor_b64 s[28:29], exec, vcc
; %bb.15381:                            ;   in Loop: Header=BB4_15069 Depth=3
	v_min_i32_e32 v1, 31, v5
	v_lshl_or_b32 v1, v1, 2, v3
	v_and_or_b32 v44, v0, 3, v1
                                        ; implicit-def: $vgpr3
; %bb.15382:                            ;   in Loop: Header=BB4_15069 Depth=3
	s_andn2_saveexec_b64 s[28:29], s[28:29]
; %bb.15383:                            ;   in Loop: Header=BB4_15069 Depth=3
	v_mov_b32_e32 v44, v3
; %bb.15384:                            ;   in Loop: Header=BB4_15069 Depth=3
	s_or_b64 exec, exec, s[28:29]
.LBB4_15385:                            ;   in Loop: Header=BB4_15069 Depth=3
	s_or_b64 exec, exec, s[38:39]
                                        ; implicit-def: $vgpr3
.LBB4_15386:                            ;   in Loop: Header=BB4_15069 Depth=3
	s_andn2_saveexec_b64 s[28:29], s[36:37]
; %bb.15387:                            ;   in Loop: Header=BB4_15069 Depth=3
	v_or_b32_e32 v44, 0x7b, v3
; %bb.15388:                            ;   in Loop: Header=BB4_15069 Depth=3
	s_or_b64 exec, exec, s[28:29]
                                        ; implicit-def: $vgpr5
                                        ; implicit-def: $vgpr0_vgpr1
.LBB4_15389:                            ;   in Loop: Header=BB4_15069 Depth=3
	s_andn2_saveexec_b64 s[28:29], s[34:35]
	s_cbranch_execz .LBB4_15395
; %bb.15390:                            ;   in Loop: Header=BB4_15069 Depth=3
	v_cmp_ne_u64_e32 vcc, 0, v[0:1]
                                        ; implicit-def: $vgpr44
	s_and_saveexec_b64 s[34:35], vcc
	s_xor_b64 vcc, exec, s[34:35]
; %bb.15391:                            ;   in Loop: Header=BB4_15069 Depth=3
	v_or_b32_sdwa v44, v5, s47 dst_sel:DWORD dst_unused:UNUSED_PAD src0_sel:BYTE_3 src1_sel:DWORD
                                        ; implicit-def: $vgpr5
; %bb.15392:                            ;   in Loop: Header=BB4_15069 Depth=3
	s_andn2_saveexec_b64 s[34:35], vcc
; %bb.15393:                            ;   in Loop: Header=BB4_15069 Depth=3
	v_cmp_lt_i32_e32 vcc, -1, v5
	v_cndmask_b32_e32 v44, -4, v52, vcc
; %bb.15394:                            ;   in Loop: Header=BB4_15069 Depth=3
	s_or_b64 exec, exec, s[34:35]
.LBB4_15395:                            ;   in Loop: Header=BB4_15069 Depth=3
	s_or_b64 exec, exec, s[28:29]
	flat_load_sbyte v0, v[8:9] offset:640 glc slc
	v_mov_b32_e32 v1, 0
	s_waitcnt vmcnt(0) lgkmcnt(0)
	v_cmp_ne_u16_e32 vcc, 0, v0
	s_and_saveexec_b64 s[28:29], vcc
	s_cbranch_execz .LBB4_15403
; %bb.15396:                            ;   in Loop: Header=BB4_15069 Depth=3
	v_cmp_ne_u16_e32 vcc, s97, v0
	v_bfrev_b32_e32 v1, 1
	s_and_saveexec_b64 s[34:35], vcc
	s_cbranch_execz .LBB4_15402
; %bb.15397:                            ;   in Loop: Header=BB4_15069 Depth=3
	v_and_b32_e32 v1, 0x7c, v0
	v_and_b32_e32 v3, 3, v0
	v_cmp_ne_u32_e32 vcc, s85, v1
                                        ; implicit-def: $vgpr1
	s_and_saveexec_b64 s[36:37], vcc
	s_xor_b64 s[36:37], exec, s[36:37]
	s_cbranch_execz .LBB4_15399
; %bb.15398:                            ;   in Loop: Header=BB4_15069 Depth=3
	v_and_b32_e32 v5, 0xff, v0
	v_bfe_u32 v14, v5, 2, 5
	v_ffbh_u32_e32 v5, v3
	v_min_u32_e32 v16, 32, v5
	v_mov_b32_e32 v1, v17
	v_subrev_u32_e32 v5, 29, v16
	v_lshlrev_b64 v[5:6], v5, v[0:1]
	v_sub_u32_e32 v1, 30, v16
	v_cmp_eq_u32_e32 vcc, 0, v14
	v_and_b32_e32 v5, 3, v5
	v_cndmask_b32_e32 v1, v14, v1, vcc
	v_and_b32_sdwa v0, sext(v0), s86 dst_sel:DWORD dst_unused:UNUSED_PAD src0_sel:WORD_0 src1_sel:DWORD
	v_cndmask_b32_e32 v3, v3, v5, vcc
	v_lshl_add_u32 v0, v1, 23, v0
	v_lshl_or_b32 v0, v3, 21, v0
	v_add_u32_e32 v1, 0x38000000, v0
                                        ; implicit-def: $vgpr3
                                        ; implicit-def: $vgpr0
.LBB4_15399:                            ;   in Loop: Header=BB4_15069 Depth=3
	s_andn2_saveexec_b64 s[36:37], s[36:37]
; %bb.15400:                            ;   in Loop: Header=BB4_15069 Depth=3
	v_cmp_lt_i16_e32 vcc, -1, v0
	v_mov_b32_e32 v0, 0xff800000
	v_mov_b32_e32 v1, 0x7f800000
	v_cndmask_b32_e32 v0, v0, v1, vcc
	v_cmp_eq_u32_e32 vcc, 0, v3
	v_mov_b32_e32 v1, 0x7f800001
	v_cndmask_b32_e32 v1, v1, v0, vcc
; %bb.15401:                            ;   in Loop: Header=BB4_15069 Depth=3
	s_or_b64 exec, exec, s[36:37]
.LBB4_15402:                            ;   in Loop: Header=BB4_15069 Depth=3
	s_or_b64 exec, exec, s[34:35]
.LBB4_15403:                            ;   in Loop: Header=BB4_15069 Depth=3
	s_or_b64 exec, exec, s[28:29]
	v_mul_f32_e32 v5, v7, v1
	v_and_b32_e32 v24, 0x7f800000, v5
	v_mov_b32_e32 v25, v17
	v_cmp_ne_u64_e32 vcc, s[76:77], v[24:25]
	v_and_b32_e32 v0, 0x7fffff, v5
	v_mov_b32_e32 v1, v17
                                        ; implicit-def: $vgpr43
	s_and_saveexec_b64 s[28:29], vcc
	s_xor_b64 s[34:35], exec, s[28:29]
	s_cbranch_execz .LBB4_15421
; %bb.15404:                            ;   in Loop: Header=BB4_15069 Depth=3
	v_and_b32_e32 v24, 0x7fffffff, v5
	v_mov_b32_e32 v25, v17
	v_cmp_gt_u64_e32 vcc, s[78:79], v[24:25]
	v_and_b32_sdwa v3, v5, s96 dst_sel:DWORD dst_unused:UNUSED_PAD src0_sel:BYTE_3 src1_sel:DWORD
                                        ; implicit-def: $vgpr43
	s_and_saveexec_b64 s[28:29], vcc
	s_xor_b64 s[36:37], exec, s[28:29]
	s_cbranch_execz .LBB4_15418
; %bb.15405:                            ;   in Loop: Header=BB4_15069 Depth=3
	v_cmp_ne_u32_e32 vcc, 0, v5
	v_mov_b32_e32 v43, 0
	s_and_saveexec_b64 s[38:39], vcc
	s_cbranch_execz .LBB4_15417
; %bb.15406:                            ;   in Loop: Header=BB4_15069 Depth=3
	v_bfe_u32 v14, v5, 23, 8
	v_cmp_gt_u32_e64 s[28:29], s46, v14
	v_sub_u32_e32 v5, 0x71, v14
	v_cmp_eq_u32_e32 vcc, 0, v14
	v_cndmask_b32_e64 v5, 0, v5, s[28:29]
	v_mov_b32_e32 v16, 0x70
	v_cndmask_b32_e32 v16, v5, v16, vcc
	v_or_b32_e32 v6, 0x800000, v0
	v_add_u32_e32 v5, 21, v16
	v_cndmask_b32_e32 v0, v6, v0, vcc
	v_lshlrev_b64 v[5:6], v5, -1
	v_add_u32_e32 v21, 20, v16
	v_bfi_b32 v5, v5, 0, v0
	v_lshlrev_b64 v[24:25], v21, 1
	v_lshrrev_b64 v[0:1], v16, v[0:1]
	v_bfi_b32 v6, v6, 0, 0
	v_cmp_eq_u64_e64 s[28:29], v[5:6], v[24:25]
	v_mov_b32_e32 v6, v1
	v_mov_b32_e32 v5, v0
	s_and_saveexec_b64 s[48:49], s[28:29]
; %bb.15407:                            ;   in Loop: Header=BB4_15069 Depth=3
	v_bfe_u32 v1, v0, 21, 1
	v_add_co_u32_e64 v1, s[28:29], v0, v1
	v_add_co_u32_e64 v5, s[28:29], -1, v1
; %bb.15408:                            ;   in Loop: Header=BB4_15069 Depth=3
	s_or_b64 exec, exec, s[48:49]
	v_add_u32_e32 v1, 0xffffff81, v14
	v_mov_b32_e32 v6, 0xffffff82
	v_cndmask_b32_e32 v1, v1, v6, vcc
	v_lshrrev_b32_e32 v6, 23, v0
	v_add3_u32 v14, v16, v1, v6
	v_add_u32_e32 v6, 14, v14
	v_and_b32_e32 v1, 0x1fffff, v5
	v_add_u32_e32 v0, v1, v0
	v_mov_b32_e32 v1, v17
	v_cmp_ne_u32_e32 vcc, 0, v6
                                        ; implicit-def: $vgpr5
	s_and_saveexec_b64 s[28:29], vcc
	s_xor_b64 s[28:29], exec, s[28:29]
; %bb.15409:                            ;   in Loop: Header=BB4_15069 Depth=3
	v_cmp_lt_u64_e32 vcc, s[88:89], v[0:1]
	v_add_u32_e32 v5, 15, v14
	v_cndmask_b32_e32 v5, v6, v5, vcc
	v_cndmask_b32_e64 v6, 0, 1, vcc
	v_lshrrev_b64 v[0:1], v6, v[0:1]
; %bb.15410:                            ;   in Loop: Header=BB4_15069 Depth=3
	s_andn2_saveexec_b64 s[28:29], s[28:29]
; %bb.15411:                            ;   in Loop: Header=BB4_15069 Depth=3
	v_bfe_u32 v5, v0, 23, 1
; %bb.15412:                            ;   in Loop: Header=BB4_15069 Depth=3
	s_or_b64 exec, exec, s[28:29]
	v_lshrrev_b64 v[0:1], 21, v[0:1]
	v_cmp_gt_i32_e32 vcc, 32, v5
	v_cndmask_b32_e32 v1, 0, v1, vcc
	v_cndmask_b32_e32 v0, 3, v0, vcc
	v_cmp_ne_u64_e32 vcc, 0, v[0:1]
	v_cmp_ne_u32_e64 s[28:29], 0, v5
	s_or_b64 s[28:29], s[28:29], vcc
                                        ; implicit-def: $vgpr43
	s_and_saveexec_b64 vcc, s[28:29]
	s_xor_b64 s[28:29], exec, vcc
; %bb.15413:                            ;   in Loop: Header=BB4_15069 Depth=3
	v_min_i32_e32 v1, 31, v5
	v_lshl_or_b32 v1, v1, 2, v3
	v_and_or_b32 v43, v0, 3, v1
                                        ; implicit-def: $vgpr3
; %bb.15414:                            ;   in Loop: Header=BB4_15069 Depth=3
	s_andn2_saveexec_b64 s[28:29], s[28:29]
; %bb.15415:                            ;   in Loop: Header=BB4_15069 Depth=3
	v_mov_b32_e32 v43, v3
; %bb.15416:                            ;   in Loop: Header=BB4_15069 Depth=3
	s_or_b64 exec, exec, s[28:29]
.LBB4_15417:                            ;   in Loop: Header=BB4_15069 Depth=3
	s_or_b64 exec, exec, s[38:39]
                                        ; implicit-def: $vgpr3
.LBB4_15418:                            ;   in Loop: Header=BB4_15069 Depth=3
	s_andn2_saveexec_b64 s[28:29], s[36:37]
; %bb.15419:                            ;   in Loop: Header=BB4_15069 Depth=3
	v_or_b32_e32 v43, 0x7b, v3
; %bb.15420:                            ;   in Loop: Header=BB4_15069 Depth=3
	s_or_b64 exec, exec, s[28:29]
                                        ; implicit-def: $vgpr5
                                        ; implicit-def: $vgpr0_vgpr1
.LBB4_15421:                            ;   in Loop: Header=BB4_15069 Depth=3
	s_andn2_saveexec_b64 s[28:29], s[34:35]
	s_cbranch_execz .LBB4_15427
; %bb.15422:                            ;   in Loop: Header=BB4_15069 Depth=3
	v_cmp_ne_u64_e32 vcc, 0, v[0:1]
                                        ; implicit-def: $vgpr43
	s_and_saveexec_b64 s[34:35], vcc
	s_xor_b64 vcc, exec, s[34:35]
; %bb.15423:                            ;   in Loop: Header=BB4_15069 Depth=3
	v_or_b32_sdwa v43, v5, s47 dst_sel:DWORD dst_unused:UNUSED_PAD src0_sel:BYTE_3 src1_sel:DWORD
                                        ; implicit-def: $vgpr5
; %bb.15424:                            ;   in Loop: Header=BB4_15069 Depth=3
	s_andn2_saveexec_b64 s[34:35], vcc
; %bb.15425:                            ;   in Loop: Header=BB4_15069 Depth=3
	v_cmp_lt_i32_e32 vcc, -1, v5
	v_cndmask_b32_e32 v43, -4, v52, vcc
; %bb.15426:                            ;   in Loop: Header=BB4_15069 Depth=3
	s_or_b64 exec, exec, s[34:35]
.LBB4_15427:                            ;   in Loop: Header=BB4_15069 Depth=3
	s_or_b64 exec, exec, s[28:29]
	flat_load_sbyte v0, v[8:9] offset:704 glc slc
	v_mov_b32_e32 v1, 0
	s_waitcnt vmcnt(0) lgkmcnt(0)
	v_cmp_ne_u16_e32 vcc, 0, v0
	s_and_saveexec_b64 s[28:29], vcc
	s_cbranch_execz .LBB4_15435
; %bb.15428:                            ;   in Loop: Header=BB4_15069 Depth=3
	v_cmp_ne_u16_e32 vcc, s97, v0
	v_bfrev_b32_e32 v1, 1
	s_and_saveexec_b64 s[34:35], vcc
	s_cbranch_execz .LBB4_15434
; %bb.15429:                            ;   in Loop: Header=BB4_15069 Depth=3
	v_and_b32_e32 v1, 0x7c, v0
	v_and_b32_e32 v3, 3, v0
	v_cmp_ne_u32_e32 vcc, s85, v1
                                        ; implicit-def: $vgpr1
	s_and_saveexec_b64 s[36:37], vcc
	s_xor_b64 s[36:37], exec, s[36:37]
	s_cbranch_execz .LBB4_15431
; %bb.15430:                            ;   in Loop: Header=BB4_15069 Depth=3
	v_and_b32_e32 v5, 0xff, v0
	v_bfe_u32 v14, v5, 2, 5
	v_ffbh_u32_e32 v5, v3
	v_min_u32_e32 v16, 32, v5
	v_mov_b32_e32 v1, v17
	v_subrev_u32_e32 v5, 29, v16
	v_lshlrev_b64 v[5:6], v5, v[0:1]
	v_sub_u32_e32 v1, 30, v16
	v_cmp_eq_u32_e32 vcc, 0, v14
	v_and_b32_e32 v5, 3, v5
	v_cndmask_b32_e32 v1, v14, v1, vcc
	v_and_b32_sdwa v0, sext(v0), s86 dst_sel:DWORD dst_unused:UNUSED_PAD src0_sel:WORD_0 src1_sel:DWORD
	v_cndmask_b32_e32 v3, v3, v5, vcc
	v_lshl_add_u32 v0, v1, 23, v0
	v_lshl_or_b32 v0, v3, 21, v0
	v_add_u32_e32 v1, 0x38000000, v0
                                        ; implicit-def: $vgpr3
                                        ; implicit-def: $vgpr0
.LBB4_15431:                            ;   in Loop: Header=BB4_15069 Depth=3
	s_andn2_saveexec_b64 s[36:37], s[36:37]
; %bb.15432:                            ;   in Loop: Header=BB4_15069 Depth=3
	v_cmp_lt_i16_e32 vcc, -1, v0
	v_mov_b32_e32 v0, 0xff800000
	v_mov_b32_e32 v1, 0x7f800000
	v_cndmask_b32_e32 v0, v0, v1, vcc
	v_cmp_eq_u32_e32 vcc, 0, v3
	v_mov_b32_e32 v1, 0x7f800001
	v_cndmask_b32_e32 v1, v1, v0, vcc
; %bb.15433:                            ;   in Loop: Header=BB4_15069 Depth=3
	s_or_b64 exec, exec, s[36:37]
.LBB4_15434:                            ;   in Loop: Header=BB4_15069 Depth=3
	s_or_b64 exec, exec, s[34:35]
.LBB4_15435:                            ;   in Loop: Header=BB4_15069 Depth=3
	s_or_b64 exec, exec, s[28:29]
	v_mul_f32_e32 v5, v7, v1
	v_and_b32_e32 v24, 0x7f800000, v5
	v_mov_b32_e32 v25, v17
	v_cmp_ne_u64_e32 vcc, s[76:77], v[24:25]
	v_and_b32_e32 v0, 0x7fffff, v5
	v_mov_b32_e32 v1, v17
                                        ; implicit-def: $vgpr42
	s_and_saveexec_b64 s[28:29], vcc
	s_xor_b64 s[34:35], exec, s[28:29]
	s_cbranch_execz .LBB4_15453
; %bb.15436:                            ;   in Loop: Header=BB4_15069 Depth=3
	v_and_b32_e32 v24, 0x7fffffff, v5
	v_mov_b32_e32 v25, v17
	v_cmp_gt_u64_e32 vcc, s[78:79], v[24:25]
	v_and_b32_sdwa v3, v5, s96 dst_sel:DWORD dst_unused:UNUSED_PAD src0_sel:BYTE_3 src1_sel:DWORD
                                        ; implicit-def: $vgpr42
	s_and_saveexec_b64 s[28:29], vcc
	s_xor_b64 s[36:37], exec, s[28:29]
	s_cbranch_execz .LBB4_15450
; %bb.15437:                            ;   in Loop: Header=BB4_15069 Depth=3
	v_cmp_ne_u32_e32 vcc, 0, v5
	v_mov_b32_e32 v42, 0
	s_and_saveexec_b64 s[38:39], vcc
	s_cbranch_execz .LBB4_15449
; %bb.15438:                            ;   in Loop: Header=BB4_15069 Depth=3
	v_bfe_u32 v14, v5, 23, 8
	v_cmp_gt_u32_e64 s[28:29], s46, v14
	v_sub_u32_e32 v5, 0x71, v14
	v_cmp_eq_u32_e32 vcc, 0, v14
	v_cndmask_b32_e64 v5, 0, v5, s[28:29]
	v_mov_b32_e32 v16, 0x70
	v_cndmask_b32_e32 v16, v5, v16, vcc
	v_or_b32_e32 v6, 0x800000, v0
	v_add_u32_e32 v5, 21, v16
	v_cndmask_b32_e32 v0, v6, v0, vcc
	v_lshlrev_b64 v[5:6], v5, -1
	v_add_u32_e32 v21, 20, v16
	v_bfi_b32 v5, v5, 0, v0
	v_lshlrev_b64 v[24:25], v21, 1
	v_lshrrev_b64 v[0:1], v16, v[0:1]
	v_bfi_b32 v6, v6, 0, 0
	v_cmp_eq_u64_e64 s[28:29], v[5:6], v[24:25]
	v_mov_b32_e32 v6, v1
	v_mov_b32_e32 v5, v0
	s_and_saveexec_b64 s[48:49], s[28:29]
; %bb.15439:                            ;   in Loop: Header=BB4_15069 Depth=3
	v_bfe_u32 v1, v0, 21, 1
	v_add_co_u32_e64 v1, s[28:29], v0, v1
	v_add_co_u32_e64 v5, s[28:29], -1, v1
; %bb.15440:                            ;   in Loop: Header=BB4_15069 Depth=3
	s_or_b64 exec, exec, s[48:49]
	v_add_u32_e32 v1, 0xffffff81, v14
	v_mov_b32_e32 v6, 0xffffff82
	v_cndmask_b32_e32 v1, v1, v6, vcc
	v_lshrrev_b32_e32 v6, 23, v0
	v_add3_u32 v14, v16, v1, v6
	v_add_u32_e32 v6, 14, v14
	v_and_b32_e32 v1, 0x1fffff, v5
	v_add_u32_e32 v0, v1, v0
	v_mov_b32_e32 v1, v17
	v_cmp_ne_u32_e32 vcc, 0, v6
                                        ; implicit-def: $vgpr5
	s_and_saveexec_b64 s[28:29], vcc
	s_xor_b64 s[28:29], exec, s[28:29]
; %bb.15441:                            ;   in Loop: Header=BB4_15069 Depth=3
	v_cmp_lt_u64_e32 vcc, s[88:89], v[0:1]
	v_add_u32_e32 v5, 15, v14
	v_cndmask_b32_e32 v5, v6, v5, vcc
	v_cndmask_b32_e64 v6, 0, 1, vcc
	v_lshrrev_b64 v[0:1], v6, v[0:1]
; %bb.15442:                            ;   in Loop: Header=BB4_15069 Depth=3
	s_andn2_saveexec_b64 s[28:29], s[28:29]
; %bb.15443:                            ;   in Loop: Header=BB4_15069 Depth=3
	v_bfe_u32 v5, v0, 23, 1
; %bb.15444:                            ;   in Loop: Header=BB4_15069 Depth=3
	s_or_b64 exec, exec, s[28:29]
	v_lshrrev_b64 v[0:1], 21, v[0:1]
	v_cmp_gt_i32_e32 vcc, 32, v5
	v_cndmask_b32_e32 v1, 0, v1, vcc
	v_cndmask_b32_e32 v0, 3, v0, vcc
	v_cmp_ne_u64_e32 vcc, 0, v[0:1]
	v_cmp_ne_u32_e64 s[28:29], 0, v5
	s_or_b64 s[28:29], s[28:29], vcc
                                        ; implicit-def: $vgpr42
	s_and_saveexec_b64 vcc, s[28:29]
	s_xor_b64 s[28:29], exec, vcc
; %bb.15445:                            ;   in Loop: Header=BB4_15069 Depth=3
	v_min_i32_e32 v1, 31, v5
	v_lshl_or_b32 v1, v1, 2, v3
	v_and_or_b32 v42, v0, 3, v1
                                        ; implicit-def: $vgpr3
; %bb.15446:                            ;   in Loop: Header=BB4_15069 Depth=3
	s_andn2_saveexec_b64 s[28:29], s[28:29]
; %bb.15447:                            ;   in Loop: Header=BB4_15069 Depth=3
	v_mov_b32_e32 v42, v3
; %bb.15448:                            ;   in Loop: Header=BB4_15069 Depth=3
	s_or_b64 exec, exec, s[28:29]
.LBB4_15449:                            ;   in Loop: Header=BB4_15069 Depth=3
	s_or_b64 exec, exec, s[38:39]
                                        ; implicit-def: $vgpr3
.LBB4_15450:                            ;   in Loop: Header=BB4_15069 Depth=3
	s_andn2_saveexec_b64 s[28:29], s[36:37]
; %bb.15451:                            ;   in Loop: Header=BB4_15069 Depth=3
	v_or_b32_e32 v42, 0x7b, v3
; %bb.15452:                            ;   in Loop: Header=BB4_15069 Depth=3
	s_or_b64 exec, exec, s[28:29]
                                        ; implicit-def: $vgpr5
                                        ; implicit-def: $vgpr0_vgpr1
.LBB4_15453:                            ;   in Loop: Header=BB4_15069 Depth=3
	s_andn2_saveexec_b64 s[28:29], s[34:35]
	s_cbranch_execz .LBB4_15459
; %bb.15454:                            ;   in Loop: Header=BB4_15069 Depth=3
	v_cmp_ne_u64_e32 vcc, 0, v[0:1]
                                        ; implicit-def: $vgpr42
	s_and_saveexec_b64 s[34:35], vcc
	s_xor_b64 vcc, exec, s[34:35]
; %bb.15455:                            ;   in Loop: Header=BB4_15069 Depth=3
	v_or_b32_sdwa v42, v5, s47 dst_sel:DWORD dst_unused:UNUSED_PAD src0_sel:BYTE_3 src1_sel:DWORD
                                        ; implicit-def: $vgpr5
; %bb.15456:                            ;   in Loop: Header=BB4_15069 Depth=3
	s_andn2_saveexec_b64 s[34:35], vcc
; %bb.15457:                            ;   in Loop: Header=BB4_15069 Depth=3
	v_cmp_lt_i32_e32 vcc, -1, v5
	v_cndmask_b32_e32 v42, -4, v52, vcc
; %bb.15458:                            ;   in Loop: Header=BB4_15069 Depth=3
	s_or_b64 exec, exec, s[34:35]
.LBB4_15459:                            ;   in Loop: Header=BB4_15069 Depth=3
	s_or_b64 exec, exec, s[28:29]
	flat_load_sbyte v0, v[8:9] offset:768 glc slc
	v_mov_b32_e32 v1, 0
	s_waitcnt vmcnt(0) lgkmcnt(0)
	v_cmp_ne_u16_e32 vcc, 0, v0
	s_and_saveexec_b64 s[28:29], vcc
	s_cbranch_execz .LBB4_15467
; %bb.15460:                            ;   in Loop: Header=BB4_15069 Depth=3
	v_cmp_ne_u16_e32 vcc, s97, v0
	v_bfrev_b32_e32 v1, 1
	s_and_saveexec_b64 s[34:35], vcc
	s_cbranch_execz .LBB4_15466
; %bb.15461:                            ;   in Loop: Header=BB4_15069 Depth=3
	v_and_b32_e32 v1, 0x7c, v0
	v_and_b32_e32 v3, 3, v0
	v_cmp_ne_u32_e32 vcc, s85, v1
                                        ; implicit-def: $vgpr1
	s_and_saveexec_b64 s[36:37], vcc
	s_xor_b64 s[36:37], exec, s[36:37]
	s_cbranch_execz .LBB4_15463
; %bb.15462:                            ;   in Loop: Header=BB4_15069 Depth=3
	v_and_b32_e32 v5, 0xff, v0
	v_bfe_u32 v14, v5, 2, 5
	v_ffbh_u32_e32 v5, v3
	v_min_u32_e32 v16, 32, v5
	v_mov_b32_e32 v1, v17
	v_subrev_u32_e32 v5, 29, v16
	v_lshlrev_b64 v[5:6], v5, v[0:1]
	v_sub_u32_e32 v1, 30, v16
	v_cmp_eq_u32_e32 vcc, 0, v14
	v_and_b32_e32 v5, 3, v5
	v_cndmask_b32_e32 v1, v14, v1, vcc
	v_and_b32_sdwa v0, sext(v0), s86 dst_sel:DWORD dst_unused:UNUSED_PAD src0_sel:WORD_0 src1_sel:DWORD
	v_cndmask_b32_e32 v3, v3, v5, vcc
	v_lshl_add_u32 v0, v1, 23, v0
	v_lshl_or_b32 v0, v3, 21, v0
	v_add_u32_e32 v1, 0x38000000, v0
                                        ; implicit-def: $vgpr3
                                        ; implicit-def: $vgpr0
.LBB4_15463:                            ;   in Loop: Header=BB4_15069 Depth=3
	s_andn2_saveexec_b64 s[36:37], s[36:37]
; %bb.15464:                            ;   in Loop: Header=BB4_15069 Depth=3
	v_cmp_lt_i16_e32 vcc, -1, v0
	v_mov_b32_e32 v0, 0xff800000
	v_mov_b32_e32 v1, 0x7f800000
	v_cndmask_b32_e32 v0, v0, v1, vcc
	v_cmp_eq_u32_e32 vcc, 0, v3
	v_mov_b32_e32 v1, 0x7f800001
	v_cndmask_b32_e32 v1, v1, v0, vcc
; %bb.15465:                            ;   in Loop: Header=BB4_15069 Depth=3
	s_or_b64 exec, exec, s[36:37]
.LBB4_15466:                            ;   in Loop: Header=BB4_15069 Depth=3
	s_or_b64 exec, exec, s[34:35]
.LBB4_15467:                            ;   in Loop: Header=BB4_15069 Depth=3
	s_or_b64 exec, exec, s[28:29]
	v_mul_f32_e32 v5, v7, v1
	v_and_b32_e32 v24, 0x7f800000, v5
	v_mov_b32_e32 v25, v17
	v_cmp_ne_u64_e32 vcc, s[76:77], v[24:25]
	v_and_b32_e32 v0, 0x7fffff, v5
	v_mov_b32_e32 v1, v17
                                        ; implicit-def: $vgpr41
	s_and_saveexec_b64 s[28:29], vcc
	s_xor_b64 s[34:35], exec, s[28:29]
	s_cbranch_execz .LBB4_15485
; %bb.15468:                            ;   in Loop: Header=BB4_15069 Depth=3
	v_and_b32_e32 v24, 0x7fffffff, v5
	v_mov_b32_e32 v25, v17
	v_cmp_gt_u64_e32 vcc, s[78:79], v[24:25]
	v_and_b32_sdwa v3, v5, s96 dst_sel:DWORD dst_unused:UNUSED_PAD src0_sel:BYTE_3 src1_sel:DWORD
                                        ; implicit-def: $vgpr41
	s_and_saveexec_b64 s[28:29], vcc
	s_xor_b64 s[36:37], exec, s[28:29]
	s_cbranch_execz .LBB4_15482
; %bb.15469:                            ;   in Loop: Header=BB4_15069 Depth=3
	v_cmp_ne_u32_e32 vcc, 0, v5
	v_mov_b32_e32 v41, 0
	s_and_saveexec_b64 s[38:39], vcc
	s_cbranch_execz .LBB4_15481
; %bb.15470:                            ;   in Loop: Header=BB4_15069 Depth=3
	v_bfe_u32 v14, v5, 23, 8
	v_cmp_gt_u32_e64 s[28:29], s46, v14
	v_sub_u32_e32 v5, 0x71, v14
	v_cmp_eq_u32_e32 vcc, 0, v14
	v_cndmask_b32_e64 v5, 0, v5, s[28:29]
	v_mov_b32_e32 v16, 0x70
	v_cndmask_b32_e32 v16, v5, v16, vcc
	v_or_b32_e32 v6, 0x800000, v0
	v_add_u32_e32 v5, 21, v16
	v_cndmask_b32_e32 v0, v6, v0, vcc
	v_lshlrev_b64 v[5:6], v5, -1
	v_add_u32_e32 v21, 20, v16
	v_bfi_b32 v5, v5, 0, v0
	v_lshlrev_b64 v[24:25], v21, 1
	v_lshrrev_b64 v[0:1], v16, v[0:1]
	v_bfi_b32 v6, v6, 0, 0
	v_cmp_eq_u64_e64 s[28:29], v[5:6], v[24:25]
	v_mov_b32_e32 v6, v1
	v_mov_b32_e32 v5, v0
	s_and_saveexec_b64 s[48:49], s[28:29]
; %bb.15471:                            ;   in Loop: Header=BB4_15069 Depth=3
	v_bfe_u32 v1, v0, 21, 1
	v_add_co_u32_e64 v1, s[28:29], v0, v1
	v_add_co_u32_e64 v5, s[28:29], -1, v1
; %bb.15472:                            ;   in Loop: Header=BB4_15069 Depth=3
	s_or_b64 exec, exec, s[48:49]
	v_add_u32_e32 v1, 0xffffff81, v14
	v_mov_b32_e32 v6, 0xffffff82
	v_cndmask_b32_e32 v1, v1, v6, vcc
	v_lshrrev_b32_e32 v6, 23, v0
	v_add3_u32 v14, v16, v1, v6
	v_add_u32_e32 v6, 14, v14
	v_and_b32_e32 v1, 0x1fffff, v5
	v_add_u32_e32 v0, v1, v0
	v_mov_b32_e32 v1, v17
	v_cmp_ne_u32_e32 vcc, 0, v6
                                        ; implicit-def: $vgpr5
	s_and_saveexec_b64 s[28:29], vcc
	s_xor_b64 s[28:29], exec, s[28:29]
; %bb.15473:                            ;   in Loop: Header=BB4_15069 Depth=3
	v_cmp_lt_u64_e32 vcc, s[88:89], v[0:1]
	v_add_u32_e32 v5, 15, v14
	v_cndmask_b32_e32 v5, v6, v5, vcc
	v_cndmask_b32_e64 v6, 0, 1, vcc
	v_lshrrev_b64 v[0:1], v6, v[0:1]
; %bb.15474:                            ;   in Loop: Header=BB4_15069 Depth=3
	s_andn2_saveexec_b64 s[28:29], s[28:29]
; %bb.15475:                            ;   in Loop: Header=BB4_15069 Depth=3
	v_bfe_u32 v5, v0, 23, 1
; %bb.15476:                            ;   in Loop: Header=BB4_15069 Depth=3
	s_or_b64 exec, exec, s[28:29]
	v_lshrrev_b64 v[0:1], 21, v[0:1]
	v_cmp_gt_i32_e32 vcc, 32, v5
	v_cndmask_b32_e32 v1, 0, v1, vcc
	v_cndmask_b32_e32 v0, 3, v0, vcc
	v_cmp_ne_u64_e32 vcc, 0, v[0:1]
	v_cmp_ne_u32_e64 s[28:29], 0, v5
	s_or_b64 s[28:29], s[28:29], vcc
                                        ; implicit-def: $vgpr41
	s_and_saveexec_b64 vcc, s[28:29]
	s_xor_b64 s[28:29], exec, vcc
; %bb.15477:                            ;   in Loop: Header=BB4_15069 Depth=3
	v_min_i32_e32 v1, 31, v5
	v_lshl_or_b32 v1, v1, 2, v3
	v_and_or_b32 v41, v0, 3, v1
                                        ; implicit-def: $vgpr3
; %bb.15478:                            ;   in Loop: Header=BB4_15069 Depth=3
	s_andn2_saveexec_b64 s[28:29], s[28:29]
; %bb.15479:                            ;   in Loop: Header=BB4_15069 Depth=3
	v_mov_b32_e32 v41, v3
; %bb.15480:                            ;   in Loop: Header=BB4_15069 Depth=3
	s_or_b64 exec, exec, s[28:29]
.LBB4_15481:                            ;   in Loop: Header=BB4_15069 Depth=3
	s_or_b64 exec, exec, s[38:39]
                                        ; implicit-def: $vgpr3
.LBB4_15482:                            ;   in Loop: Header=BB4_15069 Depth=3
	s_andn2_saveexec_b64 s[28:29], s[36:37]
; %bb.15483:                            ;   in Loop: Header=BB4_15069 Depth=3
	v_or_b32_e32 v41, 0x7b, v3
; %bb.15484:                            ;   in Loop: Header=BB4_15069 Depth=3
	s_or_b64 exec, exec, s[28:29]
                                        ; implicit-def: $vgpr5
                                        ; implicit-def: $vgpr0_vgpr1
.LBB4_15485:                            ;   in Loop: Header=BB4_15069 Depth=3
	s_andn2_saveexec_b64 s[28:29], s[34:35]
	s_cbranch_execz .LBB4_15491
; %bb.15486:                            ;   in Loop: Header=BB4_15069 Depth=3
	v_cmp_ne_u64_e32 vcc, 0, v[0:1]
                                        ; implicit-def: $vgpr41
	s_and_saveexec_b64 s[34:35], vcc
	s_xor_b64 vcc, exec, s[34:35]
; %bb.15487:                            ;   in Loop: Header=BB4_15069 Depth=3
	v_or_b32_sdwa v41, v5, s47 dst_sel:DWORD dst_unused:UNUSED_PAD src0_sel:BYTE_3 src1_sel:DWORD
                                        ; implicit-def: $vgpr5
; %bb.15488:                            ;   in Loop: Header=BB4_15069 Depth=3
	s_andn2_saveexec_b64 s[34:35], vcc
; %bb.15489:                            ;   in Loop: Header=BB4_15069 Depth=3
	v_cmp_lt_i32_e32 vcc, -1, v5
	v_cndmask_b32_e32 v41, -4, v52, vcc
; %bb.15490:                            ;   in Loop: Header=BB4_15069 Depth=3
	s_or_b64 exec, exec, s[34:35]
.LBB4_15491:                            ;   in Loop: Header=BB4_15069 Depth=3
	s_or_b64 exec, exec, s[28:29]
	flat_load_sbyte v0, v[8:9] offset:832 glc slc
	v_mov_b32_e32 v1, 0
	s_waitcnt vmcnt(0) lgkmcnt(0)
	v_cmp_ne_u16_e32 vcc, 0, v0
	s_and_saveexec_b64 s[28:29], vcc
	s_cbranch_execz .LBB4_15499
; %bb.15492:                            ;   in Loop: Header=BB4_15069 Depth=3
	v_cmp_ne_u16_e32 vcc, s97, v0
	v_bfrev_b32_e32 v1, 1
	s_and_saveexec_b64 s[34:35], vcc
	s_cbranch_execz .LBB4_15498
; %bb.15493:                            ;   in Loop: Header=BB4_15069 Depth=3
	v_and_b32_e32 v1, 0x7c, v0
	v_and_b32_e32 v3, 3, v0
	v_cmp_ne_u32_e32 vcc, s85, v1
                                        ; implicit-def: $vgpr1
	s_and_saveexec_b64 s[36:37], vcc
	s_xor_b64 s[36:37], exec, s[36:37]
	s_cbranch_execz .LBB4_15495
; %bb.15494:                            ;   in Loop: Header=BB4_15069 Depth=3
	v_and_b32_e32 v5, 0xff, v0
	v_bfe_u32 v14, v5, 2, 5
	v_ffbh_u32_e32 v5, v3
	v_min_u32_e32 v16, 32, v5
	v_mov_b32_e32 v1, v17
	v_subrev_u32_e32 v5, 29, v16
	v_lshlrev_b64 v[5:6], v5, v[0:1]
	v_sub_u32_e32 v1, 30, v16
	v_cmp_eq_u32_e32 vcc, 0, v14
	v_and_b32_e32 v5, 3, v5
	v_cndmask_b32_e32 v1, v14, v1, vcc
	v_and_b32_sdwa v0, sext(v0), s86 dst_sel:DWORD dst_unused:UNUSED_PAD src0_sel:WORD_0 src1_sel:DWORD
	v_cndmask_b32_e32 v3, v3, v5, vcc
	v_lshl_add_u32 v0, v1, 23, v0
	v_lshl_or_b32 v0, v3, 21, v0
	v_add_u32_e32 v1, 0x38000000, v0
                                        ; implicit-def: $vgpr3
                                        ; implicit-def: $vgpr0
.LBB4_15495:                            ;   in Loop: Header=BB4_15069 Depth=3
	s_andn2_saveexec_b64 s[36:37], s[36:37]
; %bb.15496:                            ;   in Loop: Header=BB4_15069 Depth=3
	v_cmp_lt_i16_e32 vcc, -1, v0
	v_mov_b32_e32 v0, 0xff800000
	v_mov_b32_e32 v1, 0x7f800000
	v_cndmask_b32_e32 v0, v0, v1, vcc
	v_cmp_eq_u32_e32 vcc, 0, v3
	v_mov_b32_e32 v1, 0x7f800001
	v_cndmask_b32_e32 v1, v1, v0, vcc
; %bb.15497:                            ;   in Loop: Header=BB4_15069 Depth=3
	s_or_b64 exec, exec, s[36:37]
.LBB4_15498:                            ;   in Loop: Header=BB4_15069 Depth=3
	s_or_b64 exec, exec, s[34:35]
.LBB4_15499:                            ;   in Loop: Header=BB4_15069 Depth=3
	s_or_b64 exec, exec, s[28:29]
	v_mul_f32_e32 v5, v7, v1
	v_and_b32_e32 v24, 0x7f800000, v5
	v_mov_b32_e32 v25, v17
	v_cmp_ne_u64_e32 vcc, s[76:77], v[24:25]
	v_and_b32_e32 v0, 0x7fffff, v5
	v_mov_b32_e32 v1, v17
                                        ; implicit-def: $vgpr40
	s_and_saveexec_b64 s[28:29], vcc
	s_xor_b64 s[34:35], exec, s[28:29]
	s_cbranch_execz .LBB4_15517
; %bb.15500:                            ;   in Loop: Header=BB4_15069 Depth=3
	v_and_b32_e32 v24, 0x7fffffff, v5
	v_mov_b32_e32 v25, v17
	v_cmp_gt_u64_e32 vcc, s[78:79], v[24:25]
	v_and_b32_sdwa v3, v5, s96 dst_sel:DWORD dst_unused:UNUSED_PAD src0_sel:BYTE_3 src1_sel:DWORD
                                        ; implicit-def: $vgpr40
	s_and_saveexec_b64 s[28:29], vcc
	s_xor_b64 s[36:37], exec, s[28:29]
	s_cbranch_execz .LBB4_15514
; %bb.15501:                            ;   in Loop: Header=BB4_15069 Depth=3
	v_cmp_ne_u32_e32 vcc, 0, v5
	v_mov_b32_e32 v40, 0
	s_and_saveexec_b64 s[38:39], vcc
	s_cbranch_execz .LBB4_15513
; %bb.15502:                            ;   in Loop: Header=BB4_15069 Depth=3
	v_bfe_u32 v14, v5, 23, 8
	v_cmp_gt_u32_e64 s[28:29], s46, v14
	v_sub_u32_e32 v5, 0x71, v14
	v_cmp_eq_u32_e32 vcc, 0, v14
	v_cndmask_b32_e64 v5, 0, v5, s[28:29]
	v_mov_b32_e32 v16, 0x70
	v_cndmask_b32_e32 v16, v5, v16, vcc
	v_or_b32_e32 v6, 0x800000, v0
	v_add_u32_e32 v5, 21, v16
	v_cndmask_b32_e32 v0, v6, v0, vcc
	v_lshlrev_b64 v[5:6], v5, -1
	v_add_u32_e32 v21, 20, v16
	v_bfi_b32 v5, v5, 0, v0
	v_lshlrev_b64 v[24:25], v21, 1
	v_lshrrev_b64 v[0:1], v16, v[0:1]
	v_bfi_b32 v6, v6, 0, 0
	v_cmp_eq_u64_e64 s[28:29], v[5:6], v[24:25]
	v_mov_b32_e32 v6, v1
	v_mov_b32_e32 v5, v0
	s_and_saveexec_b64 s[48:49], s[28:29]
; %bb.15503:                            ;   in Loop: Header=BB4_15069 Depth=3
	v_bfe_u32 v1, v0, 21, 1
	v_add_co_u32_e64 v1, s[28:29], v0, v1
	v_add_co_u32_e64 v5, s[28:29], -1, v1
; %bb.15504:                            ;   in Loop: Header=BB4_15069 Depth=3
	s_or_b64 exec, exec, s[48:49]
	v_add_u32_e32 v1, 0xffffff81, v14
	v_mov_b32_e32 v6, 0xffffff82
	v_cndmask_b32_e32 v1, v1, v6, vcc
	v_lshrrev_b32_e32 v6, 23, v0
	v_add3_u32 v14, v16, v1, v6
	v_add_u32_e32 v6, 14, v14
	v_and_b32_e32 v1, 0x1fffff, v5
	v_add_u32_e32 v0, v1, v0
	v_mov_b32_e32 v1, v17
	v_cmp_ne_u32_e32 vcc, 0, v6
                                        ; implicit-def: $vgpr5
	s_and_saveexec_b64 s[28:29], vcc
	s_xor_b64 s[28:29], exec, s[28:29]
; %bb.15505:                            ;   in Loop: Header=BB4_15069 Depth=3
	v_cmp_lt_u64_e32 vcc, s[88:89], v[0:1]
	v_add_u32_e32 v5, 15, v14
	v_cndmask_b32_e32 v5, v6, v5, vcc
	v_cndmask_b32_e64 v6, 0, 1, vcc
	v_lshrrev_b64 v[0:1], v6, v[0:1]
; %bb.15506:                            ;   in Loop: Header=BB4_15069 Depth=3
	s_andn2_saveexec_b64 s[28:29], s[28:29]
; %bb.15507:                            ;   in Loop: Header=BB4_15069 Depth=3
	v_bfe_u32 v5, v0, 23, 1
; %bb.15508:                            ;   in Loop: Header=BB4_15069 Depth=3
	s_or_b64 exec, exec, s[28:29]
	v_lshrrev_b64 v[0:1], 21, v[0:1]
	v_cmp_gt_i32_e32 vcc, 32, v5
	v_cndmask_b32_e32 v1, 0, v1, vcc
	v_cndmask_b32_e32 v0, 3, v0, vcc
	v_cmp_ne_u64_e32 vcc, 0, v[0:1]
	v_cmp_ne_u32_e64 s[28:29], 0, v5
	s_or_b64 s[28:29], s[28:29], vcc
                                        ; implicit-def: $vgpr40
	s_and_saveexec_b64 vcc, s[28:29]
	s_xor_b64 s[28:29], exec, vcc
; %bb.15509:                            ;   in Loop: Header=BB4_15069 Depth=3
	v_min_i32_e32 v1, 31, v5
	v_lshl_or_b32 v1, v1, 2, v3
	v_and_or_b32 v40, v0, 3, v1
                                        ; implicit-def: $vgpr3
; %bb.15510:                            ;   in Loop: Header=BB4_15069 Depth=3
	s_andn2_saveexec_b64 s[28:29], s[28:29]
; %bb.15511:                            ;   in Loop: Header=BB4_15069 Depth=3
	v_mov_b32_e32 v40, v3
; %bb.15512:                            ;   in Loop: Header=BB4_15069 Depth=3
	s_or_b64 exec, exec, s[28:29]
.LBB4_15513:                            ;   in Loop: Header=BB4_15069 Depth=3
	s_or_b64 exec, exec, s[38:39]
                                        ; implicit-def: $vgpr3
.LBB4_15514:                            ;   in Loop: Header=BB4_15069 Depth=3
	s_andn2_saveexec_b64 s[28:29], s[36:37]
; %bb.15515:                            ;   in Loop: Header=BB4_15069 Depth=3
	v_or_b32_e32 v40, 0x7b, v3
; %bb.15516:                            ;   in Loop: Header=BB4_15069 Depth=3
	s_or_b64 exec, exec, s[28:29]
                                        ; implicit-def: $vgpr5
                                        ; implicit-def: $vgpr0_vgpr1
.LBB4_15517:                            ;   in Loop: Header=BB4_15069 Depth=3
	s_andn2_saveexec_b64 s[28:29], s[34:35]
	s_cbranch_execz .LBB4_15523
; %bb.15518:                            ;   in Loop: Header=BB4_15069 Depth=3
	v_cmp_ne_u64_e32 vcc, 0, v[0:1]
                                        ; implicit-def: $vgpr40
	s_and_saveexec_b64 s[34:35], vcc
	s_xor_b64 vcc, exec, s[34:35]
; %bb.15519:                            ;   in Loop: Header=BB4_15069 Depth=3
	v_or_b32_sdwa v40, v5, s47 dst_sel:DWORD dst_unused:UNUSED_PAD src0_sel:BYTE_3 src1_sel:DWORD
                                        ; implicit-def: $vgpr5
; %bb.15520:                            ;   in Loop: Header=BB4_15069 Depth=3
	s_andn2_saveexec_b64 s[34:35], vcc
; %bb.15521:                            ;   in Loop: Header=BB4_15069 Depth=3
	v_cmp_lt_i32_e32 vcc, -1, v5
	v_cndmask_b32_e32 v40, -4, v52, vcc
; %bb.15522:                            ;   in Loop: Header=BB4_15069 Depth=3
	s_or_b64 exec, exec, s[34:35]
.LBB4_15523:                            ;   in Loop: Header=BB4_15069 Depth=3
	s_or_b64 exec, exec, s[28:29]
	flat_load_sbyte v0, v[8:9] offset:896 glc slc
	v_mov_b32_e32 v1, 0
	s_waitcnt vmcnt(0) lgkmcnt(0)
	v_cmp_ne_u16_e32 vcc, 0, v0
	s_and_saveexec_b64 s[28:29], vcc
	s_cbranch_execz .LBB4_15531
; %bb.15524:                            ;   in Loop: Header=BB4_15069 Depth=3
	v_cmp_ne_u16_e32 vcc, s97, v0
	v_bfrev_b32_e32 v1, 1
	s_and_saveexec_b64 s[34:35], vcc
	s_cbranch_execz .LBB4_15530
; %bb.15525:                            ;   in Loop: Header=BB4_15069 Depth=3
	v_and_b32_e32 v1, 0x7c, v0
	v_and_b32_e32 v3, 3, v0
	v_cmp_ne_u32_e32 vcc, s85, v1
                                        ; implicit-def: $vgpr1
	s_and_saveexec_b64 s[36:37], vcc
	s_xor_b64 s[36:37], exec, s[36:37]
	s_cbranch_execz .LBB4_15527
; %bb.15526:                            ;   in Loop: Header=BB4_15069 Depth=3
	v_and_b32_e32 v5, 0xff, v0
	v_bfe_u32 v14, v5, 2, 5
	v_ffbh_u32_e32 v5, v3
	v_min_u32_e32 v16, 32, v5
	v_mov_b32_e32 v1, v17
	v_subrev_u32_e32 v5, 29, v16
	v_lshlrev_b64 v[5:6], v5, v[0:1]
	v_sub_u32_e32 v1, 30, v16
	v_cmp_eq_u32_e32 vcc, 0, v14
	v_and_b32_e32 v5, 3, v5
	v_cndmask_b32_e32 v1, v14, v1, vcc
	v_and_b32_sdwa v0, sext(v0), s86 dst_sel:DWORD dst_unused:UNUSED_PAD src0_sel:WORD_0 src1_sel:DWORD
	v_cndmask_b32_e32 v3, v3, v5, vcc
	v_lshl_add_u32 v0, v1, 23, v0
	v_lshl_or_b32 v0, v3, 21, v0
	v_add_u32_e32 v1, 0x38000000, v0
                                        ; implicit-def: $vgpr3
                                        ; implicit-def: $vgpr0
.LBB4_15527:                            ;   in Loop: Header=BB4_15069 Depth=3
	s_andn2_saveexec_b64 s[36:37], s[36:37]
; %bb.15528:                            ;   in Loop: Header=BB4_15069 Depth=3
	v_cmp_lt_i16_e32 vcc, -1, v0
	v_mov_b32_e32 v0, 0xff800000
	v_mov_b32_e32 v1, 0x7f800000
	v_cndmask_b32_e32 v0, v0, v1, vcc
	v_cmp_eq_u32_e32 vcc, 0, v3
	v_mov_b32_e32 v1, 0x7f800001
	v_cndmask_b32_e32 v1, v1, v0, vcc
; %bb.15529:                            ;   in Loop: Header=BB4_15069 Depth=3
	s_or_b64 exec, exec, s[36:37]
.LBB4_15530:                            ;   in Loop: Header=BB4_15069 Depth=3
	s_or_b64 exec, exec, s[34:35]
.LBB4_15531:                            ;   in Loop: Header=BB4_15069 Depth=3
	s_or_b64 exec, exec, s[28:29]
	v_mul_f32_e32 v5, v7, v1
	v_and_b32_e32 v24, 0x7f800000, v5
	v_mov_b32_e32 v25, v17
	v_cmp_ne_u64_e32 vcc, s[76:77], v[24:25]
	v_and_b32_e32 v0, 0x7fffff, v5
	v_mov_b32_e32 v1, v17
                                        ; implicit-def: $vgpr54
	s_and_saveexec_b64 s[28:29], vcc
	s_xor_b64 s[34:35], exec, s[28:29]
	s_cbranch_execz .LBB4_15549
; %bb.15532:                            ;   in Loop: Header=BB4_15069 Depth=3
	v_and_b32_e32 v24, 0x7fffffff, v5
	v_mov_b32_e32 v25, v17
	v_cmp_gt_u64_e32 vcc, s[78:79], v[24:25]
	v_and_b32_sdwa v3, v5, s96 dst_sel:DWORD dst_unused:UNUSED_PAD src0_sel:BYTE_3 src1_sel:DWORD
                                        ; implicit-def: $vgpr54
	s_and_saveexec_b64 s[28:29], vcc
	s_xor_b64 s[36:37], exec, s[28:29]
	s_cbranch_execz .LBB4_15546
; %bb.15533:                            ;   in Loop: Header=BB4_15069 Depth=3
	v_cmp_ne_u32_e32 vcc, 0, v5
	v_mov_b32_e32 v54, 0
	s_and_saveexec_b64 s[38:39], vcc
	s_cbranch_execz .LBB4_15545
; %bb.15534:                            ;   in Loop: Header=BB4_15069 Depth=3
	v_bfe_u32 v14, v5, 23, 8
	v_cmp_gt_u32_e64 s[28:29], s46, v14
	v_sub_u32_e32 v5, 0x71, v14
	v_cmp_eq_u32_e32 vcc, 0, v14
	v_cndmask_b32_e64 v5, 0, v5, s[28:29]
	v_mov_b32_e32 v16, 0x70
	v_cndmask_b32_e32 v16, v5, v16, vcc
	v_or_b32_e32 v6, 0x800000, v0
	v_add_u32_e32 v5, 21, v16
	v_cndmask_b32_e32 v0, v6, v0, vcc
	v_lshlrev_b64 v[5:6], v5, -1
	v_add_u32_e32 v21, 20, v16
	v_bfi_b32 v5, v5, 0, v0
	v_lshlrev_b64 v[24:25], v21, 1
	v_lshrrev_b64 v[0:1], v16, v[0:1]
	v_bfi_b32 v6, v6, 0, 0
	v_cmp_eq_u64_e64 s[28:29], v[5:6], v[24:25]
	v_mov_b32_e32 v6, v1
	v_mov_b32_e32 v5, v0
	s_and_saveexec_b64 s[48:49], s[28:29]
; %bb.15535:                            ;   in Loop: Header=BB4_15069 Depth=3
	v_bfe_u32 v1, v0, 21, 1
	v_add_co_u32_e64 v1, s[28:29], v0, v1
	v_add_co_u32_e64 v5, s[28:29], -1, v1
; %bb.15536:                            ;   in Loop: Header=BB4_15069 Depth=3
	s_or_b64 exec, exec, s[48:49]
	v_add_u32_e32 v1, 0xffffff81, v14
	v_mov_b32_e32 v6, 0xffffff82
	v_cndmask_b32_e32 v1, v1, v6, vcc
	v_lshrrev_b32_e32 v6, 23, v0
	v_add3_u32 v14, v16, v1, v6
	v_add_u32_e32 v6, 14, v14
	v_and_b32_e32 v1, 0x1fffff, v5
	v_add_u32_e32 v0, v1, v0
	v_mov_b32_e32 v1, v17
	v_cmp_ne_u32_e32 vcc, 0, v6
                                        ; implicit-def: $vgpr5
	s_and_saveexec_b64 s[28:29], vcc
	s_xor_b64 s[28:29], exec, s[28:29]
; %bb.15537:                            ;   in Loop: Header=BB4_15069 Depth=3
	v_cmp_lt_u64_e32 vcc, s[88:89], v[0:1]
	v_add_u32_e32 v5, 15, v14
	v_cndmask_b32_e32 v5, v6, v5, vcc
	v_cndmask_b32_e64 v6, 0, 1, vcc
	v_lshrrev_b64 v[0:1], v6, v[0:1]
; %bb.15538:                            ;   in Loop: Header=BB4_15069 Depth=3
	s_andn2_saveexec_b64 s[28:29], s[28:29]
; %bb.15539:                            ;   in Loop: Header=BB4_15069 Depth=3
	v_bfe_u32 v5, v0, 23, 1
; %bb.15540:                            ;   in Loop: Header=BB4_15069 Depth=3
	s_or_b64 exec, exec, s[28:29]
	v_lshrrev_b64 v[0:1], 21, v[0:1]
	v_cmp_gt_i32_e32 vcc, 32, v5
	v_cndmask_b32_e32 v1, 0, v1, vcc
	v_cndmask_b32_e32 v0, 3, v0, vcc
	v_cmp_ne_u64_e32 vcc, 0, v[0:1]
	v_cmp_ne_u32_e64 s[28:29], 0, v5
	s_or_b64 s[28:29], s[28:29], vcc
                                        ; implicit-def: $vgpr54
	s_and_saveexec_b64 vcc, s[28:29]
	s_xor_b64 s[28:29], exec, vcc
; %bb.15541:                            ;   in Loop: Header=BB4_15069 Depth=3
	v_min_i32_e32 v1, 31, v5
	v_lshl_or_b32 v1, v1, 2, v3
	v_and_or_b32 v54, v0, 3, v1
                                        ; implicit-def: $vgpr3
; %bb.15542:                            ;   in Loop: Header=BB4_15069 Depth=3
	s_andn2_saveexec_b64 s[28:29], s[28:29]
; %bb.15543:                            ;   in Loop: Header=BB4_15069 Depth=3
	v_mov_b32_e32 v54, v3
; %bb.15544:                            ;   in Loop: Header=BB4_15069 Depth=3
	s_or_b64 exec, exec, s[28:29]
.LBB4_15545:                            ;   in Loop: Header=BB4_15069 Depth=3
	s_or_b64 exec, exec, s[38:39]
                                        ; implicit-def: $vgpr3
.LBB4_15546:                            ;   in Loop: Header=BB4_15069 Depth=3
	s_andn2_saveexec_b64 s[28:29], s[36:37]
; %bb.15547:                            ;   in Loop: Header=BB4_15069 Depth=3
	v_or_b32_e32 v54, 0x7b, v3
; %bb.15548:                            ;   in Loop: Header=BB4_15069 Depth=3
	s_or_b64 exec, exec, s[28:29]
                                        ; implicit-def: $vgpr5
                                        ; implicit-def: $vgpr0_vgpr1
.LBB4_15549:                            ;   in Loop: Header=BB4_15069 Depth=3
	s_andn2_saveexec_b64 s[28:29], s[34:35]
	s_cbranch_execz .LBB4_15555
; %bb.15550:                            ;   in Loop: Header=BB4_15069 Depth=3
	v_cmp_ne_u64_e32 vcc, 0, v[0:1]
                                        ; implicit-def: $vgpr54
	s_and_saveexec_b64 s[34:35], vcc
	s_xor_b64 vcc, exec, s[34:35]
; %bb.15551:                            ;   in Loop: Header=BB4_15069 Depth=3
	v_or_b32_sdwa v54, v5, s47 dst_sel:DWORD dst_unused:UNUSED_PAD src0_sel:BYTE_3 src1_sel:DWORD
                                        ; implicit-def: $vgpr5
; %bb.15552:                            ;   in Loop: Header=BB4_15069 Depth=3
	s_andn2_saveexec_b64 s[34:35], vcc
; %bb.15553:                            ;   in Loop: Header=BB4_15069 Depth=3
	v_cmp_lt_i32_e32 vcc, -1, v5
	v_cndmask_b32_e32 v54, -4, v52, vcc
; %bb.15554:                            ;   in Loop: Header=BB4_15069 Depth=3
	s_or_b64 exec, exec, s[34:35]
.LBB4_15555:                            ;   in Loop: Header=BB4_15069 Depth=3
	s_or_b64 exec, exec, s[28:29]
	flat_load_sbyte v0, v[8:9] offset:960 glc slc
	v_mov_b32_e32 v1, 0
	s_waitcnt vmcnt(0) lgkmcnt(0)
	v_cmp_ne_u16_e32 vcc, 0, v0
	s_and_saveexec_b64 s[28:29], vcc
	s_cbranch_execz .LBB4_15563
; %bb.15556:                            ;   in Loop: Header=BB4_15069 Depth=3
	v_cmp_ne_u16_e32 vcc, s97, v0
	v_bfrev_b32_e32 v1, 1
	s_and_saveexec_b64 s[34:35], vcc
	s_cbranch_execz .LBB4_15562
; %bb.15557:                            ;   in Loop: Header=BB4_15069 Depth=3
	v_and_b32_e32 v1, 0x7c, v0
	v_and_b32_e32 v3, 3, v0
	v_cmp_ne_u32_e32 vcc, s85, v1
                                        ; implicit-def: $vgpr1
	s_and_saveexec_b64 s[36:37], vcc
	s_xor_b64 s[36:37], exec, s[36:37]
	s_cbranch_execz .LBB4_15559
; %bb.15558:                            ;   in Loop: Header=BB4_15069 Depth=3
	v_and_b32_e32 v5, 0xff, v0
	v_bfe_u32 v14, v5, 2, 5
	v_ffbh_u32_e32 v5, v3
	v_min_u32_e32 v16, 32, v5
	v_mov_b32_e32 v1, v17
	v_subrev_u32_e32 v5, 29, v16
	v_lshlrev_b64 v[5:6], v5, v[0:1]
	v_sub_u32_e32 v1, 30, v16
	v_cmp_eq_u32_e32 vcc, 0, v14
	v_and_b32_e32 v5, 3, v5
	v_cndmask_b32_e32 v1, v14, v1, vcc
	v_and_b32_sdwa v0, sext(v0), s86 dst_sel:DWORD dst_unused:UNUSED_PAD src0_sel:WORD_0 src1_sel:DWORD
	v_cndmask_b32_e32 v3, v3, v5, vcc
	v_lshl_add_u32 v0, v1, 23, v0
	v_lshl_or_b32 v0, v3, 21, v0
	v_add_u32_e32 v1, 0x38000000, v0
                                        ; implicit-def: $vgpr3
                                        ; implicit-def: $vgpr0
.LBB4_15559:                            ;   in Loop: Header=BB4_15069 Depth=3
	s_andn2_saveexec_b64 s[36:37], s[36:37]
; %bb.15560:                            ;   in Loop: Header=BB4_15069 Depth=3
	v_cmp_lt_i16_e32 vcc, -1, v0
	v_mov_b32_e32 v0, 0xff800000
	v_mov_b32_e32 v1, 0x7f800000
	v_cndmask_b32_e32 v0, v0, v1, vcc
	v_cmp_eq_u32_e32 vcc, 0, v3
	v_mov_b32_e32 v1, 0x7f800001
	v_cndmask_b32_e32 v1, v1, v0, vcc
; %bb.15561:                            ;   in Loop: Header=BB4_15069 Depth=3
	s_or_b64 exec, exec, s[36:37]
.LBB4_15562:                            ;   in Loop: Header=BB4_15069 Depth=3
	s_or_b64 exec, exec, s[34:35]
.LBB4_15563:                            ;   in Loop: Header=BB4_15069 Depth=3
	s_or_b64 exec, exec, s[28:29]
	v_mul_f32_e32 v5, v7, v1
	v_and_b32_e32 v6, 0x7f800000, v5
	v_mov_b32_e32 v7, v17
	v_cmp_ne_u64_e32 vcc, s[76:77], v[6:7]
	v_and_b32_e32 v0, 0x7fffff, v5
	v_mov_b32_e32 v1, v17
                                        ; implicit-def: $vgpr14
	s_and_saveexec_b64 s[28:29], vcc
	s_xor_b64 s[34:35], exec, s[28:29]
	s_cbranch_execz .LBB4_15581
; %bb.15564:                            ;   in Loop: Header=BB4_15069 Depth=3
	v_and_b32_e32 v6, 0x7fffffff, v5
	v_mov_b32_e32 v7, v17
	v_cmp_gt_u64_e32 vcc, s[78:79], v[6:7]
	v_and_b32_sdwa v3, v5, s96 dst_sel:DWORD dst_unused:UNUSED_PAD src0_sel:BYTE_3 src1_sel:DWORD
                                        ; implicit-def: $vgpr14
	s_and_saveexec_b64 s[28:29], vcc
	s_xor_b64 s[36:37], exec, s[28:29]
	s_cbranch_execz .LBB4_15578
; %bb.15565:                            ;   in Loop: Header=BB4_15069 Depth=3
	v_cmp_ne_u32_e32 vcc, 0, v5
	v_mov_b32_e32 v14, 0
	s_and_saveexec_b64 s[38:39], vcc
	s_cbranch_execz .LBB4_15577
; %bb.15566:                            ;   in Loop: Header=BB4_15069 Depth=3
	v_bfe_u32 v7, v5, 23, 8
	v_cmp_gt_u32_e64 s[28:29], s46, v7
	v_sub_u32_e32 v5, 0x71, v7
	v_cmp_eq_u32_e32 vcc, 0, v7
	v_cndmask_b32_e64 v5, 0, v5, s[28:29]
	v_mov_b32_e32 v14, 0x70
	v_cndmask_b32_e32 v14, v5, v14, vcc
	v_or_b32_e32 v6, 0x800000, v0
	v_add_u32_e32 v5, 21, v14
	v_cndmask_b32_e32 v0, v6, v0, vcc
	v_lshlrev_b64 v[5:6], v5, -1
	v_add_u32_e32 v16, 20, v14
	v_bfi_b32 v5, v5, 0, v0
	v_lshlrev_b64 v[24:25], v16, 1
	v_lshrrev_b64 v[0:1], v14, v[0:1]
	v_bfi_b32 v6, v6, 0, 0
	v_cmp_eq_u64_e64 s[28:29], v[5:6], v[24:25]
	v_mov_b32_e32 v6, v1
	v_mov_b32_e32 v5, v0
	s_and_saveexec_b64 s[48:49], s[28:29]
; %bb.15567:                            ;   in Loop: Header=BB4_15069 Depth=3
	v_bfe_u32 v1, v0, 21, 1
	v_add_co_u32_e64 v1, s[28:29], v0, v1
	v_add_co_u32_e64 v5, s[28:29], -1, v1
; %bb.15568:                            ;   in Loop: Header=BB4_15069 Depth=3
	s_or_b64 exec, exec, s[48:49]
	v_add_u32_e32 v1, 0xffffff81, v7
	v_mov_b32_e32 v6, 0xffffff82
	v_cndmask_b32_e32 v1, v1, v6, vcc
	v_lshrrev_b32_e32 v6, 23, v0
	v_add3_u32 v7, v14, v1, v6
	v_add_u32_e32 v6, 14, v7
	v_and_b32_e32 v1, 0x1fffff, v5
	v_add_u32_e32 v0, v1, v0
	v_mov_b32_e32 v1, v17
	v_cmp_ne_u32_e32 vcc, 0, v6
                                        ; implicit-def: $vgpr5
	s_and_saveexec_b64 s[28:29], vcc
	s_xor_b64 s[28:29], exec, s[28:29]
; %bb.15569:                            ;   in Loop: Header=BB4_15069 Depth=3
	v_cmp_lt_u64_e32 vcc, s[88:89], v[0:1]
	v_add_u32_e32 v5, 15, v7
	v_cndmask_b32_e32 v5, v6, v5, vcc
	v_cndmask_b32_e64 v6, 0, 1, vcc
	v_lshrrev_b64 v[0:1], v6, v[0:1]
; %bb.15570:                            ;   in Loop: Header=BB4_15069 Depth=3
	s_andn2_saveexec_b64 s[28:29], s[28:29]
; %bb.15571:                            ;   in Loop: Header=BB4_15069 Depth=3
	v_bfe_u32 v5, v0, 23, 1
; %bb.15572:                            ;   in Loop: Header=BB4_15069 Depth=3
	s_or_b64 exec, exec, s[28:29]
	v_lshrrev_b64 v[0:1], 21, v[0:1]
	v_cmp_gt_i32_e32 vcc, 32, v5
	v_cndmask_b32_e32 v1, 0, v1, vcc
	v_cndmask_b32_e32 v0, 3, v0, vcc
	v_cmp_ne_u64_e32 vcc, 0, v[0:1]
	v_cmp_ne_u32_e64 s[28:29], 0, v5
	s_or_b64 s[28:29], s[28:29], vcc
                                        ; implicit-def: $vgpr14
	s_and_saveexec_b64 vcc, s[28:29]
	s_xor_b64 s[28:29], exec, vcc
; %bb.15573:                            ;   in Loop: Header=BB4_15069 Depth=3
	v_min_i32_e32 v1, 31, v5
	v_lshl_or_b32 v1, v1, 2, v3
	v_and_or_b32 v14, v0, 3, v1
                                        ; implicit-def: $vgpr3
; %bb.15574:                            ;   in Loop: Header=BB4_15069 Depth=3
	s_andn2_saveexec_b64 s[28:29], s[28:29]
; %bb.15575:                            ;   in Loop: Header=BB4_15069 Depth=3
	v_mov_b32_e32 v14, v3
; %bb.15576:                            ;   in Loop: Header=BB4_15069 Depth=3
	s_or_b64 exec, exec, s[28:29]
.LBB4_15577:                            ;   in Loop: Header=BB4_15069 Depth=3
	s_or_b64 exec, exec, s[38:39]
                                        ; implicit-def: $vgpr3
.LBB4_15578:                            ;   in Loop: Header=BB4_15069 Depth=3
	s_andn2_saveexec_b64 s[28:29], s[36:37]
; %bb.15579:                            ;   in Loop: Header=BB4_15069 Depth=3
	v_or_b32_e32 v14, 0x7b, v3
; %bb.15580:                            ;   in Loop: Header=BB4_15069 Depth=3
	s_or_b64 exec, exec, s[28:29]
                                        ; implicit-def: $vgpr5
                                        ; implicit-def: $vgpr0_vgpr1
.LBB4_15581:                            ;   in Loop: Header=BB4_15069 Depth=3
	s_andn2_saveexec_b64 s[28:29], s[34:35]
	s_cbranch_execz .LBB4_15587
; %bb.15582:                            ;   in Loop: Header=BB4_15069 Depth=3
	v_cmp_ne_u64_e32 vcc, 0, v[0:1]
                                        ; implicit-def: $vgpr14
	s_and_saveexec_b64 s[34:35], vcc
	s_xor_b64 vcc, exec, s[34:35]
; %bb.15583:                            ;   in Loop: Header=BB4_15069 Depth=3
	v_or_b32_sdwa v14, v5, s47 dst_sel:DWORD dst_unused:UNUSED_PAD src0_sel:BYTE_3 src1_sel:DWORD
                                        ; implicit-def: $vgpr5
; %bb.15584:                            ;   in Loop: Header=BB4_15069 Depth=3
	s_andn2_saveexec_b64 s[34:35], vcc
; %bb.15585:                            ;   in Loop: Header=BB4_15069 Depth=3
	v_cmp_lt_i32_e32 vcc, -1, v5
	v_cndmask_b32_e32 v14, -4, v52, vcc
; %bb.15586:                            ;   in Loop: Header=BB4_15069 Depth=3
	s_or_b64 exec, exec, s[34:35]
.LBB4_15587:                            ;   in Loop: Header=BB4_15069 Depth=3
	s_or_b64 exec, exec, s[28:29]
	flat_load_sbyte v31, v[10:11] glc slc
	flat_load_sbyte v60, v[10:11] offset:64 glc slc
	flat_load_sbyte v59, v[10:11] offset:128 glc slc
	;; [unrolled: 1-line block ×15, first 2 shown]
	v_and_b32_e32 v16, 0xff, v50
	v_cmp_ne_u16_e32 vcc, 0, v16
	v_mov_b32_e32 v3, 0
	v_mov_b32_e32 v5, 0
	s_and_saveexec_b64 s[28:29], vcc
	s_cbranch_execz .LBB4_15595
; %bb.15588:                            ;   in Loop: Header=BB4_15069 Depth=3
	v_cmp_ne_u16_e32 vcc, s96, v16
	v_bfrev_b32_e32 v5, 1
	s_and_saveexec_b64 s[34:35], vcc
	s_cbranch_execz .LBB4_15594
; %bb.15589:                            ;   in Loop: Header=BB4_15069 Depth=3
	v_and_b32_e32 v5, 0x7c, v50
	v_and_b32_e32 v7, 3, v50
	v_cmp_ne_u32_e32 vcc, s85, v5
                                        ; implicit-def: $vgpr5
	s_and_saveexec_b64 s[36:37], vcc
	s_xor_b64 s[36:37], exec, s[36:37]
	s_cbranch_execz .LBB4_15591
; %bb.15590:                            ;   in Loop: Header=BB4_15069 Depth=3
	v_bfe_u32 v5, v16, 2, 5
	v_ffbh_u32_e32 v16, v7
	v_min_u32_e32 v16, 32, v16
	v_mov_b32_e32 v51, v17
	v_subrev_u32_e32 v21, 29, v16
	v_lshlrev_b64 v[32:33], v21, v[50:51]
	v_sub_u32_e32 v16, 30, v16
	v_cmp_eq_u32_e32 vcc, 0, v5
	v_cndmask_b32_e32 v5, v5, v16, vcc
	v_lshlrev_b32_e32 v16, 24, v50
	v_and_b32_e32 v21, 3, v32
	v_and_b32_e32 v16, 0x80000000, v16
	v_cndmask_b32_e32 v7, v7, v21, vcc
	v_lshl_add_u32 v5, v5, 23, v16
	v_lshl_or_b32 v5, v7, 21, v5
	v_add_u32_e32 v5, 0x38000000, v5
                                        ; implicit-def: $vgpr7
                                        ; implicit-def: $vgpr50
.LBB4_15591:                            ;   in Loop: Header=BB4_15069 Depth=3
	s_andn2_saveexec_b64 s[36:37], s[36:37]
; %bb.15592:                            ;   in Loop: Header=BB4_15069 Depth=3
	v_mov_b32_e32 v5, -1
	v_cmp_gt_i16_sdwa vcc, sext(v50), v5 src0_sel:BYTE_0 src1_sel:DWORD
	v_mov_b32_e32 v5, 0xff800000
	v_mov_b32_e32 v16, 0x7f800000
	v_cndmask_b32_e32 v5, v5, v16, vcc
	v_cmp_eq_u32_e32 vcc, 0, v7
	v_mov_b32_e32 v7, 0x7f800001
	v_cndmask_b32_e32 v5, v7, v5, vcc
; %bb.15593:                            ;   in Loop: Header=BB4_15069 Depth=3
	s_or_b64 exec, exec, s[36:37]
.LBB4_15594:                            ;   in Loop: Header=BB4_15069 Depth=3
	s_or_b64 exec, exec, s[34:35]
.LBB4_15595:                            ;   in Loop: Header=BB4_15069 Depth=3
	s_or_b64 exec, exec, s[28:29]
	s_waitcnt vmcnt(0) lgkmcnt(0)
	v_cmp_ne_u16_e32 vcc, 0, v31
	s_and_saveexec_b64 s[28:29], vcc
	s_cbranch_execz .LBB4_15603
; %bb.15596:                            ;   in Loop: Header=BB4_15069 Depth=3
	v_cmp_ne_u16_e32 vcc, s97, v31
	v_bfrev_b32_e32 v3, 1
	s_and_saveexec_b64 s[34:35], vcc
	s_cbranch_execz .LBB4_15602
; %bb.15597:                            ;   in Loop: Header=BB4_15069 Depth=3
	v_and_b32_e32 v3, 0x7c, v31
	v_and_b32_e32 v7, 3, v31
	v_cmp_ne_u32_e32 vcc, s85, v3
                                        ; implicit-def: $vgpr3
	s_and_saveexec_b64 s[36:37], vcc
	s_xor_b64 s[36:37], exec, s[36:37]
	s_cbranch_execz .LBB4_15599
; %bb.15598:                            ;   in Loop: Header=BB4_15069 Depth=3
	v_ffbh_u32_e32 v16, v7
	v_min_u32_e32 v16, 32, v16
	v_and_b32_e32 v3, 0xff, v31
	v_mov_b32_e32 v32, v17
	v_subrev_u32_e32 v21, 29, v16
	v_bfe_u32 v3, v3, 2, 5
	v_lshlrev_b64 v[32:33], v21, v[31:32]
	v_sub_u32_e32 v16, 30, v16
	v_cmp_eq_u32_e32 vcc, 0, v3
	v_and_b32_e32 v21, 3, v32
	v_cndmask_b32_e32 v3, v3, v16, vcc
	v_and_b32_sdwa v16, sext(v31), s86 dst_sel:DWORD dst_unused:UNUSED_PAD src0_sel:WORD_0 src1_sel:DWORD
	v_cndmask_b32_e32 v7, v7, v21, vcc
	v_lshl_add_u32 v3, v3, 23, v16
	v_lshl_or_b32 v3, v7, 21, v3
	v_add_u32_e32 v3, 0x38000000, v3
                                        ; implicit-def: $vgpr7
                                        ; implicit-def: $vgpr31
.LBB4_15599:                            ;   in Loop: Header=BB4_15069 Depth=3
	s_andn2_saveexec_b64 s[36:37], s[36:37]
; %bb.15600:                            ;   in Loop: Header=BB4_15069 Depth=3
	v_cmp_lt_i16_e32 vcc, -1, v31
	v_mov_b32_e32 v3, 0xff800000
	v_mov_b32_e32 v16, 0x7f800000
	v_cndmask_b32_e32 v3, v3, v16, vcc
	v_cmp_eq_u32_e32 vcc, 0, v7
	v_mov_b32_e32 v7, 0x7f800001
	v_cndmask_b32_e32 v3, v7, v3, vcc
; %bb.15601:                            ;   in Loop: Header=BB4_15069 Depth=3
	s_or_b64 exec, exec, s[36:37]
.LBB4_15602:                            ;   in Loop: Header=BB4_15069 Depth=3
	s_or_b64 exec, exec, s[34:35]
.LBB4_15603:                            ;   in Loop: Header=BB4_15069 Depth=3
	s_or_b64 exec, exec, s[28:29]
	v_add_f32_e32 v5, v5, v3
	v_and_b32_e32 v32, 0x7f800000, v5
	v_mov_b32_e32 v33, v17
	v_cmp_ne_u64_e32 vcc, s[76:77], v[32:33]
	v_and_b32_e32 v31, 0x7fffff, v5
	v_mov_b32_e32 v32, v17
                                        ; implicit-def: $vgpr50
	s_and_saveexec_b64 s[28:29], vcc
	s_xor_b64 s[34:35], exec, s[28:29]
	s_cbranch_execz .LBB4_15621
; %bb.15604:                            ;   in Loop: Header=BB4_15069 Depth=3
	v_and_b32_e32 v50, 0x7fffffff, v5
	v_mov_b32_e32 v51, v17
	v_cmp_gt_u64_e32 vcc, s[78:79], v[50:51]
	v_and_b32_sdwa v3, v5, s96 dst_sel:DWORD dst_unused:UNUSED_PAD src0_sel:BYTE_3 src1_sel:DWORD
                                        ; implicit-def: $vgpr50
	s_and_saveexec_b64 s[28:29], vcc
	s_xor_b64 s[36:37], exec, s[28:29]
	s_cbranch_execz .LBB4_15618
; %bb.15605:                            ;   in Loop: Header=BB4_15069 Depth=3
	v_cmp_ne_u32_e32 vcc, 0, v5
	v_mov_b32_e32 v50, 0
	s_and_saveexec_b64 s[38:39], vcc
	s_cbranch_execz .LBB4_15617
; %bb.15606:                            ;   in Loop: Header=BB4_15069 Depth=3
	v_bfe_u32 v5, v5, 23, 8
	v_cmp_gt_u32_e64 s[28:29], s46, v5
	v_sub_u32_e32 v7, 0x71, v5
	v_cmp_eq_u32_e32 vcc, 0, v5
	v_cndmask_b32_e64 v7, 0, v7, s[28:29]
	v_mov_b32_e32 v21, 0x70
	v_or_b32_e32 v16, 0x800000, v31
	v_cndmask_b32_e32 v7, v7, v21, vcc
	v_cndmask_b32_e32 v31, v16, v31, vcc
	v_add_u32_e32 v16, 21, v7
	v_lshlrev_b64 v[50:51], v16, -1
	v_add_u32_e32 v16, 20, v7
	v_bfi_b32 v50, v50, 0, v31
	v_lshlrev_b64 v[48:49], v16, 1
	v_lshrrev_b64 v[31:32], v7, v[31:32]
	v_bfi_b32 v51, v51, 0, 0
	v_cmp_eq_u64_e64 s[28:29], v[50:51], v[48:49]
	v_mov_b32_e32 v33, v32
	v_mov_b32_e32 v32, v31
	s_and_saveexec_b64 s[48:49], s[28:29]
; %bb.15607:                            ;   in Loop: Header=BB4_15069 Depth=3
	v_bfe_u32 v16, v31, 21, 1
	v_add_co_u32_e64 v16, s[28:29], v31, v16
	v_add_co_u32_e64 v32, s[28:29], -1, v16
; %bb.15608:                            ;   in Loop: Header=BB4_15069 Depth=3
	s_or_b64 exec, exec, s[48:49]
	v_add_u32_e32 v5, 0xffffff81, v5
	v_mov_b32_e32 v16, 0xffffff82
	v_cndmask_b32_e32 v5, v5, v16, vcc
	v_lshrrev_b32_e32 v16, 23, v31
	v_add3_u32 v16, v7, v5, v16
	v_add_u32_e32 v7, 14, v16
	v_and_b32_e32 v5, 0x1fffff, v32
	v_add_u32_e32 v31, v5, v31
	v_mov_b32_e32 v32, v17
	v_cmp_ne_u32_e32 vcc, 0, v7
                                        ; implicit-def: $vgpr5
	s_and_saveexec_b64 s[28:29], vcc
	s_xor_b64 s[28:29], exec, s[28:29]
; %bb.15609:                            ;   in Loop: Header=BB4_15069 Depth=3
	v_cmp_lt_u64_e32 vcc, s[88:89], v[31:32]
	v_add_u32_e32 v5, 15, v16
	v_cndmask_b32_e32 v5, v7, v5, vcc
	v_cndmask_b32_e64 v7, 0, 1, vcc
	v_lshrrev_b64 v[31:32], v7, v[31:32]
; %bb.15610:                            ;   in Loop: Header=BB4_15069 Depth=3
	s_andn2_saveexec_b64 s[28:29], s[28:29]
; %bb.15611:                            ;   in Loop: Header=BB4_15069 Depth=3
	v_bfe_u32 v5, v31, 23, 1
; %bb.15612:                            ;   in Loop: Header=BB4_15069 Depth=3
	s_or_b64 exec, exec, s[28:29]
	v_lshrrev_b64 v[31:32], 21, v[31:32]
	v_cmp_gt_i32_e32 vcc, 32, v5
	v_cndmask_b32_e32 v32, 0, v32, vcc
	v_cndmask_b32_e32 v31, 3, v31, vcc
	v_cmp_ne_u64_e32 vcc, 0, v[31:32]
	v_cmp_ne_u32_e64 s[28:29], 0, v5
	s_or_b64 s[28:29], s[28:29], vcc
                                        ; implicit-def: $vgpr50
	s_and_saveexec_b64 vcc, s[28:29]
	s_xor_b64 s[28:29], exec, vcc
; %bb.15613:                            ;   in Loop: Header=BB4_15069 Depth=3
	v_min_i32_e32 v5, 31, v5
	v_lshl_or_b32 v3, v5, 2, v3
	v_and_or_b32 v50, v31, 3, v3
                                        ; implicit-def: $vgpr3
; %bb.15614:                            ;   in Loop: Header=BB4_15069 Depth=3
	s_andn2_saveexec_b64 s[28:29], s[28:29]
; %bb.15615:                            ;   in Loop: Header=BB4_15069 Depth=3
	v_mov_b32_e32 v50, v3
; %bb.15616:                            ;   in Loop: Header=BB4_15069 Depth=3
	s_or_b64 exec, exec, s[28:29]
.LBB4_15617:                            ;   in Loop: Header=BB4_15069 Depth=3
	s_or_b64 exec, exec, s[38:39]
                                        ; implicit-def: $vgpr3
.LBB4_15618:                            ;   in Loop: Header=BB4_15069 Depth=3
	s_andn2_saveexec_b64 s[28:29], s[36:37]
; %bb.15619:                            ;   in Loop: Header=BB4_15069 Depth=3
	v_or_b32_e32 v50, 0x7b, v3
; %bb.15620:                            ;   in Loop: Header=BB4_15069 Depth=3
	s_or_b64 exec, exec, s[28:29]
                                        ; implicit-def: $vgpr5
                                        ; implicit-def: $vgpr31_vgpr32
.LBB4_15621:                            ;   in Loop: Header=BB4_15069 Depth=3
	s_andn2_saveexec_b64 s[28:29], s[34:35]
	s_cbranch_execz .LBB4_15627
; %bb.15622:                            ;   in Loop: Header=BB4_15069 Depth=3
	v_cmp_ne_u64_e32 vcc, 0, v[31:32]
                                        ; implicit-def: $vgpr50
	s_and_saveexec_b64 s[34:35], vcc
	s_xor_b64 vcc, exec, s[34:35]
; %bb.15623:                            ;   in Loop: Header=BB4_15069 Depth=3
	v_or_b32_sdwa v50, v5, s47 dst_sel:DWORD dst_unused:UNUSED_PAD src0_sel:BYTE_3 src1_sel:DWORD
                                        ; implicit-def: $vgpr5
; %bb.15624:                            ;   in Loop: Header=BB4_15069 Depth=3
	s_andn2_saveexec_b64 s[34:35], vcc
; %bb.15625:                            ;   in Loop: Header=BB4_15069 Depth=3
	v_cmp_lt_i32_e32 vcc, -1, v5
	v_cndmask_b32_e32 v50, -4, v52, vcc
; %bb.15626:                            ;   in Loop: Header=BB4_15069 Depth=3
	s_or_b64 exec, exec, s[34:35]
.LBB4_15627:                            ;   in Loop: Header=BB4_15069 Depth=3
	s_or_b64 exec, exec, s[28:29]
	v_and_b32_e32 v16, 0xff, v34
	v_cmp_ne_u16_e32 vcc, 0, v16
	v_mov_b32_e32 v3, 0
	v_mov_b32_e32 v5, 0
	s_and_saveexec_b64 s[28:29], vcc
	s_cbranch_execz .LBB4_15635
; %bb.15628:                            ;   in Loop: Header=BB4_15069 Depth=3
	v_cmp_ne_u16_e32 vcc, s96, v16
	v_bfrev_b32_e32 v5, 1
	s_and_saveexec_b64 s[34:35], vcc
	s_cbranch_execz .LBB4_15634
; %bb.15629:                            ;   in Loop: Header=BB4_15069 Depth=3
	v_and_b32_e32 v5, 0x7c, v34
	v_and_b32_e32 v7, 3, v34
	v_cmp_ne_u32_e32 vcc, s85, v5
                                        ; implicit-def: $vgpr5
	s_and_saveexec_b64 s[36:37], vcc
	s_xor_b64 s[36:37], exec, s[36:37]
	s_cbranch_execz .LBB4_15631
; %bb.15630:                            ;   in Loop: Header=BB4_15069 Depth=3
	v_bfe_u32 v5, v16, 2, 5
	v_ffbh_u32_e32 v16, v7
	v_min_u32_e32 v16, 32, v16
	v_mov_b32_e32 v35, v17
	v_subrev_u32_e32 v21, 29, v16
	v_lshlrev_b64 v[31:32], v21, v[34:35]
	v_sub_u32_e32 v16, 30, v16
	v_cmp_eq_u32_e32 vcc, 0, v5
	v_cndmask_b32_e32 v5, v5, v16, vcc
	v_lshlrev_b32_e32 v16, 24, v34
	v_and_b32_e32 v21, 3, v31
	v_and_b32_e32 v16, 0x80000000, v16
	v_cndmask_b32_e32 v7, v7, v21, vcc
	v_lshl_add_u32 v5, v5, 23, v16
	v_lshl_or_b32 v5, v7, 21, v5
	v_add_u32_e32 v5, 0x38000000, v5
                                        ; implicit-def: $vgpr7
                                        ; implicit-def: $vgpr34
.LBB4_15631:                            ;   in Loop: Header=BB4_15069 Depth=3
	s_andn2_saveexec_b64 s[36:37], s[36:37]
; %bb.15632:                            ;   in Loop: Header=BB4_15069 Depth=3
	v_mov_b32_e32 v5, -1
	v_cmp_gt_i16_sdwa vcc, sext(v34), v5 src0_sel:BYTE_0 src1_sel:DWORD
	v_mov_b32_e32 v5, 0xff800000
	v_mov_b32_e32 v16, 0x7f800000
	v_cndmask_b32_e32 v5, v5, v16, vcc
	v_cmp_eq_u32_e32 vcc, 0, v7
	v_mov_b32_e32 v7, 0x7f800001
	v_cndmask_b32_e32 v5, v7, v5, vcc
; %bb.15633:                            ;   in Loop: Header=BB4_15069 Depth=3
	s_or_b64 exec, exec, s[36:37]
.LBB4_15634:                            ;   in Loop: Header=BB4_15069 Depth=3
	s_or_b64 exec, exec, s[34:35]
.LBB4_15635:                            ;   in Loop: Header=BB4_15069 Depth=3
	s_or_b64 exec, exec, s[28:29]
	v_cmp_ne_u16_e32 vcc, 0, v60
	s_and_saveexec_b64 s[28:29], vcc
	s_cbranch_execz .LBB4_15643
; %bb.15636:                            ;   in Loop: Header=BB4_15069 Depth=3
	v_cmp_ne_u16_e32 vcc, s97, v60
	v_bfrev_b32_e32 v3, 1
	s_and_saveexec_b64 s[34:35], vcc
	s_cbranch_execz .LBB4_15642
; %bb.15637:                            ;   in Loop: Header=BB4_15069 Depth=3
	v_and_b32_e32 v3, 0x7c, v60
	v_and_b32_e32 v7, 3, v60
	v_cmp_ne_u32_e32 vcc, s85, v3
                                        ; implicit-def: $vgpr3
	s_and_saveexec_b64 s[36:37], vcc
	s_xor_b64 s[36:37], exec, s[36:37]
	s_cbranch_execz .LBB4_15639
; %bb.15638:                            ;   in Loop: Header=BB4_15069 Depth=3
	v_ffbh_u32_e32 v16, v7
	v_min_u32_e32 v16, 32, v16
	v_and_b32_e32 v3, 0xff, v60
	v_mov_b32_e32 v61, v17
	v_subrev_u32_e32 v21, 29, v16
	v_bfe_u32 v3, v3, 2, 5
	v_lshlrev_b64 v[31:32], v21, v[60:61]
	v_sub_u32_e32 v16, 30, v16
	v_cmp_eq_u32_e32 vcc, 0, v3
	v_and_b32_e32 v21, 3, v31
	v_cndmask_b32_e32 v3, v3, v16, vcc
	v_and_b32_sdwa v16, sext(v60), s86 dst_sel:DWORD dst_unused:UNUSED_PAD src0_sel:WORD_0 src1_sel:DWORD
	v_cndmask_b32_e32 v7, v7, v21, vcc
	v_lshl_add_u32 v3, v3, 23, v16
	v_lshl_or_b32 v3, v7, 21, v3
	v_add_u32_e32 v3, 0x38000000, v3
                                        ; implicit-def: $vgpr7
                                        ; implicit-def: $vgpr60
.LBB4_15639:                            ;   in Loop: Header=BB4_15069 Depth=3
	s_andn2_saveexec_b64 s[36:37], s[36:37]
; %bb.15640:                            ;   in Loop: Header=BB4_15069 Depth=3
	v_cmp_lt_i16_e32 vcc, -1, v60
	v_mov_b32_e32 v3, 0xff800000
	v_mov_b32_e32 v16, 0x7f800000
	v_cndmask_b32_e32 v3, v3, v16, vcc
	v_cmp_eq_u32_e32 vcc, 0, v7
	v_mov_b32_e32 v7, 0x7f800001
	v_cndmask_b32_e32 v3, v7, v3, vcc
; %bb.15641:                            ;   in Loop: Header=BB4_15069 Depth=3
	s_or_b64 exec, exec, s[36:37]
.LBB4_15642:                            ;   in Loop: Header=BB4_15069 Depth=3
	s_or_b64 exec, exec, s[34:35]
.LBB4_15643:                            ;   in Loop: Header=BB4_15069 Depth=3
	s_or_b64 exec, exec, s[28:29]
	v_add_f32_e32 v5, v5, v3
	v_and_b32_e32 v32, 0x7f800000, v5
	v_mov_b32_e32 v33, v17
	v_cmp_ne_u64_e32 vcc, s[76:77], v[32:33]
	v_and_b32_e32 v31, 0x7fffff, v5
	v_mov_b32_e32 v32, v17
                                        ; implicit-def: $vgpr33
	s_and_saveexec_b64 s[28:29], vcc
	s_xor_b64 s[34:35], exec, s[28:29]
	s_cbranch_execz .LBB4_15661
; %bb.15644:                            ;   in Loop: Header=BB4_15069 Depth=3
	v_and_b32_e32 v33, 0x7fffffff, v5
	v_mov_b32_e32 v34, v17
	v_cmp_gt_u64_e32 vcc, s[78:79], v[33:34]
	v_and_b32_sdwa v3, v5, s96 dst_sel:DWORD dst_unused:UNUSED_PAD src0_sel:BYTE_3 src1_sel:DWORD
                                        ; implicit-def: $vgpr33
	s_and_saveexec_b64 s[28:29], vcc
	s_xor_b64 s[36:37], exec, s[28:29]
	s_cbranch_execz .LBB4_15658
; %bb.15645:                            ;   in Loop: Header=BB4_15069 Depth=3
	v_cmp_ne_u32_e32 vcc, 0, v5
	v_mov_b32_e32 v33, 0
	s_and_saveexec_b64 s[38:39], vcc
	s_cbranch_execz .LBB4_15657
; %bb.15646:                            ;   in Loop: Header=BB4_15069 Depth=3
	v_bfe_u32 v5, v5, 23, 8
	v_cmp_gt_u32_e64 s[28:29], s46, v5
	v_sub_u32_e32 v7, 0x71, v5
	v_cmp_eq_u32_e32 vcc, 0, v5
	v_cndmask_b32_e64 v7, 0, v7, s[28:29]
	v_mov_b32_e32 v21, 0x70
	v_or_b32_e32 v16, 0x800000, v31
	v_cndmask_b32_e32 v7, v7, v21, vcc
	v_cndmask_b32_e32 v31, v16, v31, vcc
	v_add_u32_e32 v16, 21, v7
	v_lshlrev_b64 v[33:34], v16, -1
	v_add_u32_e32 v16, 20, v7
	v_bfi_b32 v33, v33, 0, v31
	v_lshlrev_b64 v[48:49], v16, 1
	v_lshrrev_b64 v[31:32], v7, v[31:32]
	v_bfi_b32 v34, v34, 0, 0
	v_cmp_eq_u64_e64 s[28:29], v[33:34], v[48:49]
	v_mov_b32_e32 v33, v32
	v_mov_b32_e32 v32, v31
	s_and_saveexec_b64 s[48:49], s[28:29]
; %bb.15647:                            ;   in Loop: Header=BB4_15069 Depth=3
	v_bfe_u32 v16, v31, 21, 1
	v_add_co_u32_e64 v16, s[28:29], v31, v16
	v_add_co_u32_e64 v32, s[28:29], -1, v16
; %bb.15648:                            ;   in Loop: Header=BB4_15069 Depth=3
	s_or_b64 exec, exec, s[48:49]
	v_add_u32_e32 v5, 0xffffff81, v5
	v_mov_b32_e32 v16, 0xffffff82
	v_cndmask_b32_e32 v5, v5, v16, vcc
	v_lshrrev_b32_e32 v16, 23, v31
	v_add3_u32 v16, v7, v5, v16
	v_add_u32_e32 v7, 14, v16
	v_and_b32_e32 v5, 0x1fffff, v32
	v_add_u32_e32 v31, v5, v31
	v_mov_b32_e32 v32, v17
	v_cmp_ne_u32_e32 vcc, 0, v7
                                        ; implicit-def: $vgpr5
	s_and_saveexec_b64 s[28:29], vcc
	s_xor_b64 s[28:29], exec, s[28:29]
; %bb.15649:                            ;   in Loop: Header=BB4_15069 Depth=3
	v_cmp_lt_u64_e32 vcc, s[88:89], v[31:32]
	v_add_u32_e32 v5, 15, v16
	v_cndmask_b32_e32 v5, v7, v5, vcc
	v_cndmask_b32_e64 v7, 0, 1, vcc
	v_lshrrev_b64 v[31:32], v7, v[31:32]
; %bb.15650:                            ;   in Loop: Header=BB4_15069 Depth=3
	s_andn2_saveexec_b64 s[28:29], s[28:29]
; %bb.15651:                            ;   in Loop: Header=BB4_15069 Depth=3
	v_bfe_u32 v5, v31, 23, 1
; %bb.15652:                            ;   in Loop: Header=BB4_15069 Depth=3
	s_or_b64 exec, exec, s[28:29]
	v_lshrrev_b64 v[31:32], 21, v[31:32]
	v_cmp_gt_i32_e32 vcc, 32, v5
	v_cndmask_b32_e32 v32, 0, v32, vcc
	v_cndmask_b32_e32 v31, 3, v31, vcc
	v_cmp_ne_u64_e32 vcc, 0, v[31:32]
	v_cmp_ne_u32_e64 s[28:29], 0, v5
	s_or_b64 s[28:29], s[28:29], vcc
                                        ; implicit-def: $vgpr33
	s_and_saveexec_b64 vcc, s[28:29]
	s_xor_b64 s[28:29], exec, vcc
; %bb.15653:                            ;   in Loop: Header=BB4_15069 Depth=3
	v_min_i32_e32 v5, 31, v5
	v_lshl_or_b32 v3, v5, 2, v3
	v_and_or_b32 v33, v31, 3, v3
                                        ; implicit-def: $vgpr3
; %bb.15654:                            ;   in Loop: Header=BB4_15069 Depth=3
	s_andn2_saveexec_b64 s[28:29], s[28:29]
; %bb.15655:                            ;   in Loop: Header=BB4_15069 Depth=3
	v_mov_b32_e32 v33, v3
; %bb.15656:                            ;   in Loop: Header=BB4_15069 Depth=3
	s_or_b64 exec, exec, s[28:29]
.LBB4_15657:                            ;   in Loop: Header=BB4_15069 Depth=3
	s_or_b64 exec, exec, s[38:39]
                                        ; implicit-def: $vgpr3
.LBB4_15658:                            ;   in Loop: Header=BB4_15069 Depth=3
	s_andn2_saveexec_b64 s[28:29], s[36:37]
; %bb.15659:                            ;   in Loop: Header=BB4_15069 Depth=3
	v_or_b32_e32 v33, 0x7b, v3
; %bb.15660:                            ;   in Loop: Header=BB4_15069 Depth=3
	s_or_b64 exec, exec, s[28:29]
                                        ; implicit-def: $vgpr5
                                        ; implicit-def: $vgpr31_vgpr32
.LBB4_15661:                            ;   in Loop: Header=BB4_15069 Depth=3
	s_andn2_saveexec_b64 s[28:29], s[34:35]
	s_cbranch_execz .LBB4_15667
; %bb.15662:                            ;   in Loop: Header=BB4_15069 Depth=3
	v_cmp_ne_u64_e32 vcc, 0, v[31:32]
                                        ; implicit-def: $vgpr33
	s_and_saveexec_b64 s[34:35], vcc
	s_xor_b64 vcc, exec, s[34:35]
; %bb.15663:                            ;   in Loop: Header=BB4_15069 Depth=3
	v_or_b32_sdwa v33, v5, s47 dst_sel:DWORD dst_unused:UNUSED_PAD src0_sel:BYTE_3 src1_sel:DWORD
                                        ; implicit-def: $vgpr5
; %bb.15664:                            ;   in Loop: Header=BB4_15069 Depth=3
	s_andn2_saveexec_b64 s[34:35], vcc
; %bb.15665:                            ;   in Loop: Header=BB4_15069 Depth=3
	v_cmp_lt_i32_e32 vcc, -1, v5
	v_cndmask_b32_e32 v33, -4, v52, vcc
; %bb.15666:                            ;   in Loop: Header=BB4_15069 Depth=3
	s_or_b64 exec, exec, s[34:35]
.LBB4_15667:                            ;   in Loop: Header=BB4_15069 Depth=3
	s_or_b64 exec, exec, s[28:29]
	v_and_b32_e32 v16, 0xff, v2
	v_cmp_ne_u16_e32 vcc, 0, v16
	v_mov_b32_e32 v5, 0
	v_mov_b32_e32 v3, 0
	s_and_saveexec_b64 s[28:29], vcc
	s_cbranch_execz .LBB4_15675
; %bb.15668:                            ;   in Loop: Header=BB4_15069 Depth=3
	v_cmp_ne_u16_e32 vcc, s96, v16
	v_bfrev_b32_e32 v3, 1
	s_and_saveexec_b64 s[34:35], vcc
	s_cbranch_execz .LBB4_15674
; %bb.15669:                            ;   in Loop: Header=BB4_15069 Depth=3
	v_and_b32_e32 v3, 0x7c, v2
	v_and_b32_e32 v7, 3, v2
	v_cmp_ne_u32_e32 vcc, s85, v3
                                        ; implicit-def: $vgpr3
	s_and_saveexec_b64 s[36:37], vcc
	s_xor_b64 s[36:37], exec, s[36:37]
	s_cbranch_execz .LBB4_15671
; %bb.15670:                            ;   in Loop: Header=BB4_15069 Depth=3
	v_ffbh_u32_e32 v21, v7
	v_min_u32_e32 v21, 32, v21
	v_mov_b32_e32 v3, v17
	v_subrev_u32_e32 v25, 29, v21
	v_bfe_u32 v16, v16, 2, 5
	v_lshlrev_b64 v[31:32], v25, v[2:3]
	v_sub_u32_e32 v3, 30, v21
	v_cmp_eq_u32_e32 vcc, 0, v16
	v_lshlrev_b32_e32 v2, 24, v2
	v_and_b32_e32 v21, 3, v31
	v_cndmask_b32_e32 v3, v16, v3, vcc
	v_and_b32_e32 v2, 0x80000000, v2
	v_cndmask_b32_e32 v7, v7, v21, vcc
	v_lshl_add_u32 v2, v3, 23, v2
	v_lshl_or_b32 v2, v7, 21, v2
	v_add_u32_e32 v3, 0x38000000, v2
                                        ; implicit-def: $vgpr7
                                        ; implicit-def: $vgpr2
.LBB4_15671:                            ;   in Loop: Header=BB4_15069 Depth=3
	s_andn2_saveexec_b64 s[36:37], s[36:37]
; %bb.15672:                            ;   in Loop: Header=BB4_15069 Depth=3
	v_mov_b32_e32 v3, -1
	v_cmp_gt_i16_sdwa vcc, sext(v2), v3 src0_sel:BYTE_0 src1_sel:DWORD
	v_mov_b32_e32 v2, 0xff800000
	v_mov_b32_e32 v3, 0x7f800000
	v_cndmask_b32_e32 v2, v2, v3, vcc
	v_cmp_eq_u32_e32 vcc, 0, v7
	v_mov_b32_e32 v3, 0x7f800001
	v_cndmask_b32_e32 v3, v3, v2, vcc
; %bb.15673:                            ;   in Loop: Header=BB4_15069 Depth=3
	s_or_b64 exec, exec, s[36:37]
.LBB4_15674:                            ;   in Loop: Header=BB4_15069 Depth=3
	s_or_b64 exec, exec, s[34:35]
.LBB4_15675:                            ;   in Loop: Header=BB4_15069 Depth=3
	s_or_b64 exec, exec, s[28:29]
	v_cmp_ne_u16_e32 vcc, 0, v59
	s_and_saveexec_b64 s[28:29], vcc
	s_cbranch_execz .LBB4_15683
; %bb.15676:                            ;   in Loop: Header=BB4_15069 Depth=3
	v_cmp_ne_u16_e32 vcc, s97, v59
	v_bfrev_b32_e32 v5, 1
	s_and_saveexec_b64 s[34:35], vcc
	s_cbranch_execz .LBB4_15682
; %bb.15677:                            ;   in Loop: Header=BB4_15069 Depth=3
	v_and_b32_e32 v5, 0x7c, v59
	v_and_b32_e32 v2, 3, v59
	v_cmp_ne_u32_e32 vcc, s85, v5
                                        ; implicit-def: $vgpr5
	s_and_saveexec_b64 s[36:37], vcc
	s_xor_b64 s[36:37], exec, s[36:37]
	s_cbranch_execz .LBB4_15679
; %bb.15678:                            ;   in Loop: Header=BB4_15069 Depth=3
	v_ffbh_u32_e32 v7, v2
	v_min_u32_e32 v7, 32, v7
	v_and_b32_e32 v5, 0xff, v59
	v_mov_b32_e32 v60, v17
	v_subrev_u32_e32 v16, 29, v7
	v_bfe_u32 v5, v5, 2, 5
	v_lshlrev_b64 v[31:32], v16, v[59:60]
	v_sub_u32_e32 v7, 30, v7
	v_cmp_eq_u32_e32 vcc, 0, v5
	v_and_b32_e32 v16, 3, v31
	v_cndmask_b32_e32 v5, v5, v7, vcc
	v_and_b32_sdwa v7, sext(v59), s86 dst_sel:DWORD dst_unused:UNUSED_PAD src0_sel:WORD_0 src1_sel:DWORD
	v_cndmask_b32_e32 v2, v2, v16, vcc
	v_lshl_add_u32 v5, v5, 23, v7
	v_lshl_or_b32 v2, v2, 21, v5
	v_add_u32_e32 v5, 0x38000000, v2
                                        ; implicit-def: $vgpr2
                                        ; implicit-def: $vgpr59
.LBB4_15679:                            ;   in Loop: Header=BB4_15069 Depth=3
	s_andn2_saveexec_b64 s[36:37], s[36:37]
; %bb.15680:                            ;   in Loop: Header=BB4_15069 Depth=3
	v_cmp_lt_i16_e32 vcc, -1, v59
	v_mov_b32_e32 v5, 0xff800000
	v_mov_b32_e32 v7, 0x7f800000
	v_cndmask_b32_e32 v5, v5, v7, vcc
	v_cmp_eq_u32_e32 vcc, 0, v2
	v_mov_b32_e32 v2, 0x7f800001
	v_cndmask_b32_e32 v5, v2, v5, vcc
; %bb.15681:                            ;   in Loop: Header=BB4_15069 Depth=3
	s_or_b64 exec, exec, s[36:37]
.LBB4_15682:                            ;   in Loop: Header=BB4_15069 Depth=3
	s_or_b64 exec, exec, s[34:35]
.LBB4_15683:                            ;   in Loop: Header=BB4_15069 Depth=3
	s_or_b64 exec, exec, s[28:29]
	v_add_f32_e32 v7, v3, v5
	v_and_b32_e32 v31, 0x7f800000, v7
	v_mov_b32_e32 v32, v17
	v_cmp_ne_u64_e32 vcc, s[76:77], v[31:32]
	v_and_b32_e32 v2, 0x7fffff, v7
	v_mov_b32_e32 v3, v17
                                        ; implicit-def: $vgpr32
	s_and_saveexec_b64 s[28:29], vcc
	s_xor_b64 s[34:35], exec, s[28:29]
	s_cbranch_execz .LBB4_15701
; %bb.15684:                            ;   in Loop: Header=BB4_15069 Depth=3
	v_and_b32_e32 v31, 0x7fffffff, v7
	v_mov_b32_e32 v32, v17
	v_cmp_gt_u64_e32 vcc, s[78:79], v[31:32]
	v_and_b32_sdwa v5, v7, s96 dst_sel:DWORD dst_unused:UNUSED_PAD src0_sel:BYTE_3 src1_sel:DWORD
                                        ; implicit-def: $vgpr32
	s_and_saveexec_b64 s[28:29], vcc
	s_xor_b64 s[36:37], exec, s[28:29]
	s_cbranch_execz .LBB4_15698
; %bb.15685:                            ;   in Loop: Header=BB4_15069 Depth=3
	v_cmp_ne_u32_e32 vcc, 0, v7
	v_mov_b32_e32 v32, 0
	s_and_saveexec_b64 s[38:39], vcc
	s_cbranch_execz .LBB4_15697
; %bb.15686:                            ;   in Loop: Header=BB4_15069 Depth=3
	v_bfe_u32 v7, v7, 23, 8
	v_cmp_gt_u32_e64 s[28:29], s46, v7
	v_sub_u32_e32 v16, 0x71, v7
	v_cmp_eq_u32_e32 vcc, 0, v7
	v_cndmask_b32_e64 v16, 0, v16, s[28:29]
	v_mov_b32_e32 v25, 0x70
	v_or_b32_e32 v21, 0x800000, v2
	v_cndmask_b32_e32 v16, v16, v25, vcc
	v_cndmask_b32_e32 v2, v21, v2, vcc
	v_add_u32_e32 v21, 21, v16
	v_lshlrev_b64 v[31:32], v21, -1
	v_add_u32_e32 v21, 20, v16
	v_bfi_b32 v31, v31, 0, v2
	v_lshlrev_b64 v[34:35], v21, 1
	v_lshrrev_b64 v[2:3], v16, v[2:3]
	v_bfi_b32 v32, v32, 0, 0
	v_cmp_eq_u64_e64 s[28:29], v[31:32], v[34:35]
	v_mov_b32_e32 v32, v3
	v_mov_b32_e32 v31, v2
	s_and_saveexec_b64 s[48:49], s[28:29]
; %bb.15687:                            ;   in Loop: Header=BB4_15069 Depth=3
	v_bfe_u32 v3, v2, 21, 1
	v_add_co_u32_e64 v3, s[28:29], v2, v3
	v_add_co_u32_e64 v31, s[28:29], -1, v3
; %bb.15688:                            ;   in Loop: Header=BB4_15069 Depth=3
	s_or_b64 exec, exec, s[48:49]
	v_add_u32_e32 v3, 0xffffff81, v7
	v_mov_b32_e32 v7, 0xffffff82
	v_cndmask_b32_e32 v3, v3, v7, vcc
	v_lshrrev_b32_e32 v7, 23, v2
	v_add3_u32 v21, v16, v3, v7
	v_add_u32_e32 v16, 14, v21
	v_and_b32_e32 v3, 0x1fffff, v31
	v_add_u32_e32 v2, v3, v2
	v_mov_b32_e32 v3, v17
	v_cmp_ne_u32_e32 vcc, 0, v16
                                        ; implicit-def: $vgpr7
	s_and_saveexec_b64 s[28:29], vcc
	s_xor_b64 s[28:29], exec, s[28:29]
; %bb.15689:                            ;   in Loop: Header=BB4_15069 Depth=3
	v_cmp_lt_u64_e32 vcc, s[88:89], v[2:3]
	v_add_u32_e32 v7, 15, v21
	v_cndmask_b32_e32 v7, v16, v7, vcc
	v_cndmask_b32_e64 v16, 0, 1, vcc
	v_lshrrev_b64 v[2:3], v16, v[2:3]
; %bb.15690:                            ;   in Loop: Header=BB4_15069 Depth=3
	s_andn2_saveexec_b64 s[28:29], s[28:29]
; %bb.15691:                            ;   in Loop: Header=BB4_15069 Depth=3
	v_bfe_u32 v7, v2, 23, 1
; %bb.15692:                            ;   in Loop: Header=BB4_15069 Depth=3
	s_or_b64 exec, exec, s[28:29]
	v_lshrrev_b64 v[2:3], 21, v[2:3]
	v_cmp_gt_i32_e32 vcc, 32, v7
	v_cndmask_b32_e32 v3, 0, v3, vcc
	v_cndmask_b32_e32 v2, 3, v2, vcc
	v_cmp_ne_u64_e32 vcc, 0, v[2:3]
	v_cmp_ne_u32_e64 s[28:29], 0, v7
	s_or_b64 s[28:29], s[28:29], vcc
                                        ; implicit-def: $vgpr32
	s_and_saveexec_b64 vcc, s[28:29]
	s_xor_b64 s[28:29], exec, vcc
; %bb.15693:                            ;   in Loop: Header=BB4_15069 Depth=3
	v_min_i32_e32 v3, 31, v7
	v_lshl_or_b32 v3, v3, 2, v5
	v_and_or_b32 v32, v2, 3, v3
                                        ; implicit-def: $vgpr5
; %bb.15694:                            ;   in Loop: Header=BB4_15069 Depth=3
	s_andn2_saveexec_b64 s[28:29], s[28:29]
; %bb.15695:                            ;   in Loop: Header=BB4_15069 Depth=3
	v_mov_b32_e32 v32, v5
; %bb.15696:                            ;   in Loop: Header=BB4_15069 Depth=3
	s_or_b64 exec, exec, s[28:29]
.LBB4_15697:                            ;   in Loop: Header=BB4_15069 Depth=3
	s_or_b64 exec, exec, s[38:39]
                                        ; implicit-def: $vgpr5
.LBB4_15698:                            ;   in Loop: Header=BB4_15069 Depth=3
	s_andn2_saveexec_b64 s[28:29], s[36:37]
; %bb.15699:                            ;   in Loop: Header=BB4_15069 Depth=3
	v_or_b32_e32 v32, 0x7b, v5
; %bb.15700:                            ;   in Loop: Header=BB4_15069 Depth=3
	s_or_b64 exec, exec, s[28:29]
                                        ; implicit-def: $vgpr7
                                        ; implicit-def: $vgpr2_vgpr3
.LBB4_15701:                            ;   in Loop: Header=BB4_15069 Depth=3
	s_andn2_saveexec_b64 s[28:29], s[34:35]
	s_cbranch_execz .LBB4_15707
; %bb.15702:                            ;   in Loop: Header=BB4_15069 Depth=3
	v_cmp_ne_u64_e32 vcc, 0, v[2:3]
                                        ; implicit-def: $vgpr32
	s_and_saveexec_b64 s[34:35], vcc
	s_xor_b64 vcc, exec, s[34:35]
; %bb.15703:                            ;   in Loop: Header=BB4_15069 Depth=3
	v_or_b32_sdwa v32, v7, s47 dst_sel:DWORD dst_unused:UNUSED_PAD src0_sel:BYTE_3 src1_sel:DWORD
                                        ; implicit-def: $vgpr7
; %bb.15704:                            ;   in Loop: Header=BB4_15069 Depth=3
	s_andn2_saveexec_b64 s[34:35], vcc
; %bb.15705:                            ;   in Loop: Header=BB4_15069 Depth=3
	v_cmp_lt_i32_e32 vcc, -1, v7
	v_cndmask_b32_e32 v32, -4, v52, vcc
; %bb.15706:                            ;   in Loop: Header=BB4_15069 Depth=3
	s_or_b64 exec, exec, s[34:35]
.LBB4_15707:                            ;   in Loop: Header=BB4_15069 Depth=3
	s_or_b64 exec, exec, s[28:29]
	v_and_b32_e32 v16, 0xff, v4
	v_cmp_ne_u16_e32 vcc, 0, v16
	v_mov_b32_e32 v2, 0
	v_mov_b32_e32 v3, 0
	s_and_saveexec_b64 s[28:29], vcc
	s_cbranch_execz .LBB4_15715
; %bb.15708:                            ;   in Loop: Header=BB4_15069 Depth=3
	v_cmp_ne_u16_e32 vcc, s96, v16
	v_bfrev_b32_e32 v3, 1
	s_and_saveexec_b64 s[34:35], vcc
	s_cbranch_execz .LBB4_15714
; %bb.15709:                            ;   in Loop: Header=BB4_15069 Depth=3
	v_and_b32_e32 v3, 0x7c, v4
	v_and_b32_e32 v7, 3, v4
	v_cmp_ne_u32_e32 vcc, s85, v3
                                        ; implicit-def: $vgpr3
	s_and_saveexec_b64 s[36:37], vcc
	s_xor_b64 s[36:37], exec, s[36:37]
	s_cbranch_execz .LBB4_15711
; %bb.15710:                            ;   in Loop: Header=BB4_15069 Depth=3
	v_bfe_u32 v3, v16, 2, 5
	v_ffbh_u32_e32 v16, v7
	v_min_u32_e32 v16, 32, v16
	v_mov_b32_e32 v5, v17
	v_subrev_u32_e32 v21, 29, v16
	v_lshlrev_b64 v[34:35], v21, v[4:5]
	v_sub_u32_e32 v5, 30, v16
	v_cmp_eq_u32_e32 vcc, 0, v3
	v_lshlrev_b32_e32 v4, 24, v4
	v_and_b32_e32 v16, 3, v34
	v_cndmask_b32_e32 v3, v3, v5, vcc
	v_and_b32_e32 v4, 0x80000000, v4
	v_cndmask_b32_e32 v5, v7, v16, vcc
	v_lshl_add_u32 v3, v3, 23, v4
	v_lshl_or_b32 v3, v5, 21, v3
	v_add_u32_e32 v3, 0x38000000, v3
                                        ; implicit-def: $vgpr7
                                        ; implicit-def: $vgpr4
.LBB4_15711:                            ;   in Loop: Header=BB4_15069 Depth=3
	s_andn2_saveexec_b64 s[36:37], s[36:37]
; %bb.15712:                            ;   in Loop: Header=BB4_15069 Depth=3
	v_mov_b32_e32 v3, -1
	v_cmp_gt_i16_sdwa vcc, sext(v4), v3 src0_sel:BYTE_0 src1_sel:DWORD
	v_mov_b32_e32 v3, 0xff800000
	v_mov_b32_e32 v4, 0x7f800000
	v_cndmask_b32_e32 v3, v3, v4, vcc
	v_cmp_eq_u32_e32 vcc, 0, v7
	v_mov_b32_e32 v4, 0x7f800001
	v_cndmask_b32_e32 v3, v4, v3, vcc
; %bb.15713:                            ;   in Loop: Header=BB4_15069 Depth=3
	s_or_b64 exec, exec, s[36:37]
.LBB4_15714:                            ;   in Loop: Header=BB4_15069 Depth=3
	s_or_b64 exec, exec, s[34:35]
.LBB4_15715:                            ;   in Loop: Header=BB4_15069 Depth=3
	s_or_b64 exec, exec, s[28:29]
	v_cmp_ne_u16_e32 vcc, 0, v58
	s_and_saveexec_b64 s[28:29], vcc
	s_cbranch_execz .LBB4_15723
; %bb.15716:                            ;   in Loop: Header=BB4_15069 Depth=3
	v_cmp_ne_u16_e32 vcc, s97, v58
	v_bfrev_b32_e32 v2, 1
	s_and_saveexec_b64 s[34:35], vcc
	s_cbranch_execz .LBB4_15722
; %bb.15717:                            ;   in Loop: Header=BB4_15069 Depth=3
	v_and_b32_e32 v2, 0x7c, v58
	v_and_b32_e32 v4, 3, v58
	v_cmp_ne_u32_e32 vcc, s85, v2
                                        ; implicit-def: $vgpr2
	s_and_saveexec_b64 s[36:37], vcc
	s_xor_b64 s[36:37], exec, s[36:37]
	s_cbranch_execz .LBB4_15719
; %bb.15718:                            ;   in Loop: Header=BB4_15069 Depth=3
	v_ffbh_u32_e32 v5, v4
	v_min_u32_e32 v5, 32, v5
	v_and_b32_e32 v2, 0xff, v58
	v_mov_b32_e32 v59, v17
	v_subrev_u32_e32 v7, 29, v5
	v_bfe_u32 v2, v2, 2, 5
	v_lshlrev_b64 v[34:35], v7, v[58:59]
	v_sub_u32_e32 v5, 30, v5
	v_cmp_eq_u32_e32 vcc, 0, v2
	v_and_b32_e32 v7, 3, v34
	v_cndmask_b32_e32 v2, v2, v5, vcc
	v_and_b32_sdwa v5, sext(v58), s86 dst_sel:DWORD dst_unused:UNUSED_PAD src0_sel:WORD_0 src1_sel:DWORD
	v_cndmask_b32_e32 v4, v4, v7, vcc
	v_lshl_add_u32 v2, v2, 23, v5
	v_lshl_or_b32 v2, v4, 21, v2
	v_add_u32_e32 v2, 0x38000000, v2
                                        ; implicit-def: $vgpr4
                                        ; implicit-def: $vgpr58
.LBB4_15719:                            ;   in Loop: Header=BB4_15069 Depth=3
	s_andn2_saveexec_b64 s[36:37], s[36:37]
; %bb.15720:                            ;   in Loop: Header=BB4_15069 Depth=3
	v_cmp_lt_i16_e32 vcc, -1, v58
	v_mov_b32_e32 v2, 0xff800000
	v_mov_b32_e32 v5, 0x7f800000
	v_cndmask_b32_e32 v2, v2, v5, vcc
	v_cmp_eq_u32_e32 vcc, 0, v4
	v_mov_b32_e32 v4, 0x7f800001
	v_cndmask_b32_e32 v2, v4, v2, vcc
; %bb.15721:                            ;   in Loop: Header=BB4_15069 Depth=3
	s_or_b64 exec, exec, s[36:37]
.LBB4_15722:                            ;   in Loop: Header=BB4_15069 Depth=3
	s_or_b64 exec, exec, s[34:35]
.LBB4_15723:                            ;   in Loop: Header=BB4_15069 Depth=3
	s_or_b64 exec, exec, s[28:29]
	v_add_f32_e32 v4, v3, v2
	v_and_b32_e32 v34, 0x7f800000, v4
	v_mov_b32_e32 v35, v17
	v_cmp_ne_u64_e32 vcc, s[76:77], v[34:35]
	v_and_b32_e32 v2, 0x7fffff, v4
	v_mov_b32_e32 v3, v17
                                        ; implicit-def: $vgpr5
	s_and_saveexec_b64 s[28:29], vcc
	s_xor_b64 s[34:35], exec, s[28:29]
	s_cbranch_execz .LBB4_15741
; %bb.15724:                            ;   in Loop: Header=BB4_15069 Depth=3
	v_and_b32_e32 v34, 0x7fffffff, v4
	v_mov_b32_e32 v35, v17
	v_cmp_gt_u64_e32 vcc, s[78:79], v[34:35]
	v_and_b32_sdwa v7, v4, s96 dst_sel:DWORD dst_unused:UNUSED_PAD src0_sel:BYTE_3 src1_sel:DWORD
                                        ; implicit-def: $vgpr5
	s_and_saveexec_b64 s[28:29], vcc
	s_xor_b64 s[36:37], exec, s[28:29]
	s_cbranch_execz .LBB4_15738
; %bb.15725:                            ;   in Loop: Header=BB4_15069 Depth=3
	v_cmp_ne_u32_e32 vcc, 0, v4
	v_mov_b32_e32 v5, 0
	s_and_saveexec_b64 s[38:39], vcc
	s_cbranch_execz .LBB4_15737
; %bb.15726:                            ;   in Loop: Header=BB4_15069 Depth=3
	v_bfe_u32 v5, v4, 23, 8
	v_cmp_gt_u32_e64 s[28:29], s46, v5
	v_sub_u32_e32 v4, 0x71, v5
	v_cmp_eq_u32_e32 vcc, 0, v5
	v_cndmask_b32_e64 v4, 0, v4, s[28:29]
	v_mov_b32_e32 v16, 0x70
	v_cndmask_b32_e32 v16, v4, v16, vcc
	v_add_u32_e32 v4, 21, v16
	v_or_b32_e32 v21, 0x800000, v2
	v_lshlrev_b64 v[34:35], v4, -1
	v_cndmask_b32_e32 v2, v21, v2, vcc
	v_add_u32_e32 v4, 20, v16
	v_bfi_b32 v34, v34, 0, v2
	v_lshlrev_b64 v[48:49], v4, 1
	v_lshrrev_b64 v[2:3], v16, v[2:3]
	v_bfi_b32 v35, v35, 0, 0
	v_cmp_eq_u64_e64 s[28:29], v[34:35], v[48:49]
	v_mov_b32_e32 v4, v3
	v_mov_b32_e32 v3, v2
	s_and_saveexec_b64 s[48:49], s[28:29]
; %bb.15727:                            ;   in Loop: Header=BB4_15069 Depth=3
	v_bfe_u32 v3, v2, 21, 1
	v_add_co_u32_e64 v3, s[28:29], v2, v3
	v_add_co_u32_e64 v3, s[28:29], -1, v3
; %bb.15728:                            ;   in Loop: Header=BB4_15069 Depth=3
	s_or_b64 exec, exec, s[48:49]
	v_add_u32_e32 v4, 0xffffff81, v5
	v_mov_b32_e32 v5, 0xffffff82
	v_cndmask_b32_e32 v4, v4, v5, vcc
	v_lshrrev_b32_e32 v5, 23, v2
	v_add3_u32 v16, v16, v4, v5
	v_add_u32_e32 v5, 14, v16
	v_and_b32_e32 v3, 0x1fffff, v3
	v_add_u32_e32 v2, v3, v2
	v_mov_b32_e32 v3, v17
	v_cmp_ne_u32_e32 vcc, 0, v5
                                        ; implicit-def: $vgpr4
	s_and_saveexec_b64 s[28:29], vcc
	s_xor_b64 s[28:29], exec, s[28:29]
; %bb.15729:                            ;   in Loop: Header=BB4_15069 Depth=3
	v_cmp_lt_u64_e32 vcc, s[88:89], v[2:3]
	v_add_u32_e32 v4, 15, v16
	v_cndmask_b32_e32 v4, v5, v4, vcc
	v_cndmask_b32_e64 v5, 0, 1, vcc
	v_lshrrev_b64 v[2:3], v5, v[2:3]
; %bb.15730:                            ;   in Loop: Header=BB4_15069 Depth=3
	s_andn2_saveexec_b64 s[28:29], s[28:29]
; %bb.15731:                            ;   in Loop: Header=BB4_15069 Depth=3
	v_bfe_u32 v4, v2, 23, 1
; %bb.15732:                            ;   in Loop: Header=BB4_15069 Depth=3
	s_or_b64 exec, exec, s[28:29]
	v_lshrrev_b64 v[2:3], 21, v[2:3]
	v_cmp_gt_i32_e32 vcc, 32, v4
	v_cndmask_b32_e32 v3, 0, v3, vcc
	v_cndmask_b32_e32 v2, 3, v2, vcc
	v_cmp_ne_u64_e32 vcc, 0, v[2:3]
	v_cmp_ne_u32_e64 s[28:29], 0, v4
	s_or_b64 s[28:29], s[28:29], vcc
                                        ; implicit-def: $vgpr5
	s_and_saveexec_b64 vcc, s[28:29]
	s_xor_b64 s[28:29], exec, vcc
; %bb.15733:                            ;   in Loop: Header=BB4_15069 Depth=3
	v_min_i32_e32 v3, 31, v4
	v_lshl_or_b32 v3, v3, 2, v7
	v_and_or_b32 v5, v2, 3, v3
                                        ; implicit-def: $vgpr7
; %bb.15734:                            ;   in Loop: Header=BB4_15069 Depth=3
	s_andn2_saveexec_b64 s[28:29], s[28:29]
; %bb.15735:                            ;   in Loop: Header=BB4_15069 Depth=3
	v_mov_b32_e32 v5, v7
; %bb.15736:                            ;   in Loop: Header=BB4_15069 Depth=3
	s_or_b64 exec, exec, s[28:29]
.LBB4_15737:                            ;   in Loop: Header=BB4_15069 Depth=3
	s_or_b64 exec, exec, s[38:39]
                                        ; implicit-def: $vgpr7
.LBB4_15738:                            ;   in Loop: Header=BB4_15069 Depth=3
	s_andn2_saveexec_b64 s[28:29], s[36:37]
; %bb.15739:                            ;   in Loop: Header=BB4_15069 Depth=3
	v_or_b32_e32 v5, 0x7b, v7
; %bb.15740:                            ;   in Loop: Header=BB4_15069 Depth=3
	s_or_b64 exec, exec, s[28:29]
                                        ; implicit-def: $vgpr4
                                        ; implicit-def: $vgpr2_vgpr3
.LBB4_15741:                            ;   in Loop: Header=BB4_15069 Depth=3
	s_andn2_saveexec_b64 s[28:29], s[34:35]
	s_cbranch_execz .LBB4_15747
; %bb.15742:                            ;   in Loop: Header=BB4_15069 Depth=3
	v_cmp_ne_u64_e32 vcc, 0, v[2:3]
                                        ; implicit-def: $vgpr5
	s_and_saveexec_b64 s[34:35], vcc
	s_xor_b64 vcc, exec, s[34:35]
; %bb.15743:                            ;   in Loop: Header=BB4_15069 Depth=3
	v_or_b32_sdwa v5, v4, s47 dst_sel:DWORD dst_unused:UNUSED_PAD src0_sel:BYTE_3 src1_sel:DWORD
                                        ; implicit-def: $vgpr4
; %bb.15744:                            ;   in Loop: Header=BB4_15069 Depth=3
	s_andn2_saveexec_b64 s[34:35], vcc
; %bb.15745:                            ;   in Loop: Header=BB4_15069 Depth=3
	v_cmp_lt_i32_e32 vcc, -1, v4
	v_cndmask_b32_e32 v5, -4, v52, vcc
; %bb.15746:                            ;   in Loop: Header=BB4_15069 Depth=3
	s_or_b64 exec, exec, s[34:35]
.LBB4_15747:                            ;   in Loop: Header=BB4_15069 Depth=3
	s_or_b64 exec, exec, s[28:29]
	v_and_b32_e32 v7, 0xff, v15
	v_cmp_ne_u16_e32 vcc, 0, v7
	v_mov_b32_e32 v2, 0
	v_mov_b32_e32 v3, 0
	s_and_saveexec_b64 s[28:29], vcc
	s_cbranch_execz .LBB4_15755
; %bb.15748:                            ;   in Loop: Header=BB4_15069 Depth=3
	v_cmp_ne_u16_e32 vcc, s96, v7
	v_bfrev_b32_e32 v3, 1
	s_and_saveexec_b64 s[34:35], vcc
	s_cbranch_execz .LBB4_15754
; %bb.15749:                            ;   in Loop: Header=BB4_15069 Depth=3
	v_and_b32_e32 v3, 0x7c, v15
	v_and_b32_e32 v4, 3, v15
	v_cmp_ne_u32_e32 vcc, s85, v3
                                        ; implicit-def: $vgpr3
	s_and_saveexec_b64 s[36:37], vcc
	s_xor_b64 s[36:37], exec, s[36:37]
	s_cbranch_execz .LBB4_15751
; %bb.15750:                            ;   in Loop: Header=BB4_15069 Depth=3
	v_bfe_u32 v3, v7, 2, 5
	v_ffbh_u32_e32 v7, v4
	v_min_u32_e32 v7, 32, v7
	v_mov_b32_e32 v16, v17
	v_subrev_u32_e32 v21, 29, v7
	v_lshlrev_b64 v[34:35], v21, v[15:16]
	v_sub_u32_e32 v7, 30, v7
	v_cmp_eq_u32_e32 vcc, 0, v3
	v_cndmask_b32_e32 v3, v3, v7, vcc
	v_lshlrev_b32_e32 v7, 24, v15
	v_and_b32_e32 v16, 3, v34
	v_and_b32_e32 v7, 0x80000000, v7
	v_cndmask_b32_e32 v4, v4, v16, vcc
	v_lshl_add_u32 v3, v3, 23, v7
	v_lshl_or_b32 v3, v4, 21, v3
	v_add_u32_e32 v3, 0x38000000, v3
                                        ; implicit-def: $vgpr4
                                        ; implicit-def: $vgpr15
.LBB4_15751:                            ;   in Loop: Header=BB4_15069 Depth=3
	s_andn2_saveexec_b64 s[36:37], s[36:37]
; %bb.15752:                            ;   in Loop: Header=BB4_15069 Depth=3
	v_mov_b32_e32 v3, -1
	v_cmp_gt_i16_sdwa vcc, sext(v15), v3 src0_sel:BYTE_0 src1_sel:DWORD
	v_mov_b32_e32 v3, 0xff800000
	v_mov_b32_e32 v7, 0x7f800000
	v_cndmask_b32_e32 v3, v3, v7, vcc
	v_cmp_eq_u32_e32 vcc, 0, v4
	v_mov_b32_e32 v4, 0x7f800001
	v_cndmask_b32_e32 v3, v4, v3, vcc
; %bb.15753:                            ;   in Loop: Header=BB4_15069 Depth=3
	s_or_b64 exec, exec, s[36:37]
.LBB4_15754:                            ;   in Loop: Header=BB4_15069 Depth=3
	s_or_b64 exec, exec, s[34:35]
.LBB4_15755:                            ;   in Loop: Header=BB4_15069 Depth=3
	s_or_b64 exec, exec, s[28:29]
	v_cmp_ne_u16_e32 vcc, 0, v57
	s_and_saveexec_b64 s[28:29], vcc
	s_cbranch_execz .LBB4_15763
; %bb.15756:                            ;   in Loop: Header=BB4_15069 Depth=3
	v_cmp_ne_u16_e32 vcc, s97, v57
	v_bfrev_b32_e32 v2, 1
	s_and_saveexec_b64 s[34:35], vcc
	s_cbranch_execz .LBB4_15762
; %bb.15757:                            ;   in Loop: Header=BB4_15069 Depth=3
	v_and_b32_e32 v2, 0x7c, v57
	v_and_b32_e32 v4, 3, v57
	v_cmp_ne_u32_e32 vcc, s85, v2
                                        ; implicit-def: $vgpr2
	s_and_saveexec_b64 s[36:37], vcc
	s_xor_b64 s[36:37], exec, s[36:37]
	s_cbranch_execz .LBB4_15759
; %bb.15758:                            ;   in Loop: Header=BB4_15069 Depth=3
	v_ffbh_u32_e32 v7, v4
	v_min_u32_e32 v7, 32, v7
	v_and_b32_e32 v2, 0xff, v57
	v_mov_b32_e32 v58, v17
	v_subrev_u32_e32 v15, 29, v7
	v_bfe_u32 v2, v2, 2, 5
	v_lshlrev_b64 v[15:16], v15, v[57:58]
	v_sub_u32_e32 v7, 30, v7
	v_cmp_eq_u32_e32 vcc, 0, v2
	v_and_b32_e32 v15, 3, v15
	v_cndmask_b32_e32 v2, v2, v7, vcc
	v_and_b32_sdwa v7, sext(v57), s86 dst_sel:DWORD dst_unused:UNUSED_PAD src0_sel:WORD_0 src1_sel:DWORD
	v_cndmask_b32_e32 v4, v4, v15, vcc
	v_lshl_add_u32 v2, v2, 23, v7
	v_lshl_or_b32 v2, v4, 21, v2
	v_add_u32_e32 v2, 0x38000000, v2
                                        ; implicit-def: $vgpr4
                                        ; implicit-def: $vgpr57
.LBB4_15759:                            ;   in Loop: Header=BB4_15069 Depth=3
	s_andn2_saveexec_b64 s[36:37], s[36:37]
; %bb.15760:                            ;   in Loop: Header=BB4_15069 Depth=3
	v_cmp_lt_i16_e32 vcc, -1, v57
	v_mov_b32_e32 v2, 0xff800000
	v_mov_b32_e32 v7, 0x7f800000
	v_cndmask_b32_e32 v2, v2, v7, vcc
	v_cmp_eq_u32_e32 vcc, 0, v4
	v_mov_b32_e32 v4, 0x7f800001
	v_cndmask_b32_e32 v2, v4, v2, vcc
; %bb.15761:                            ;   in Loop: Header=BB4_15069 Depth=3
	s_or_b64 exec, exec, s[36:37]
.LBB4_15762:                            ;   in Loop: Header=BB4_15069 Depth=3
	s_or_b64 exec, exec, s[34:35]
.LBB4_15763:                            ;   in Loop: Header=BB4_15069 Depth=3
	s_or_b64 exec, exec, s[28:29]
	v_add_f32_e32 v4, v3, v2
	v_and_b32_e32 v15, 0x7f800000, v4
	v_mov_b32_e32 v16, v17
	v_cmp_ne_u64_e32 vcc, s[76:77], v[15:16]
	v_and_b32_e32 v2, 0x7fffff, v4
	v_mov_b32_e32 v3, v17
                                        ; implicit-def: $vgpr16
	s_and_saveexec_b64 s[28:29], vcc
	s_xor_b64 s[34:35], exec, s[28:29]
	s_cbranch_execz .LBB4_15781
; %bb.15764:                            ;   in Loop: Header=BB4_15069 Depth=3
	v_and_b32_e32 v15, 0x7fffffff, v4
	v_mov_b32_e32 v16, v17
	v_cmp_gt_u64_e32 vcc, s[78:79], v[15:16]
	v_and_b32_sdwa v7, v4, s96 dst_sel:DWORD dst_unused:UNUSED_PAD src0_sel:BYTE_3 src1_sel:DWORD
                                        ; implicit-def: $vgpr16
	s_and_saveexec_b64 s[28:29], vcc
	s_xor_b64 s[36:37], exec, s[28:29]
	s_cbranch_execz .LBB4_15778
; %bb.15765:                            ;   in Loop: Header=BB4_15069 Depth=3
	v_cmp_ne_u32_e32 vcc, 0, v4
	v_mov_b32_e32 v16, 0
	s_and_saveexec_b64 s[38:39], vcc
	s_cbranch_execz .LBB4_15777
; %bb.15766:                            ;   in Loop: Header=BB4_15069 Depth=3
	v_bfe_u32 v15, v4, 23, 8
	v_cmp_gt_u32_e64 s[28:29], s46, v15
	v_sub_u32_e32 v4, 0x71, v15
	v_cmp_eq_u32_e32 vcc, 0, v15
	v_cndmask_b32_e64 v4, 0, v4, s[28:29]
	v_mov_b32_e32 v16, 0x70
	v_cndmask_b32_e32 v16, v4, v16, vcc
	v_add_u32_e32 v4, 21, v16
	v_or_b32_e32 v21, 0x800000, v2
	v_lshlrev_b64 v[34:35], v4, -1
	v_cndmask_b32_e32 v2, v21, v2, vcc
	v_add_u32_e32 v4, 20, v16
	v_bfi_b32 v34, v34, 0, v2
	v_lshlrev_b64 v[48:49], v4, 1
	v_lshrrev_b64 v[2:3], v16, v[2:3]
	v_bfi_b32 v35, v35, 0, 0
	v_cmp_eq_u64_e64 s[28:29], v[34:35], v[48:49]
	v_mov_b32_e32 v4, v3
	v_mov_b32_e32 v3, v2
	s_and_saveexec_b64 s[48:49], s[28:29]
; %bb.15767:                            ;   in Loop: Header=BB4_15069 Depth=3
	v_bfe_u32 v3, v2, 21, 1
	v_add_co_u32_e64 v3, s[28:29], v2, v3
	v_add_co_u32_e64 v3, s[28:29], -1, v3
; %bb.15768:                            ;   in Loop: Header=BB4_15069 Depth=3
	s_or_b64 exec, exec, s[48:49]
	v_add_u32_e32 v4, 0xffffff81, v15
	v_mov_b32_e32 v15, 0xffffff82
	v_cndmask_b32_e32 v4, v4, v15, vcc
	v_lshrrev_b32_e32 v15, 23, v2
	v_add3_u32 v16, v16, v4, v15
	v_add_u32_e32 v15, 14, v16
	v_and_b32_e32 v3, 0x1fffff, v3
	v_add_u32_e32 v2, v3, v2
	v_mov_b32_e32 v3, v17
	v_cmp_ne_u32_e32 vcc, 0, v15
                                        ; implicit-def: $vgpr4
	s_and_saveexec_b64 s[28:29], vcc
	s_xor_b64 s[28:29], exec, s[28:29]
; %bb.15769:                            ;   in Loop: Header=BB4_15069 Depth=3
	v_cmp_lt_u64_e32 vcc, s[88:89], v[2:3]
	v_add_u32_e32 v4, 15, v16
	v_cndmask_b32_e32 v4, v15, v4, vcc
	v_cndmask_b32_e64 v15, 0, 1, vcc
	v_lshrrev_b64 v[2:3], v15, v[2:3]
; %bb.15770:                            ;   in Loop: Header=BB4_15069 Depth=3
	s_andn2_saveexec_b64 s[28:29], s[28:29]
; %bb.15771:                            ;   in Loop: Header=BB4_15069 Depth=3
	v_bfe_u32 v4, v2, 23, 1
; %bb.15772:                            ;   in Loop: Header=BB4_15069 Depth=3
	s_or_b64 exec, exec, s[28:29]
	v_lshrrev_b64 v[2:3], 21, v[2:3]
	v_cmp_gt_i32_e32 vcc, 32, v4
	v_cndmask_b32_e32 v3, 0, v3, vcc
	v_cndmask_b32_e32 v2, 3, v2, vcc
	v_cmp_ne_u64_e32 vcc, 0, v[2:3]
	v_cmp_ne_u32_e64 s[28:29], 0, v4
	s_or_b64 s[28:29], s[28:29], vcc
                                        ; implicit-def: $vgpr16
	s_and_saveexec_b64 vcc, s[28:29]
	s_xor_b64 s[28:29], exec, vcc
; %bb.15773:                            ;   in Loop: Header=BB4_15069 Depth=3
	v_min_i32_e32 v3, 31, v4
	v_lshl_or_b32 v3, v3, 2, v7
	v_and_or_b32 v16, v2, 3, v3
                                        ; implicit-def: $vgpr7
; %bb.15774:                            ;   in Loop: Header=BB4_15069 Depth=3
	s_andn2_saveexec_b64 s[28:29], s[28:29]
; %bb.15775:                            ;   in Loop: Header=BB4_15069 Depth=3
	v_mov_b32_e32 v16, v7
; %bb.15776:                            ;   in Loop: Header=BB4_15069 Depth=3
	s_or_b64 exec, exec, s[28:29]
.LBB4_15777:                            ;   in Loop: Header=BB4_15069 Depth=3
	s_or_b64 exec, exec, s[38:39]
                                        ; implicit-def: $vgpr7
.LBB4_15778:                            ;   in Loop: Header=BB4_15069 Depth=3
	s_andn2_saveexec_b64 s[28:29], s[36:37]
; %bb.15779:                            ;   in Loop: Header=BB4_15069 Depth=3
	v_or_b32_e32 v16, 0x7b, v7
; %bb.15780:                            ;   in Loop: Header=BB4_15069 Depth=3
	s_or_b64 exec, exec, s[28:29]
                                        ; implicit-def: $vgpr4
                                        ; implicit-def: $vgpr2_vgpr3
.LBB4_15781:                            ;   in Loop: Header=BB4_15069 Depth=3
	s_andn2_saveexec_b64 s[28:29], s[34:35]
	s_cbranch_execz .LBB4_15787
; %bb.15782:                            ;   in Loop: Header=BB4_15069 Depth=3
	v_cmp_ne_u64_e32 vcc, 0, v[2:3]
                                        ; implicit-def: $vgpr16
	s_and_saveexec_b64 s[34:35], vcc
	s_xor_b64 vcc, exec, s[34:35]
; %bb.15783:                            ;   in Loop: Header=BB4_15069 Depth=3
	v_or_b32_sdwa v16, v4, s47 dst_sel:DWORD dst_unused:UNUSED_PAD src0_sel:BYTE_3 src1_sel:DWORD
                                        ; implicit-def: $vgpr4
; %bb.15784:                            ;   in Loop: Header=BB4_15069 Depth=3
	s_andn2_saveexec_b64 s[34:35], vcc
; %bb.15785:                            ;   in Loop: Header=BB4_15069 Depth=3
	v_cmp_lt_i32_e32 vcc, -1, v4
	v_cndmask_b32_e32 v16, -4, v52, vcc
; %bb.15786:                            ;   in Loop: Header=BB4_15069 Depth=3
	s_or_b64 exec, exec, s[34:35]
.LBB4_15787:                            ;   in Loop: Header=BB4_15069 Depth=3
	s_or_b64 exec, exec, s[28:29]
	v_and_b32_e32 v7, 0xff, v30
	v_cmp_ne_u16_e32 vcc, 0, v7
	v_mov_b32_e32 v2, 0
	v_mov_b32_e32 v3, 0
	s_and_saveexec_b64 s[28:29], vcc
	s_cbranch_execz .LBB4_15795
; %bb.15788:                            ;   in Loop: Header=BB4_15069 Depth=3
	v_cmp_ne_u16_e32 vcc, s96, v7
	v_bfrev_b32_e32 v3, 1
	s_and_saveexec_b64 s[34:35], vcc
	s_cbranch_execz .LBB4_15794
; %bb.15789:                            ;   in Loop: Header=BB4_15069 Depth=3
	v_and_b32_e32 v3, 0x7c, v30
	v_and_b32_e32 v4, 3, v30
	v_cmp_ne_u32_e32 vcc, s85, v3
                                        ; implicit-def: $vgpr3
	s_and_saveexec_b64 s[36:37], vcc
	s_xor_b64 s[36:37], exec, s[36:37]
	s_cbranch_execz .LBB4_15791
; %bb.15790:                            ;   in Loop: Header=BB4_15069 Depth=3
	v_bfe_u32 v3, v7, 2, 5
	v_ffbh_u32_e32 v7, v4
	v_min_u32_e32 v7, 32, v7
	v_mov_b32_e32 v31, v17
	v_subrev_u32_e32 v15, 29, v7
	v_lshlrev_b64 v[34:35], v15, v[30:31]
	v_sub_u32_e32 v7, 30, v7
	v_cmp_eq_u32_e32 vcc, 0, v3
	v_cndmask_b32_e32 v3, v3, v7, vcc
	v_lshlrev_b32_e32 v7, 24, v30
	v_and_b32_e32 v15, 3, v34
	v_and_b32_e32 v7, 0x80000000, v7
	v_cndmask_b32_e32 v4, v4, v15, vcc
	v_lshl_add_u32 v3, v3, 23, v7
	v_lshl_or_b32 v3, v4, 21, v3
	v_add_u32_e32 v3, 0x38000000, v3
                                        ; implicit-def: $vgpr4
                                        ; implicit-def: $vgpr30
.LBB4_15791:                            ;   in Loop: Header=BB4_15069 Depth=3
	s_andn2_saveexec_b64 s[36:37], s[36:37]
; %bb.15792:                            ;   in Loop: Header=BB4_15069 Depth=3
	v_mov_b32_e32 v3, -1
	v_cmp_gt_i16_sdwa vcc, sext(v30), v3 src0_sel:BYTE_0 src1_sel:DWORD
	v_mov_b32_e32 v3, 0xff800000
	v_mov_b32_e32 v7, 0x7f800000
	v_cndmask_b32_e32 v3, v3, v7, vcc
	v_cmp_eq_u32_e32 vcc, 0, v4
	v_mov_b32_e32 v4, 0x7f800001
	v_cndmask_b32_e32 v3, v4, v3, vcc
; %bb.15793:                            ;   in Loop: Header=BB4_15069 Depth=3
	s_or_b64 exec, exec, s[36:37]
.LBB4_15794:                            ;   in Loop: Header=BB4_15069 Depth=3
	s_or_b64 exec, exec, s[34:35]
.LBB4_15795:                            ;   in Loop: Header=BB4_15069 Depth=3
	s_or_b64 exec, exec, s[28:29]
	v_cmp_ne_u16_e32 vcc, 0, v24
	s_and_saveexec_b64 s[28:29], vcc
	s_cbranch_execz .LBB4_15803
; %bb.15796:                            ;   in Loop: Header=BB4_15069 Depth=3
	v_cmp_ne_u16_e32 vcc, s97, v24
	v_bfrev_b32_e32 v2, 1
	s_and_saveexec_b64 s[34:35], vcc
	s_cbranch_execz .LBB4_15802
; %bb.15797:                            ;   in Loop: Header=BB4_15069 Depth=3
	v_and_b32_e32 v2, 0x7c, v24
	v_and_b32_e32 v4, 3, v24
	v_cmp_ne_u32_e32 vcc, s85, v2
                                        ; implicit-def: $vgpr2
	s_and_saveexec_b64 s[36:37], vcc
	s_xor_b64 s[36:37], exec, s[36:37]
	s_cbranch_execz .LBB4_15799
; %bb.15798:                            ;   in Loop: Header=BB4_15069 Depth=3
	v_ffbh_u32_e32 v7, v4
	v_min_u32_e32 v7, 32, v7
	v_and_b32_e32 v2, 0xff, v24
	v_mov_b32_e32 v25, v17
	v_subrev_u32_e32 v15, 29, v7
	v_bfe_u32 v2, v2, 2, 5
	v_lshlrev_b64 v[30:31], v15, v[24:25]
	v_sub_u32_e32 v7, 30, v7
	v_cmp_eq_u32_e32 vcc, 0, v2
	v_and_b32_e32 v15, 3, v30
	v_cndmask_b32_e32 v2, v2, v7, vcc
	v_and_b32_sdwa v7, sext(v24), s86 dst_sel:DWORD dst_unused:UNUSED_PAD src0_sel:WORD_0 src1_sel:DWORD
	v_cndmask_b32_e32 v4, v4, v15, vcc
	v_lshl_add_u32 v2, v2, 23, v7
	v_lshl_or_b32 v2, v4, 21, v2
	v_add_u32_e32 v2, 0x38000000, v2
                                        ; implicit-def: $vgpr4
                                        ; implicit-def: $vgpr24
.LBB4_15799:                            ;   in Loop: Header=BB4_15069 Depth=3
	s_andn2_saveexec_b64 s[36:37], s[36:37]
; %bb.15800:                            ;   in Loop: Header=BB4_15069 Depth=3
	v_cmp_lt_i16_e32 vcc, -1, v24
	v_mov_b32_e32 v2, 0xff800000
	v_mov_b32_e32 v7, 0x7f800000
	v_cndmask_b32_e32 v2, v2, v7, vcc
	v_cmp_eq_u32_e32 vcc, 0, v4
	v_mov_b32_e32 v4, 0x7f800001
	v_cndmask_b32_e32 v2, v4, v2, vcc
; %bb.15801:                            ;   in Loop: Header=BB4_15069 Depth=3
	s_or_b64 exec, exec, s[36:37]
.LBB4_15802:                            ;   in Loop: Header=BB4_15069 Depth=3
	s_or_b64 exec, exec, s[34:35]
.LBB4_15803:                            ;   in Loop: Header=BB4_15069 Depth=3
	s_or_b64 exec, exec, s[28:29]
	v_add_f32_e32 v4, v3, v2
	v_and_b32_e32 v24, 0x7f800000, v4
	v_mov_b32_e32 v25, v17
	v_cmp_ne_u64_e32 vcc, s[76:77], v[24:25]
	v_and_b32_e32 v2, 0x7fffff, v4
	v_mov_b32_e32 v3, v17
                                        ; implicit-def: $vgpr24
	s_and_saveexec_b64 s[28:29], vcc
	s_xor_b64 s[34:35], exec, s[28:29]
	s_cbranch_execz .LBB4_15821
; %bb.15804:                            ;   in Loop: Header=BB4_15069 Depth=3
	v_and_b32_e32 v24, 0x7fffffff, v4
	v_mov_b32_e32 v25, v17
	v_cmp_gt_u64_e32 vcc, s[78:79], v[24:25]
	v_and_b32_sdwa v7, v4, s96 dst_sel:DWORD dst_unused:UNUSED_PAD src0_sel:BYTE_3 src1_sel:DWORD
                                        ; implicit-def: $vgpr24
	s_and_saveexec_b64 s[28:29], vcc
	s_xor_b64 s[36:37], exec, s[28:29]
	s_cbranch_execz .LBB4_15818
; %bb.15805:                            ;   in Loop: Header=BB4_15069 Depth=3
	v_cmp_ne_u32_e32 vcc, 0, v4
	v_mov_b32_e32 v24, 0
	s_and_saveexec_b64 s[38:39], vcc
	s_cbranch_execz .LBB4_15817
; %bb.15806:                            ;   in Loop: Header=BB4_15069 Depth=3
	v_bfe_u32 v15, v4, 23, 8
	v_cmp_gt_u32_e64 s[28:29], s46, v15
	v_sub_u32_e32 v4, 0x71, v15
	v_cmp_eq_u32_e32 vcc, 0, v15
	v_cndmask_b32_e64 v4, 0, v4, s[28:29]
	v_mov_b32_e32 v21, 0x70
	v_cndmask_b32_e32 v21, v4, v21, vcc
	v_or_b32_e32 v24, 0x800000, v2
	v_add_u32_e32 v4, 21, v21
	v_cndmask_b32_e32 v2, v24, v2, vcc
	v_lshlrev_b64 v[24:25], v4, -1
	v_add_u32_e32 v4, 20, v21
	v_bfi_b32 v24, v24, 0, v2
	v_lshlrev_b64 v[30:31], v4, 1
	v_lshrrev_b64 v[2:3], v21, v[2:3]
	v_bfi_b32 v25, v25, 0, 0
	v_cmp_eq_u64_e64 s[28:29], v[24:25], v[30:31]
	v_mov_b32_e32 v4, v3
	v_mov_b32_e32 v3, v2
	s_and_saveexec_b64 s[48:49], s[28:29]
; %bb.15807:                            ;   in Loop: Header=BB4_15069 Depth=3
	v_bfe_u32 v3, v2, 21, 1
	v_add_co_u32_e64 v3, s[28:29], v2, v3
	v_add_co_u32_e64 v3, s[28:29], -1, v3
; %bb.15808:                            ;   in Loop: Header=BB4_15069 Depth=3
	s_or_b64 exec, exec, s[48:49]
	v_add_u32_e32 v4, 0xffffff81, v15
	v_mov_b32_e32 v15, 0xffffff82
	v_cndmask_b32_e32 v4, v4, v15, vcc
	v_lshrrev_b32_e32 v15, 23, v2
	v_add3_u32 v21, v21, v4, v15
	v_add_u32_e32 v15, 14, v21
	v_and_b32_e32 v3, 0x1fffff, v3
	v_add_u32_e32 v2, v3, v2
	v_mov_b32_e32 v3, v17
	v_cmp_ne_u32_e32 vcc, 0, v15
                                        ; implicit-def: $vgpr4
	s_and_saveexec_b64 s[28:29], vcc
	s_xor_b64 s[28:29], exec, s[28:29]
; %bb.15809:                            ;   in Loop: Header=BB4_15069 Depth=3
	v_cmp_lt_u64_e32 vcc, s[88:89], v[2:3]
	v_add_u32_e32 v4, 15, v21
	v_cndmask_b32_e32 v4, v15, v4, vcc
	v_cndmask_b32_e64 v15, 0, 1, vcc
	v_lshrrev_b64 v[2:3], v15, v[2:3]
; %bb.15810:                            ;   in Loop: Header=BB4_15069 Depth=3
	s_andn2_saveexec_b64 s[28:29], s[28:29]
; %bb.15811:                            ;   in Loop: Header=BB4_15069 Depth=3
	v_bfe_u32 v4, v2, 23, 1
; %bb.15812:                            ;   in Loop: Header=BB4_15069 Depth=3
	s_or_b64 exec, exec, s[28:29]
	v_lshrrev_b64 v[2:3], 21, v[2:3]
	v_cmp_gt_i32_e32 vcc, 32, v4
	v_cndmask_b32_e32 v3, 0, v3, vcc
	v_cndmask_b32_e32 v2, 3, v2, vcc
	v_cmp_ne_u64_e32 vcc, 0, v[2:3]
	v_cmp_ne_u32_e64 s[28:29], 0, v4
	s_or_b64 s[28:29], s[28:29], vcc
                                        ; implicit-def: $vgpr24
	s_and_saveexec_b64 vcc, s[28:29]
	s_xor_b64 s[28:29], exec, vcc
; %bb.15813:                            ;   in Loop: Header=BB4_15069 Depth=3
	v_min_i32_e32 v3, 31, v4
	v_lshl_or_b32 v3, v3, 2, v7
	v_and_or_b32 v24, v2, 3, v3
                                        ; implicit-def: $vgpr7
; %bb.15814:                            ;   in Loop: Header=BB4_15069 Depth=3
	s_andn2_saveexec_b64 s[28:29], s[28:29]
; %bb.15815:                            ;   in Loop: Header=BB4_15069 Depth=3
	v_mov_b32_e32 v24, v7
; %bb.15816:                            ;   in Loop: Header=BB4_15069 Depth=3
	s_or_b64 exec, exec, s[28:29]
.LBB4_15817:                            ;   in Loop: Header=BB4_15069 Depth=3
	s_or_b64 exec, exec, s[38:39]
                                        ; implicit-def: $vgpr7
.LBB4_15818:                            ;   in Loop: Header=BB4_15069 Depth=3
	s_andn2_saveexec_b64 s[28:29], s[36:37]
; %bb.15819:                            ;   in Loop: Header=BB4_15069 Depth=3
	v_or_b32_e32 v24, 0x7b, v7
; %bb.15820:                            ;   in Loop: Header=BB4_15069 Depth=3
	s_or_b64 exec, exec, s[28:29]
                                        ; implicit-def: $vgpr4
                                        ; implicit-def: $vgpr2_vgpr3
.LBB4_15821:                            ;   in Loop: Header=BB4_15069 Depth=3
	s_andn2_saveexec_b64 s[28:29], s[34:35]
	s_cbranch_execz .LBB4_15827
; %bb.15822:                            ;   in Loop: Header=BB4_15069 Depth=3
	v_cmp_ne_u64_e32 vcc, 0, v[2:3]
                                        ; implicit-def: $vgpr24
	s_and_saveexec_b64 s[34:35], vcc
	s_xor_b64 vcc, exec, s[34:35]
; %bb.15823:                            ;   in Loop: Header=BB4_15069 Depth=3
	v_or_b32_sdwa v24, v4, s47 dst_sel:DWORD dst_unused:UNUSED_PAD src0_sel:BYTE_3 src1_sel:DWORD
                                        ; implicit-def: $vgpr4
; %bb.15824:                            ;   in Loop: Header=BB4_15069 Depth=3
	s_andn2_saveexec_b64 s[34:35], vcc
; %bb.15825:                            ;   in Loop: Header=BB4_15069 Depth=3
	v_cmp_lt_i32_e32 vcc, -1, v4
	v_cndmask_b32_e32 v24, -4, v52, vcc
; %bb.15826:                            ;   in Loop: Header=BB4_15069 Depth=3
	s_or_b64 exec, exec, s[34:35]
.LBB4_15827:                            ;   in Loop: Header=BB4_15069 Depth=3
	s_or_b64 exec, exec, s[28:29]
	v_and_b32_e32 v7, 0xff, v20
	v_cmp_ne_u16_e32 vcc, 0, v7
	v_mov_b32_e32 v2, 0
	v_mov_b32_e32 v3, 0
	s_and_saveexec_b64 s[28:29], vcc
	s_cbranch_execz .LBB4_15835
; %bb.15828:                            ;   in Loop: Header=BB4_15069 Depth=3
	v_cmp_ne_u16_e32 vcc, s96, v7
	v_bfrev_b32_e32 v3, 1
	s_and_saveexec_b64 s[34:35], vcc
	s_cbranch_execz .LBB4_15834
; %bb.15829:                            ;   in Loop: Header=BB4_15069 Depth=3
	v_and_b32_e32 v3, 0x7c, v20
	v_and_b32_e32 v4, 3, v20
	v_cmp_ne_u32_e32 vcc, s85, v3
                                        ; implicit-def: $vgpr3
	s_and_saveexec_b64 s[36:37], vcc
	s_xor_b64 s[36:37], exec, s[36:37]
	s_cbranch_execz .LBB4_15831
; %bb.15830:                            ;   in Loop: Header=BB4_15069 Depth=3
	v_bfe_u32 v3, v7, 2, 5
	v_ffbh_u32_e32 v7, v4
	v_min_u32_e32 v7, 32, v7
	v_mov_b32_e32 v21, v17
	v_subrev_u32_e32 v15, 29, v7
	v_lshlrev_b64 v[30:31], v15, v[20:21]
	v_sub_u32_e32 v7, 30, v7
	v_cmp_eq_u32_e32 vcc, 0, v3
	v_cndmask_b32_e32 v3, v3, v7, vcc
	v_lshlrev_b32_e32 v7, 24, v20
	v_and_b32_e32 v15, 3, v30
	v_and_b32_e32 v7, 0x80000000, v7
	v_cndmask_b32_e32 v4, v4, v15, vcc
	v_lshl_add_u32 v3, v3, 23, v7
	v_lshl_or_b32 v3, v4, 21, v3
	v_add_u32_e32 v3, 0x38000000, v3
                                        ; implicit-def: $vgpr4
                                        ; implicit-def: $vgpr20
.LBB4_15831:                            ;   in Loop: Header=BB4_15069 Depth=3
	s_andn2_saveexec_b64 s[36:37], s[36:37]
; %bb.15832:                            ;   in Loop: Header=BB4_15069 Depth=3
	v_mov_b32_e32 v3, -1
	v_cmp_gt_i16_sdwa vcc, sext(v20), v3 src0_sel:BYTE_0 src1_sel:DWORD
	v_mov_b32_e32 v3, 0xff800000
	v_mov_b32_e32 v7, 0x7f800000
	v_cndmask_b32_e32 v3, v3, v7, vcc
	v_cmp_eq_u32_e32 vcc, 0, v4
	v_mov_b32_e32 v4, 0x7f800001
	v_cndmask_b32_e32 v3, v4, v3, vcc
; %bb.15833:                            ;   in Loop: Header=BB4_15069 Depth=3
	s_or_b64 exec, exec, s[36:37]
.LBB4_15834:                            ;   in Loop: Header=BB4_15069 Depth=3
	s_or_b64 exec, exec, s[34:35]
.LBB4_15835:                            ;   in Loop: Header=BB4_15069 Depth=3
	s_or_b64 exec, exec, s[28:29]
	v_cmp_ne_u16_e32 vcc, 0, v6
	s_and_saveexec_b64 s[28:29], vcc
	s_cbranch_execz .LBB4_15843
; %bb.15836:                            ;   in Loop: Header=BB4_15069 Depth=3
	v_cmp_ne_u16_e32 vcc, s97, v6
	v_bfrev_b32_e32 v2, 1
	s_and_saveexec_b64 s[34:35], vcc
	s_cbranch_execz .LBB4_15842
; %bb.15837:                            ;   in Loop: Header=BB4_15069 Depth=3
	v_and_b32_e32 v2, 0x7c, v6
	v_and_b32_e32 v4, 3, v6
	v_cmp_ne_u32_e32 vcc, s85, v2
                                        ; implicit-def: $vgpr2
	s_and_saveexec_b64 s[36:37], vcc
	s_xor_b64 s[36:37], exec, s[36:37]
	s_cbranch_execz .LBB4_15839
; %bb.15838:                            ;   in Loop: Header=BB4_15069 Depth=3
	v_ffbh_u32_e32 v15, v4
	v_min_u32_e32 v15, 32, v15
	v_and_b32_e32 v2, 0xff, v6
	v_mov_b32_e32 v7, v17
	v_subrev_u32_e32 v20, 29, v15
	v_bfe_u32 v2, v2, 2, 5
	v_lshlrev_b64 v[20:21], v20, v[6:7]
	v_sub_u32_e32 v7, 30, v15
	v_cmp_eq_u32_e32 vcc, 0, v2
	v_and_b32_e32 v15, 3, v20
	v_cndmask_b32_e32 v2, v2, v7, vcc
	v_and_b32_sdwa v6, sext(v6), s86 dst_sel:DWORD dst_unused:UNUSED_PAD src0_sel:WORD_0 src1_sel:DWORD
	v_cndmask_b32_e32 v4, v4, v15, vcc
	v_lshl_add_u32 v2, v2, 23, v6
	v_lshl_or_b32 v2, v4, 21, v2
	v_add_u32_e32 v2, 0x38000000, v2
                                        ; implicit-def: $vgpr4
                                        ; implicit-def: $vgpr6
.LBB4_15839:                            ;   in Loop: Header=BB4_15069 Depth=3
	s_andn2_saveexec_b64 s[36:37], s[36:37]
; %bb.15840:                            ;   in Loop: Header=BB4_15069 Depth=3
	v_cmp_lt_i16_e32 vcc, -1, v6
	v_mov_b32_e32 v2, 0xff800000
	v_mov_b32_e32 v6, 0x7f800000
	v_cndmask_b32_e32 v2, v2, v6, vcc
	v_cmp_eq_u32_e32 vcc, 0, v4
	v_mov_b32_e32 v4, 0x7f800001
	v_cndmask_b32_e32 v2, v4, v2, vcc
; %bb.15841:                            ;   in Loop: Header=BB4_15069 Depth=3
	s_or_b64 exec, exec, s[36:37]
.LBB4_15842:                            ;   in Loop: Header=BB4_15069 Depth=3
	s_or_b64 exec, exec, s[34:35]
.LBB4_15843:                            ;   in Loop: Header=BB4_15069 Depth=3
	s_or_b64 exec, exec, s[28:29]
	v_add_f32_e32 v7, v3, v2
	v_and_b32_e32 v3, 0x7f800000, v7
	v_mov_b32_e32 v4, v17
	v_cmp_ne_u64_e32 vcc, s[76:77], v[3:4]
	v_and_b32_e32 v2, 0x7fffff, v7
	v_mov_b32_e32 v3, v17
                                        ; implicit-def: $vgpr4
	s_and_saveexec_b64 s[28:29], vcc
	s_xor_b64 s[34:35], exec, s[28:29]
	s_cbranch_execz .LBB4_15861
; %bb.15844:                            ;   in Loop: Header=BB4_15069 Depth=3
	v_and_b32_e32 v20, 0x7fffffff, v7
	v_mov_b32_e32 v21, v17
	v_cmp_gt_u64_e32 vcc, s[78:79], v[20:21]
	v_and_b32_sdwa v6, v7, s96 dst_sel:DWORD dst_unused:UNUSED_PAD src0_sel:BYTE_3 src1_sel:DWORD
                                        ; implicit-def: $vgpr4
	s_and_saveexec_b64 s[28:29], vcc
	s_xor_b64 s[36:37], exec, s[28:29]
	s_cbranch_execz .LBB4_15858
; %bb.15845:                            ;   in Loop: Header=BB4_15069 Depth=3
	v_cmp_ne_u32_e32 vcc, 0, v7
	v_mov_b32_e32 v4, 0
	s_and_saveexec_b64 s[38:39], vcc
	s_cbranch_execz .LBB4_15857
; %bb.15846:                            ;   in Loop: Header=BB4_15069 Depth=3
	v_bfe_u32 v7, v7, 23, 8
	v_cmp_gt_u32_e64 s[28:29], s46, v7
	v_sub_u32_e32 v4, 0x71, v7
	v_cmp_eq_u32_e32 vcc, 0, v7
	v_cndmask_b32_e64 v4, 0, v4, s[28:29]
	v_mov_b32_e32 v15, 0x70
	v_cndmask_b32_e32 v15, v4, v15, vcc
	v_or_b32_e32 v20, 0x800000, v2
	v_add_u32_e32 v4, 21, v15
	v_cndmask_b32_e32 v2, v20, v2, vcc
	v_lshlrev_b64 v[20:21], v4, -1
	v_add_u32_e32 v4, 20, v15
	v_bfi_b32 v20, v20, 0, v2
	v_lshlrev_b64 v[30:31], v4, 1
	v_lshrrev_b64 v[2:3], v15, v[2:3]
	v_bfi_b32 v21, v21, 0, 0
	v_cmp_eq_u64_e64 s[28:29], v[20:21], v[30:31]
	v_mov_b32_e32 v4, v3
	v_mov_b32_e32 v3, v2
	s_and_saveexec_b64 s[48:49], s[28:29]
; %bb.15847:                            ;   in Loop: Header=BB4_15069 Depth=3
	v_bfe_u32 v3, v2, 21, 1
	v_add_co_u32_e64 v3, s[28:29], v2, v3
	v_add_co_u32_e64 v3, s[28:29], -1, v3
; %bb.15848:                            ;   in Loop: Header=BB4_15069 Depth=3
	s_or_b64 exec, exec, s[48:49]
	v_add_u32_e32 v4, 0xffffff81, v7
	v_mov_b32_e32 v7, 0xffffff82
	v_cndmask_b32_e32 v4, v4, v7, vcc
	v_lshrrev_b32_e32 v7, 23, v2
	v_add3_u32 v15, v15, v4, v7
	v_add_u32_e32 v4, 14, v15
	v_and_b32_e32 v3, 0x1fffff, v3
	v_add_u32_e32 v2, v3, v2
	v_mov_b32_e32 v3, v17
	v_cmp_ne_u32_e32 vcc, 0, v4
                                        ; implicit-def: $vgpr7
	s_and_saveexec_b64 s[28:29], vcc
	s_xor_b64 s[28:29], exec, s[28:29]
; %bb.15849:                            ;   in Loop: Header=BB4_15069 Depth=3
	v_cmp_lt_u64_e32 vcc, s[88:89], v[2:3]
	v_add_u32_e32 v7, 15, v15
	v_cndmask_b32_e32 v7, v4, v7, vcc
	v_cndmask_b32_e64 v4, 0, 1, vcc
	v_lshrrev_b64 v[2:3], v4, v[2:3]
; %bb.15850:                            ;   in Loop: Header=BB4_15069 Depth=3
	s_andn2_saveexec_b64 s[28:29], s[28:29]
; %bb.15851:                            ;   in Loop: Header=BB4_15069 Depth=3
	v_bfe_u32 v7, v2, 23, 1
; %bb.15852:                            ;   in Loop: Header=BB4_15069 Depth=3
	s_or_b64 exec, exec, s[28:29]
	v_lshrrev_b64 v[2:3], 21, v[2:3]
	v_cmp_gt_i32_e32 vcc, 32, v7
	v_cndmask_b32_e32 v3, 0, v3, vcc
	v_cndmask_b32_e32 v2, 3, v2, vcc
	v_cmp_ne_u64_e32 vcc, 0, v[2:3]
	v_cmp_ne_u32_e64 s[28:29], 0, v7
	s_or_b64 s[28:29], s[28:29], vcc
                                        ; implicit-def: $vgpr4
	s_and_saveexec_b64 vcc, s[28:29]
	s_xor_b64 s[28:29], exec, vcc
; %bb.15853:                            ;   in Loop: Header=BB4_15069 Depth=3
	v_min_i32_e32 v3, 31, v7
	v_lshl_or_b32 v3, v3, 2, v6
	v_and_or_b32 v4, v2, 3, v3
                                        ; implicit-def: $vgpr6
; %bb.15854:                            ;   in Loop: Header=BB4_15069 Depth=3
	s_andn2_saveexec_b64 s[28:29], s[28:29]
; %bb.15855:                            ;   in Loop: Header=BB4_15069 Depth=3
	v_mov_b32_e32 v4, v6
; %bb.15856:                            ;   in Loop: Header=BB4_15069 Depth=3
	s_or_b64 exec, exec, s[28:29]
.LBB4_15857:                            ;   in Loop: Header=BB4_15069 Depth=3
	s_or_b64 exec, exec, s[38:39]
                                        ; implicit-def: $vgpr6
.LBB4_15858:                            ;   in Loop: Header=BB4_15069 Depth=3
	s_andn2_saveexec_b64 s[28:29], s[36:37]
; %bb.15859:                            ;   in Loop: Header=BB4_15069 Depth=3
	v_or_b32_e32 v4, 0x7b, v6
; %bb.15860:                            ;   in Loop: Header=BB4_15069 Depth=3
	s_or_b64 exec, exec, s[28:29]
                                        ; implicit-def: $vgpr7
                                        ; implicit-def: $vgpr2_vgpr3
.LBB4_15861:                            ;   in Loop: Header=BB4_15069 Depth=3
	s_andn2_saveexec_b64 s[28:29], s[34:35]
	s_cbranch_execz .LBB4_15867
; %bb.15862:                            ;   in Loop: Header=BB4_15069 Depth=3
	v_cmp_ne_u64_e32 vcc, 0, v[2:3]
                                        ; implicit-def: $vgpr4
	s_and_saveexec_b64 s[34:35], vcc
	s_xor_b64 vcc, exec, s[34:35]
; %bb.15863:                            ;   in Loop: Header=BB4_15069 Depth=3
	v_or_b32_sdwa v4, v7, s47 dst_sel:DWORD dst_unused:UNUSED_PAD src0_sel:BYTE_3 src1_sel:DWORD
                                        ; implicit-def: $vgpr7
; %bb.15864:                            ;   in Loop: Header=BB4_15069 Depth=3
	s_andn2_saveexec_b64 s[34:35], vcc
; %bb.15865:                            ;   in Loop: Header=BB4_15069 Depth=3
	v_cmp_lt_i32_e32 vcc, -1, v7
	v_cndmask_b32_e32 v4, -4, v52, vcc
; %bb.15866:                            ;   in Loop: Header=BB4_15069 Depth=3
	s_or_b64 exec, exec, s[34:35]
.LBB4_15867:                            ;   in Loop: Header=BB4_15069 Depth=3
	s_or_b64 exec, exec, s[28:29]
	v_and_b32_e32 v7, 0xff, v19
	v_cmp_ne_u16_e32 vcc, 0, v7
	v_mov_b32_e32 v2, 0
	v_mov_b32_e32 v3, 0
	s_and_saveexec_b64 s[28:29], vcc
	s_cbranch_execz .LBB4_15875
; %bb.15868:                            ;   in Loop: Header=BB4_15069 Depth=3
	v_cmp_ne_u16_e32 vcc, s96, v7
	v_bfrev_b32_e32 v3, 1
	s_and_saveexec_b64 s[34:35], vcc
	s_cbranch_execz .LBB4_15874
; %bb.15869:                            ;   in Loop: Header=BB4_15069 Depth=3
	v_and_b32_e32 v3, 0x7c, v19
	v_and_b32_e32 v6, 3, v19
	v_cmp_ne_u32_e32 vcc, s85, v3
                                        ; implicit-def: $vgpr3
	s_and_saveexec_b64 s[36:37], vcc
	s_xor_b64 s[36:37], exec, s[36:37]
	s_cbranch_execz .LBB4_15871
; %bb.15870:                            ;   in Loop: Header=BB4_15069 Depth=3
	v_bfe_u32 v3, v7, 2, 5
	v_ffbh_u32_e32 v7, v6
	v_min_u32_e32 v7, 32, v7
	v_mov_b32_e32 v20, v17
	v_subrev_u32_e32 v15, 29, v7
	v_lshlrev_b64 v[20:21], v15, v[19:20]
	v_sub_u32_e32 v7, 30, v7
	v_cmp_eq_u32_e32 vcc, 0, v3
	v_cndmask_b32_e32 v3, v3, v7, vcc
	v_lshlrev_b32_e32 v7, 24, v19
	v_and_b32_e32 v15, 3, v20
	v_and_b32_e32 v7, 0x80000000, v7
	v_cndmask_b32_e32 v6, v6, v15, vcc
	v_lshl_add_u32 v3, v3, 23, v7
	v_lshl_or_b32 v3, v6, 21, v3
	v_add_u32_e32 v3, 0x38000000, v3
                                        ; implicit-def: $vgpr6
                                        ; implicit-def: $vgpr19
.LBB4_15871:                            ;   in Loop: Header=BB4_15069 Depth=3
	s_andn2_saveexec_b64 s[36:37], s[36:37]
; %bb.15872:                            ;   in Loop: Header=BB4_15069 Depth=3
	v_mov_b32_e32 v3, -1
	v_cmp_gt_i16_sdwa vcc, sext(v19), v3 src0_sel:BYTE_0 src1_sel:DWORD
	v_mov_b32_e32 v3, 0xff800000
	v_mov_b32_e32 v7, 0x7f800000
	v_cndmask_b32_e32 v3, v3, v7, vcc
	v_cmp_eq_u32_e32 vcc, 0, v6
	v_mov_b32_e32 v6, 0x7f800001
	v_cndmask_b32_e32 v3, v6, v3, vcc
; %bb.15873:                            ;   in Loop: Header=BB4_15069 Depth=3
	s_or_b64 exec, exec, s[36:37]
.LBB4_15874:                            ;   in Loop: Header=BB4_15069 Depth=3
	s_or_b64 exec, exec, s[34:35]
.LBB4_15875:                            ;   in Loop: Header=BB4_15069 Depth=3
	s_or_b64 exec, exec, s[28:29]
	v_cmp_ne_u16_e32 vcc, 0, v1
	s_and_saveexec_b64 s[28:29], vcc
	s_cbranch_execz .LBB4_15883
; %bb.15876:                            ;   in Loop: Header=BB4_15069 Depth=3
	v_cmp_ne_u16_e32 vcc, s97, v1
	v_bfrev_b32_e32 v2, 1
	s_and_saveexec_b64 s[34:35], vcc
	s_cbranch_execz .LBB4_15882
; %bb.15877:                            ;   in Loop: Header=BB4_15069 Depth=3
	v_and_b32_e32 v2, 0x7c, v1
	v_and_b32_e32 v6, 3, v1
	v_cmp_ne_u32_e32 vcc, s85, v2
                                        ; implicit-def: $vgpr2
	s_and_saveexec_b64 s[36:37], vcc
	s_xor_b64 s[36:37], exec, s[36:37]
	s_cbranch_execz .LBB4_15879
; %bb.15878:                            ;   in Loop: Header=BB4_15069 Depth=3
	v_ffbh_u32_e32 v15, v6
	v_min_u32_e32 v15, 32, v15
	v_and_b32_e32 v7, 0xff, v1
	v_mov_b32_e32 v2, v17
	v_subrev_u32_e32 v19, 29, v15
	v_bfe_u32 v7, v7, 2, 5
	v_lshlrev_b64 v[19:20], v19, v[1:2]
	v_sub_u32_e32 v2, 30, v15
	v_cmp_eq_u32_e32 vcc, 0, v7
	v_and_b32_e32 v15, 3, v19
	v_cndmask_b32_e32 v2, v7, v2, vcc
	v_and_b32_sdwa v1, sext(v1), s86 dst_sel:DWORD dst_unused:UNUSED_PAD src0_sel:WORD_0 src1_sel:DWORD
	v_cndmask_b32_e32 v6, v6, v15, vcc
	v_lshl_add_u32 v1, v2, 23, v1
	v_lshl_or_b32 v1, v6, 21, v1
	v_add_u32_e32 v2, 0x38000000, v1
                                        ; implicit-def: $vgpr6
                                        ; implicit-def: $vgpr1
.LBB4_15879:                            ;   in Loop: Header=BB4_15069 Depth=3
	s_andn2_saveexec_b64 s[36:37], s[36:37]
; %bb.15880:                            ;   in Loop: Header=BB4_15069 Depth=3
	v_cmp_lt_i16_e32 vcc, -1, v1
	v_mov_b32_e32 v1, 0xff800000
	v_mov_b32_e32 v2, 0x7f800000
	v_cndmask_b32_e32 v1, v1, v2, vcc
	v_cmp_eq_u32_e32 vcc, 0, v6
	v_mov_b32_e32 v2, 0x7f800001
	v_cndmask_b32_e32 v2, v2, v1, vcc
; %bb.15881:                            ;   in Loop: Header=BB4_15069 Depth=3
	s_or_b64 exec, exec, s[36:37]
.LBB4_15882:                            ;   in Loop: Header=BB4_15069 Depth=3
	s_or_b64 exec, exec, s[34:35]
.LBB4_15883:                            ;   in Loop: Header=BB4_15069 Depth=3
	s_or_b64 exec, exec, s[28:29]
	v_add_f32_e32 v7, v3, v2
	v_and_b32_e32 v2, 0x7f800000, v7
	v_mov_b32_e32 v3, v17
	v_cmp_ne_u64_e32 vcc, s[76:77], v[2:3]
	v_and_b32_e32 v1, 0x7fffff, v7
	v_mov_b32_e32 v2, v17
                                        ; implicit-def: $vgpr3
	s_and_saveexec_b64 s[28:29], vcc
	s_xor_b64 s[34:35], exec, s[28:29]
	s_cbranch_execz .LBB4_15901
; %bb.15884:                            ;   in Loop: Header=BB4_15069 Depth=3
	v_and_b32_e32 v19, 0x7fffffff, v7
	v_mov_b32_e32 v20, v17
	v_cmp_gt_u64_e32 vcc, s[78:79], v[19:20]
	v_and_b32_sdwa v6, v7, s96 dst_sel:DWORD dst_unused:UNUSED_PAD src0_sel:BYTE_3 src1_sel:DWORD
                                        ; implicit-def: $vgpr3
	s_and_saveexec_b64 s[28:29], vcc
	s_xor_b64 s[36:37], exec, s[28:29]
	s_cbranch_execz .LBB4_15898
; %bb.15885:                            ;   in Loop: Header=BB4_15069 Depth=3
	v_cmp_ne_u32_e32 vcc, 0, v7
	v_mov_b32_e32 v3, 0
	s_and_saveexec_b64 s[38:39], vcc
	s_cbranch_execz .LBB4_15897
; %bb.15886:                            ;   in Loop: Header=BB4_15069 Depth=3
	v_bfe_u32 v7, v7, 23, 8
	v_cmp_gt_u32_e64 s[28:29], s46, v7
	v_sub_u32_e32 v3, 0x71, v7
	v_cmp_eq_u32_e32 vcc, 0, v7
	v_cndmask_b32_e64 v3, 0, v3, s[28:29]
	v_mov_b32_e32 v15, 0x70
	v_cndmask_b32_e32 v15, v3, v15, vcc
	v_or_b32_e32 v19, 0x800000, v1
	v_add_u32_e32 v3, 21, v15
	v_cndmask_b32_e32 v1, v19, v1, vcc
	v_lshlrev_b64 v[19:20], v3, -1
	v_add_u32_e32 v3, 20, v15
	v_bfi_b32 v19, v19, 0, v1
	v_lshlrev_b64 v[30:31], v3, 1
	v_lshrrev_b64 v[1:2], v15, v[1:2]
	v_bfi_b32 v20, v20, 0, 0
	v_cmp_eq_u64_e64 s[28:29], v[19:20], v[30:31]
	v_mov_b32_e32 v3, v2
	v_mov_b32_e32 v2, v1
	s_and_saveexec_b64 s[48:49], s[28:29]
; %bb.15887:                            ;   in Loop: Header=BB4_15069 Depth=3
	v_bfe_u32 v2, v1, 21, 1
	v_add_co_u32_e64 v2, s[28:29], v1, v2
	v_add_co_u32_e64 v2, s[28:29], -1, v2
; %bb.15888:                            ;   in Loop: Header=BB4_15069 Depth=3
	s_or_b64 exec, exec, s[48:49]
	v_add_u32_e32 v3, 0xffffff81, v7
	v_mov_b32_e32 v7, 0xffffff82
	v_cndmask_b32_e32 v3, v3, v7, vcc
	v_lshrrev_b32_e32 v7, 23, v1
	v_add3_u32 v15, v15, v3, v7
	v_add_u32_e32 v3, 14, v15
	v_and_b32_e32 v2, 0x1fffff, v2
	v_add_u32_e32 v1, v2, v1
	v_mov_b32_e32 v2, v17
	v_cmp_ne_u32_e32 vcc, 0, v3
                                        ; implicit-def: $vgpr7
	s_and_saveexec_b64 s[28:29], vcc
	s_xor_b64 s[28:29], exec, s[28:29]
; %bb.15889:                            ;   in Loop: Header=BB4_15069 Depth=3
	v_cmp_lt_u64_e32 vcc, s[88:89], v[1:2]
	v_add_u32_e32 v7, 15, v15
	v_cndmask_b32_e32 v7, v3, v7, vcc
	v_cndmask_b32_e64 v3, 0, 1, vcc
	v_lshrrev_b64 v[1:2], v3, v[1:2]
; %bb.15890:                            ;   in Loop: Header=BB4_15069 Depth=3
	s_andn2_saveexec_b64 s[28:29], s[28:29]
; %bb.15891:                            ;   in Loop: Header=BB4_15069 Depth=3
	v_bfe_u32 v7, v1, 23, 1
; %bb.15892:                            ;   in Loop: Header=BB4_15069 Depth=3
	s_or_b64 exec, exec, s[28:29]
	v_lshrrev_b64 v[1:2], 21, v[1:2]
	v_cmp_gt_i32_e32 vcc, 32, v7
	v_cndmask_b32_e32 v2, 0, v2, vcc
	v_cndmask_b32_e32 v1, 3, v1, vcc
	v_cmp_ne_u64_e32 vcc, 0, v[1:2]
	v_cmp_ne_u32_e64 s[28:29], 0, v7
	s_or_b64 s[28:29], s[28:29], vcc
                                        ; implicit-def: $vgpr3
	s_and_saveexec_b64 vcc, s[28:29]
	s_xor_b64 s[28:29], exec, vcc
; %bb.15893:                            ;   in Loop: Header=BB4_15069 Depth=3
	v_min_i32_e32 v2, 31, v7
	v_lshl_or_b32 v2, v2, 2, v6
	v_and_or_b32 v3, v1, 3, v2
                                        ; implicit-def: $vgpr6
; %bb.15894:                            ;   in Loop: Header=BB4_15069 Depth=3
	s_andn2_saveexec_b64 s[28:29], s[28:29]
; %bb.15895:                            ;   in Loop: Header=BB4_15069 Depth=3
	v_mov_b32_e32 v3, v6
; %bb.15896:                            ;   in Loop: Header=BB4_15069 Depth=3
	s_or_b64 exec, exec, s[28:29]
.LBB4_15897:                            ;   in Loop: Header=BB4_15069 Depth=3
	s_or_b64 exec, exec, s[38:39]
                                        ; implicit-def: $vgpr6
.LBB4_15898:                            ;   in Loop: Header=BB4_15069 Depth=3
	s_andn2_saveexec_b64 s[28:29], s[36:37]
; %bb.15899:                            ;   in Loop: Header=BB4_15069 Depth=3
	v_or_b32_e32 v3, 0x7b, v6
; %bb.15900:                            ;   in Loop: Header=BB4_15069 Depth=3
	s_or_b64 exec, exec, s[28:29]
                                        ; implicit-def: $vgpr7
                                        ; implicit-def: $vgpr1_vgpr2
.LBB4_15901:                            ;   in Loop: Header=BB4_15069 Depth=3
	s_andn2_saveexec_b64 s[28:29], s[34:35]
	s_cbranch_execz .LBB4_15907
; %bb.15902:                            ;   in Loop: Header=BB4_15069 Depth=3
	v_cmp_ne_u64_e32 vcc, 0, v[1:2]
                                        ; implicit-def: $vgpr3
	s_and_saveexec_b64 s[34:35], vcc
	s_xor_b64 vcc, exec, s[34:35]
; %bb.15903:                            ;   in Loop: Header=BB4_15069 Depth=3
	v_or_b32_sdwa v3, v7, s47 dst_sel:DWORD dst_unused:UNUSED_PAD src0_sel:BYTE_3 src1_sel:DWORD
                                        ; implicit-def: $vgpr7
; %bb.15904:                            ;   in Loop: Header=BB4_15069 Depth=3
	s_andn2_saveexec_b64 s[34:35], vcc
; %bb.15905:                            ;   in Loop: Header=BB4_15069 Depth=3
	v_cmp_lt_i32_e32 vcc, -1, v7
	v_cndmask_b32_e32 v3, -4, v52, vcc
; %bb.15906:                            ;   in Loop: Header=BB4_15069 Depth=3
	s_or_b64 exec, exec, s[34:35]
.LBB4_15907:                            ;   in Loop: Header=BB4_15069 Depth=3
	s_or_b64 exec, exec, s[28:29]
	v_and_b32_e32 v7, 0xff, v18
	v_cmp_ne_u16_e32 vcc, 0, v7
	v_mov_b32_e32 v1, 0
	v_mov_b32_e32 v2, 0
	s_and_saveexec_b64 s[28:29], vcc
	s_cbranch_execz .LBB4_15915
; %bb.15908:                            ;   in Loop: Header=BB4_15069 Depth=3
	v_cmp_ne_u16_e32 vcc, s96, v7
	v_bfrev_b32_e32 v2, 1
	s_and_saveexec_b64 s[34:35], vcc
	s_cbranch_execz .LBB4_15914
; %bb.15909:                            ;   in Loop: Header=BB4_15069 Depth=3
	v_and_b32_e32 v2, 0x7c, v18
	v_and_b32_e32 v6, 3, v18
	v_cmp_ne_u32_e32 vcc, s85, v2
                                        ; implicit-def: $vgpr2
	s_and_saveexec_b64 s[36:37], vcc
	s_xor_b64 s[36:37], exec, s[36:37]
	s_cbranch_execz .LBB4_15911
; %bb.15910:                            ;   in Loop: Header=BB4_15069 Depth=3
	v_bfe_u32 v2, v7, 2, 5
	v_ffbh_u32_e32 v7, v6
	v_min_u32_e32 v7, 32, v7
	v_mov_b32_e32 v19, v17
	v_subrev_u32_e32 v15, 29, v7
	v_lshlrev_b64 v[19:20], v15, v[18:19]
	v_sub_u32_e32 v7, 30, v7
	v_cmp_eq_u32_e32 vcc, 0, v2
	v_cndmask_b32_e32 v2, v2, v7, vcc
	v_lshlrev_b32_e32 v7, 24, v18
	v_and_b32_e32 v15, 3, v19
	v_and_b32_e32 v7, 0x80000000, v7
	v_cndmask_b32_e32 v6, v6, v15, vcc
	v_lshl_add_u32 v2, v2, 23, v7
	v_lshl_or_b32 v2, v6, 21, v2
	v_add_u32_e32 v2, 0x38000000, v2
                                        ; implicit-def: $vgpr6
                                        ; implicit-def: $vgpr18
.LBB4_15911:                            ;   in Loop: Header=BB4_15069 Depth=3
	s_andn2_saveexec_b64 s[36:37], s[36:37]
; %bb.15912:                            ;   in Loop: Header=BB4_15069 Depth=3
	v_mov_b32_e32 v2, -1
	v_cmp_gt_i16_sdwa vcc, sext(v18), v2 src0_sel:BYTE_0 src1_sel:DWORD
	v_mov_b32_e32 v2, 0xff800000
	v_mov_b32_e32 v7, 0x7f800000
	v_cndmask_b32_e32 v2, v2, v7, vcc
	v_cmp_eq_u32_e32 vcc, 0, v6
	v_mov_b32_e32 v6, 0x7f800001
	v_cndmask_b32_e32 v2, v6, v2, vcc
; %bb.15913:                            ;   in Loop: Header=BB4_15069 Depth=3
	s_or_b64 exec, exec, s[36:37]
.LBB4_15914:                            ;   in Loop: Header=BB4_15069 Depth=3
	s_or_b64 exec, exec, s[34:35]
.LBB4_15915:                            ;   in Loop: Header=BB4_15069 Depth=3
	s_or_b64 exec, exec, s[28:29]
	v_cmp_ne_u16_e32 vcc, 0, v0
	s_and_saveexec_b64 s[28:29], vcc
	s_cbranch_execz .LBB4_15923
; %bb.15916:                            ;   in Loop: Header=BB4_15069 Depth=3
	v_cmp_ne_u16_e32 vcc, s97, v0
	v_bfrev_b32_e32 v1, 1
	s_and_saveexec_b64 s[34:35], vcc
	s_cbranch_execz .LBB4_15922
; %bb.15917:                            ;   in Loop: Header=BB4_15069 Depth=3
	v_and_b32_e32 v1, 0x7c, v0
	v_and_b32_e32 v6, 3, v0
	v_cmp_ne_u32_e32 vcc, s85, v1
                                        ; implicit-def: $vgpr1
	s_and_saveexec_b64 s[36:37], vcc
	s_xor_b64 s[36:37], exec, s[36:37]
	s_cbranch_execz .LBB4_15919
; %bb.15918:                            ;   in Loop: Header=BB4_15069 Depth=3
	v_ffbh_u32_e32 v15, v6
	v_min_u32_e32 v15, 32, v15
	v_and_b32_e32 v7, 0xff, v0
	v_mov_b32_e32 v1, v17
	v_subrev_u32_e32 v18, 29, v15
	v_bfe_u32 v7, v7, 2, 5
	v_lshlrev_b64 v[18:19], v18, v[0:1]
	v_sub_u32_e32 v1, 30, v15
	v_cmp_eq_u32_e32 vcc, 0, v7
	v_and_b32_e32 v15, 3, v18
	v_cndmask_b32_e32 v1, v7, v1, vcc
	v_and_b32_sdwa v0, sext(v0), s86 dst_sel:DWORD dst_unused:UNUSED_PAD src0_sel:WORD_0 src1_sel:DWORD
	v_cndmask_b32_e32 v6, v6, v15, vcc
	v_lshl_add_u32 v0, v1, 23, v0
	v_lshl_or_b32 v0, v6, 21, v0
	v_add_u32_e32 v1, 0x38000000, v0
                                        ; implicit-def: $vgpr6
                                        ; implicit-def: $vgpr0
.LBB4_15919:                            ;   in Loop: Header=BB4_15069 Depth=3
	s_andn2_saveexec_b64 s[36:37], s[36:37]
; %bb.15920:                            ;   in Loop: Header=BB4_15069 Depth=3
	v_cmp_lt_i16_e32 vcc, -1, v0
	v_mov_b32_e32 v0, 0xff800000
	v_mov_b32_e32 v1, 0x7f800000
	v_cndmask_b32_e32 v0, v0, v1, vcc
	v_cmp_eq_u32_e32 vcc, 0, v6
	v_mov_b32_e32 v1, 0x7f800001
	v_cndmask_b32_e32 v1, v1, v0, vcc
; %bb.15921:                            ;   in Loop: Header=BB4_15069 Depth=3
	s_or_b64 exec, exec, s[36:37]
.LBB4_15922:                            ;   in Loop: Header=BB4_15069 Depth=3
	s_or_b64 exec, exec, s[34:35]
.LBB4_15923:                            ;   in Loop: Header=BB4_15069 Depth=3
	s_or_b64 exec, exec, s[28:29]
	v_add_f32_e32 v2, v2, v1
	v_and_b32_e32 v6, 0x7f800000, v2
	v_mov_b32_e32 v7, v17
	v_cmp_ne_u64_e32 vcc, s[76:77], v[6:7]
	v_and_b32_e32 v0, 0x7fffff, v2
	v_mov_b32_e32 v1, v17
                                        ; implicit-def: $vgpr6
	s_and_saveexec_b64 s[28:29], vcc
	s_xor_b64 s[34:35], exec, s[28:29]
	s_cbranch_execz .LBB4_15941
; %bb.15924:                            ;   in Loop: Header=BB4_15069 Depth=3
	v_and_b32_e32 v6, 0x7fffffff, v2
	v_mov_b32_e32 v7, v17
	v_cmp_gt_u64_e32 vcc, s[78:79], v[6:7]
	v_and_b32_sdwa v7, v2, s96 dst_sel:DWORD dst_unused:UNUSED_PAD src0_sel:BYTE_3 src1_sel:DWORD
                                        ; implicit-def: $vgpr6
	s_and_saveexec_b64 s[28:29], vcc
	s_xor_b64 s[36:37], exec, s[28:29]
	s_cbranch_execz .LBB4_15938
; %bb.15925:                            ;   in Loop: Header=BB4_15069 Depth=3
	v_cmp_ne_u32_e32 vcc, 0, v2
	v_mov_b32_e32 v6, 0
	s_and_saveexec_b64 s[38:39], vcc
	s_cbranch_execz .LBB4_15937
; %bb.15926:                            ;   in Loop: Header=BB4_15069 Depth=3
	v_bfe_u32 v6, v2, 23, 8
	v_cmp_gt_u32_e64 s[28:29], s46, v6
	v_sub_u32_e32 v2, 0x71, v6
	v_cmp_eq_u32_e32 vcc, 0, v6
	v_cndmask_b32_e64 v2, 0, v2, s[28:29]
	v_mov_b32_e32 v15, 0x70
	v_cndmask_b32_e32 v15, v2, v15, vcc
	v_or_b32_e32 v18, 0x800000, v0
	v_add_u32_e32 v2, 21, v15
	v_cndmask_b32_e32 v0, v18, v0, vcc
	v_lshlrev_b64 v[18:19], v2, -1
	v_add_u32_e32 v2, 20, v15
	v_bfi_b32 v18, v18, 0, v0
	v_lshlrev_b64 v[20:21], v2, 1
	v_lshrrev_b64 v[0:1], v15, v[0:1]
	v_bfi_b32 v19, v19, 0, 0
	v_cmp_eq_u64_e64 s[28:29], v[18:19], v[20:21]
	v_mov_b32_e32 v2, v1
	v_mov_b32_e32 v1, v0
	s_and_saveexec_b64 s[48:49], s[28:29]
; %bb.15927:                            ;   in Loop: Header=BB4_15069 Depth=3
	v_bfe_u32 v1, v0, 21, 1
	v_add_co_u32_e64 v1, s[28:29], v0, v1
	v_add_co_u32_e64 v1, s[28:29], -1, v1
; %bb.15928:                            ;   in Loop: Header=BB4_15069 Depth=3
	s_or_b64 exec, exec, s[48:49]
	v_add_u32_e32 v2, 0xffffff81, v6
	v_mov_b32_e32 v6, 0xffffff82
	v_cndmask_b32_e32 v2, v2, v6, vcc
	v_lshrrev_b32_e32 v6, 23, v0
	v_add3_u32 v15, v15, v2, v6
	v_add_u32_e32 v6, 14, v15
	v_and_b32_e32 v1, 0x1fffff, v1
	v_add_u32_e32 v0, v1, v0
	v_mov_b32_e32 v1, v17
	v_cmp_ne_u32_e32 vcc, 0, v6
                                        ; implicit-def: $vgpr2
	s_and_saveexec_b64 s[28:29], vcc
	s_xor_b64 s[28:29], exec, s[28:29]
; %bb.15929:                            ;   in Loop: Header=BB4_15069 Depth=3
	v_cmp_lt_u64_e32 vcc, s[88:89], v[0:1]
	v_add_u32_e32 v2, 15, v15
	v_cndmask_b32_e32 v2, v6, v2, vcc
	v_cndmask_b32_e64 v6, 0, 1, vcc
	v_lshrrev_b64 v[0:1], v6, v[0:1]
; %bb.15930:                            ;   in Loop: Header=BB4_15069 Depth=3
	s_andn2_saveexec_b64 s[28:29], s[28:29]
; %bb.15931:                            ;   in Loop: Header=BB4_15069 Depth=3
	v_bfe_u32 v2, v0, 23, 1
; %bb.15932:                            ;   in Loop: Header=BB4_15069 Depth=3
	s_or_b64 exec, exec, s[28:29]
	v_lshrrev_b64 v[0:1], 21, v[0:1]
	v_cmp_gt_i32_e32 vcc, 32, v2
	v_cndmask_b32_e32 v1, 0, v1, vcc
	v_cndmask_b32_e32 v0, 3, v0, vcc
	v_cmp_ne_u64_e32 vcc, 0, v[0:1]
	v_cmp_ne_u32_e64 s[28:29], 0, v2
	s_or_b64 s[28:29], s[28:29], vcc
                                        ; implicit-def: $vgpr6
	s_and_saveexec_b64 vcc, s[28:29]
	s_xor_b64 s[28:29], exec, vcc
; %bb.15933:                            ;   in Loop: Header=BB4_15069 Depth=3
	v_min_i32_e32 v1, 31, v2
	v_lshl_or_b32 v1, v1, 2, v7
	v_and_or_b32 v6, v0, 3, v1
                                        ; implicit-def: $vgpr7
; %bb.15934:                            ;   in Loop: Header=BB4_15069 Depth=3
	s_andn2_saveexec_b64 s[28:29], s[28:29]
; %bb.15935:                            ;   in Loop: Header=BB4_15069 Depth=3
	v_mov_b32_e32 v6, v7
; %bb.15936:                            ;   in Loop: Header=BB4_15069 Depth=3
	s_or_b64 exec, exec, s[28:29]
.LBB4_15937:                            ;   in Loop: Header=BB4_15069 Depth=3
	s_or_b64 exec, exec, s[38:39]
                                        ; implicit-def: $vgpr7
.LBB4_15938:                            ;   in Loop: Header=BB4_15069 Depth=3
	s_andn2_saveexec_b64 s[28:29], s[36:37]
; %bb.15939:                            ;   in Loop: Header=BB4_15069 Depth=3
	v_or_b32_e32 v6, 0x7b, v7
; %bb.15940:                            ;   in Loop: Header=BB4_15069 Depth=3
	s_or_b64 exec, exec, s[28:29]
                                        ; implicit-def: $vgpr2
                                        ; implicit-def: $vgpr0_vgpr1
.LBB4_15941:                            ;   in Loop: Header=BB4_15069 Depth=3
	s_andn2_saveexec_b64 s[28:29], s[34:35]
	s_cbranch_execz .LBB4_15947
; %bb.15942:                            ;   in Loop: Header=BB4_15069 Depth=3
	v_cmp_ne_u64_e32 vcc, 0, v[0:1]
                                        ; implicit-def: $vgpr6
	s_and_saveexec_b64 s[34:35], vcc
	s_xor_b64 vcc, exec, s[34:35]
; %bb.15943:                            ;   in Loop: Header=BB4_15069 Depth=3
	v_or_b32_sdwa v6, v2, s47 dst_sel:DWORD dst_unused:UNUSED_PAD src0_sel:BYTE_3 src1_sel:DWORD
                                        ; implicit-def: $vgpr2
; %bb.15944:                            ;   in Loop: Header=BB4_15069 Depth=3
	s_andn2_saveexec_b64 s[34:35], vcc
; %bb.15945:                            ;   in Loop: Header=BB4_15069 Depth=3
	v_cmp_lt_i32_e32 vcc, -1, v2
	v_cndmask_b32_e32 v6, -4, v52, vcc
; %bb.15946:                            ;   in Loop: Header=BB4_15069 Depth=3
	s_or_b64 exec, exec, s[34:35]
.LBB4_15947:                            ;   in Loop: Header=BB4_15069 Depth=3
	s_or_b64 exec, exec, s[28:29]
	v_and_b32_e32 v7, 0xff, v44
	v_cmp_ne_u16_e32 vcc, 0, v7
	v_mov_b32_e32 v0, 0
	v_mov_b32_e32 v1, 0
	s_and_saveexec_b64 s[28:29], vcc
	s_cbranch_execz .LBB4_15955
; %bb.15948:                            ;   in Loop: Header=BB4_15069 Depth=3
	v_cmp_ne_u16_e32 vcc, s96, v7
	v_bfrev_b32_e32 v1, 1
	s_and_saveexec_b64 s[34:35], vcc
	s_cbranch_execz .LBB4_15954
; %bb.15949:                            ;   in Loop: Header=BB4_15069 Depth=3
	v_and_b32_e32 v1, 0x7c, v44
	v_and_b32_e32 v2, 3, v44
	v_cmp_ne_u32_e32 vcc, s85, v1
                                        ; implicit-def: $vgpr1
	s_and_saveexec_b64 s[36:37], vcc
	s_xor_b64 s[36:37], exec, s[36:37]
	s_cbranch_execz .LBB4_15951
; %bb.15950:                            ;   in Loop: Header=BB4_15069 Depth=3
	v_bfe_u32 v1, v7, 2, 5
	v_ffbh_u32_e32 v7, v2
	v_min_u32_e32 v7, 32, v7
	v_mov_b32_e32 v45, v17
	v_subrev_u32_e32 v15, 29, v7
	v_lshlrev_b64 v[18:19], v15, v[44:45]
	v_sub_u32_e32 v7, 30, v7
	v_cmp_eq_u32_e32 vcc, 0, v1
	v_cndmask_b32_e32 v1, v1, v7, vcc
	v_lshlrev_b32_e32 v7, 24, v44
	v_and_b32_e32 v15, 3, v18
	v_and_b32_e32 v7, 0x80000000, v7
	v_cndmask_b32_e32 v2, v2, v15, vcc
	v_lshl_add_u32 v1, v1, 23, v7
	v_lshl_or_b32 v1, v2, 21, v1
	v_add_u32_e32 v1, 0x38000000, v1
                                        ; implicit-def: $vgpr2
                                        ; implicit-def: $vgpr44
.LBB4_15951:                            ;   in Loop: Header=BB4_15069 Depth=3
	s_andn2_saveexec_b64 s[36:37], s[36:37]
; %bb.15952:                            ;   in Loop: Header=BB4_15069 Depth=3
	v_mov_b32_e32 v1, -1
	v_cmp_gt_i16_sdwa vcc, sext(v44), v1 src0_sel:BYTE_0 src1_sel:DWORD
	v_mov_b32_e32 v1, 0xff800000
	v_mov_b32_e32 v7, 0x7f800000
	v_cndmask_b32_e32 v1, v1, v7, vcc
	v_cmp_eq_u32_e32 vcc, 0, v2
	v_mov_b32_e32 v2, 0x7f800001
	v_cndmask_b32_e32 v1, v2, v1, vcc
; %bb.15953:                            ;   in Loop: Header=BB4_15069 Depth=3
	s_or_b64 exec, exec, s[36:37]
.LBB4_15954:                            ;   in Loop: Header=BB4_15069 Depth=3
	s_or_b64 exec, exec, s[34:35]
.LBB4_15955:                            ;   in Loop: Header=BB4_15069 Depth=3
	s_or_b64 exec, exec, s[28:29]
	v_cmp_ne_u16_e32 vcc, 0, v26
	s_and_saveexec_b64 s[28:29], vcc
	s_cbranch_execz .LBB4_15963
; %bb.15956:                            ;   in Loop: Header=BB4_15069 Depth=3
	v_cmp_ne_u16_e32 vcc, s97, v26
	v_bfrev_b32_e32 v0, 1
	s_and_saveexec_b64 s[34:35], vcc
	s_cbranch_execz .LBB4_15962
; %bb.15957:                            ;   in Loop: Header=BB4_15069 Depth=3
	v_and_b32_e32 v0, 0x7c, v26
	v_and_b32_e32 v2, 3, v26
	v_cmp_ne_u32_e32 vcc, s85, v0
                                        ; implicit-def: $vgpr0
	s_and_saveexec_b64 s[36:37], vcc
	s_xor_b64 s[36:37], exec, s[36:37]
	s_cbranch_execz .LBB4_15959
; %bb.15958:                            ;   in Loop: Header=BB4_15069 Depth=3
	v_ffbh_u32_e32 v7, v2
	v_min_u32_e32 v7, 32, v7
	v_and_b32_e32 v0, 0xff, v26
	v_mov_b32_e32 v27, v17
	v_subrev_u32_e32 v15, 29, v7
	v_bfe_u32 v0, v0, 2, 5
	v_lshlrev_b64 v[18:19], v15, v[26:27]
	v_sub_u32_e32 v7, 30, v7
	v_cmp_eq_u32_e32 vcc, 0, v0
	v_and_b32_e32 v15, 3, v18
	v_cndmask_b32_e32 v0, v0, v7, vcc
	v_and_b32_sdwa v7, sext(v26), s86 dst_sel:DWORD dst_unused:UNUSED_PAD src0_sel:WORD_0 src1_sel:DWORD
	v_cndmask_b32_e32 v2, v2, v15, vcc
	v_lshl_add_u32 v0, v0, 23, v7
	v_lshl_or_b32 v0, v2, 21, v0
	v_add_u32_e32 v0, 0x38000000, v0
                                        ; implicit-def: $vgpr2
                                        ; implicit-def: $vgpr26
.LBB4_15959:                            ;   in Loop: Header=BB4_15069 Depth=3
	s_andn2_saveexec_b64 s[36:37], s[36:37]
; %bb.15960:                            ;   in Loop: Header=BB4_15069 Depth=3
	v_cmp_lt_i16_e32 vcc, -1, v26
	v_mov_b32_e32 v0, 0xff800000
	v_mov_b32_e32 v7, 0x7f800000
	v_cndmask_b32_e32 v0, v0, v7, vcc
	v_cmp_eq_u32_e32 vcc, 0, v2
	v_mov_b32_e32 v2, 0x7f800001
	v_cndmask_b32_e32 v0, v2, v0, vcc
; %bb.15961:                            ;   in Loop: Header=BB4_15069 Depth=3
	s_or_b64 exec, exec, s[36:37]
.LBB4_15962:                            ;   in Loop: Header=BB4_15069 Depth=3
	s_or_b64 exec, exec, s[34:35]
.LBB4_15963:                            ;   in Loop: Header=BB4_15069 Depth=3
	s_or_b64 exec, exec, s[28:29]
	v_add_f32_e32 v2, v1, v0
	v_and_b32_e32 v18, 0x7f800000, v2
	v_mov_b32_e32 v19, v17
	v_cmp_ne_u64_e32 vcc, s[76:77], v[18:19]
	v_and_b32_e32 v0, 0x7fffff, v2
	v_mov_b32_e32 v1, v17
                                        ; implicit-def: $vgpr7
	s_and_saveexec_b64 s[28:29], vcc
	s_xor_b64 s[34:35], exec, s[28:29]
	s_cbranch_execz .LBB4_15981
; %bb.15964:                            ;   in Loop: Header=BB4_15069 Depth=3
	v_and_b32_e32 v18, 0x7fffffff, v2
	v_mov_b32_e32 v19, v17
	v_cmp_gt_u64_e32 vcc, s[78:79], v[18:19]
	v_and_b32_sdwa v15, v2, s96 dst_sel:DWORD dst_unused:UNUSED_PAD src0_sel:BYTE_3 src1_sel:DWORD
                                        ; implicit-def: $vgpr7
	s_and_saveexec_b64 s[28:29], vcc
	s_xor_b64 s[36:37], exec, s[28:29]
	s_cbranch_execz .LBB4_15978
; %bb.15965:                            ;   in Loop: Header=BB4_15069 Depth=3
	v_cmp_ne_u32_e32 vcc, 0, v2
	v_mov_b32_e32 v7, 0
	s_and_saveexec_b64 s[38:39], vcc
	s_cbranch_execz .LBB4_15977
; %bb.15966:                            ;   in Loop: Header=BB4_15069 Depth=3
	v_bfe_u32 v7, v2, 23, 8
	v_cmp_gt_u32_e64 s[28:29], s46, v7
	v_sub_u32_e32 v2, 0x71, v7
	v_cmp_eq_u32_e32 vcc, 0, v7
	v_cndmask_b32_e64 v2, 0, v2, s[28:29]
	v_mov_b32_e32 v18, 0x70
	v_cndmask_b32_e32 v18, v2, v18, vcc
	v_or_b32_e32 v19, 0x800000, v0
	v_add_u32_e32 v2, 21, v18
	v_cndmask_b32_e32 v0, v19, v0, vcc
	v_lshlrev_b64 v[19:20], v2, -1
	v_add_u32_e32 v2, 20, v18
	v_bfi_b32 v19, v19, 0, v0
	v_lshlrev_b64 v[25:26], v2, 1
	v_lshrrev_b64 v[0:1], v18, v[0:1]
	v_bfi_b32 v20, v20, 0, 0
	v_cmp_eq_u64_e64 s[28:29], v[19:20], v[25:26]
	v_mov_b32_e32 v2, v1
	v_mov_b32_e32 v1, v0
	s_and_saveexec_b64 s[48:49], s[28:29]
; %bb.15967:                            ;   in Loop: Header=BB4_15069 Depth=3
	v_bfe_u32 v1, v0, 21, 1
	v_add_co_u32_e64 v1, s[28:29], v0, v1
	v_add_co_u32_e64 v1, s[28:29], -1, v1
; %bb.15968:                            ;   in Loop: Header=BB4_15069 Depth=3
	s_or_b64 exec, exec, s[48:49]
	v_add_u32_e32 v2, 0xffffff81, v7
	v_mov_b32_e32 v7, 0xffffff82
	v_cndmask_b32_e32 v2, v2, v7, vcc
	v_lshrrev_b32_e32 v7, 23, v0
	v_add3_u32 v18, v18, v2, v7
	v_add_u32_e32 v7, 14, v18
	v_and_b32_e32 v1, 0x1fffff, v1
	v_add_u32_e32 v0, v1, v0
	v_mov_b32_e32 v1, v17
	v_cmp_ne_u32_e32 vcc, 0, v7
                                        ; implicit-def: $vgpr2
	s_and_saveexec_b64 s[28:29], vcc
	s_xor_b64 s[28:29], exec, s[28:29]
; %bb.15969:                            ;   in Loop: Header=BB4_15069 Depth=3
	v_cmp_lt_u64_e32 vcc, s[88:89], v[0:1]
	v_add_u32_e32 v2, 15, v18
	v_cndmask_b32_e32 v2, v7, v2, vcc
	v_cndmask_b32_e64 v7, 0, 1, vcc
	v_lshrrev_b64 v[0:1], v7, v[0:1]
; %bb.15970:                            ;   in Loop: Header=BB4_15069 Depth=3
	s_andn2_saveexec_b64 s[28:29], s[28:29]
; %bb.15971:                            ;   in Loop: Header=BB4_15069 Depth=3
	v_bfe_u32 v2, v0, 23, 1
; %bb.15972:                            ;   in Loop: Header=BB4_15069 Depth=3
	s_or_b64 exec, exec, s[28:29]
	v_lshrrev_b64 v[0:1], 21, v[0:1]
	v_cmp_gt_i32_e32 vcc, 32, v2
	v_cndmask_b32_e32 v1, 0, v1, vcc
	v_cndmask_b32_e32 v0, 3, v0, vcc
	v_cmp_ne_u64_e32 vcc, 0, v[0:1]
	v_cmp_ne_u32_e64 s[28:29], 0, v2
	s_or_b64 s[28:29], s[28:29], vcc
                                        ; implicit-def: $vgpr7
	s_and_saveexec_b64 vcc, s[28:29]
	s_xor_b64 s[28:29], exec, vcc
; %bb.15973:                            ;   in Loop: Header=BB4_15069 Depth=3
	v_min_i32_e32 v1, 31, v2
	v_lshl_or_b32 v1, v1, 2, v15
	v_and_or_b32 v7, v0, 3, v1
                                        ; implicit-def: $vgpr15
; %bb.15974:                            ;   in Loop: Header=BB4_15069 Depth=3
	s_andn2_saveexec_b64 s[28:29], s[28:29]
; %bb.15975:                            ;   in Loop: Header=BB4_15069 Depth=3
	v_mov_b32_e32 v7, v15
; %bb.15976:                            ;   in Loop: Header=BB4_15069 Depth=3
	s_or_b64 exec, exec, s[28:29]
.LBB4_15977:                            ;   in Loop: Header=BB4_15069 Depth=3
	s_or_b64 exec, exec, s[38:39]
                                        ; implicit-def: $vgpr15
.LBB4_15978:                            ;   in Loop: Header=BB4_15069 Depth=3
	s_andn2_saveexec_b64 s[28:29], s[36:37]
; %bb.15979:                            ;   in Loop: Header=BB4_15069 Depth=3
	v_or_b32_e32 v7, 0x7b, v15
; %bb.15980:                            ;   in Loop: Header=BB4_15069 Depth=3
	s_or_b64 exec, exec, s[28:29]
                                        ; implicit-def: $vgpr2
                                        ; implicit-def: $vgpr0_vgpr1
.LBB4_15981:                            ;   in Loop: Header=BB4_15069 Depth=3
	s_andn2_saveexec_b64 s[28:29], s[34:35]
	s_cbranch_execz .LBB4_15987
; %bb.15982:                            ;   in Loop: Header=BB4_15069 Depth=3
	v_cmp_ne_u64_e32 vcc, 0, v[0:1]
                                        ; implicit-def: $vgpr7
	s_and_saveexec_b64 s[34:35], vcc
	s_xor_b64 vcc, exec, s[34:35]
; %bb.15983:                            ;   in Loop: Header=BB4_15069 Depth=3
	v_or_b32_sdwa v7, v2, s47 dst_sel:DWORD dst_unused:UNUSED_PAD src0_sel:BYTE_3 src1_sel:DWORD
                                        ; implicit-def: $vgpr2
; %bb.15984:                            ;   in Loop: Header=BB4_15069 Depth=3
	s_andn2_saveexec_b64 s[34:35], vcc
; %bb.15985:                            ;   in Loop: Header=BB4_15069 Depth=3
	v_cmp_lt_i32_e32 vcc, -1, v2
	v_cndmask_b32_e32 v7, -4, v52, vcc
; %bb.15986:                            ;   in Loop: Header=BB4_15069 Depth=3
	s_or_b64 exec, exec, s[34:35]
.LBB4_15987:                            ;   in Loop: Header=BB4_15069 Depth=3
	s_or_b64 exec, exec, s[28:29]
	v_and_b32_e32 v15, 0xff, v43
	v_cmp_ne_u16_e32 vcc, 0, v15
	v_mov_b32_e32 v0, 0
	v_mov_b32_e32 v1, 0
	s_and_saveexec_b64 s[28:29], vcc
	s_cbranch_execz .LBB4_15995
; %bb.15988:                            ;   in Loop: Header=BB4_15069 Depth=3
	v_cmp_ne_u16_e32 vcc, s96, v15
	v_bfrev_b32_e32 v1, 1
	s_and_saveexec_b64 s[34:35], vcc
	s_cbranch_execz .LBB4_15994
; %bb.15989:                            ;   in Loop: Header=BB4_15069 Depth=3
	v_and_b32_e32 v1, 0x7c, v43
	v_and_b32_e32 v2, 3, v43
	v_cmp_ne_u32_e32 vcc, s85, v1
                                        ; implicit-def: $vgpr1
	s_and_saveexec_b64 s[36:37], vcc
	s_xor_b64 s[36:37], exec, s[36:37]
	s_cbranch_execz .LBB4_15991
; %bb.15990:                            ;   in Loop: Header=BB4_15069 Depth=3
	v_bfe_u32 v1, v15, 2, 5
	v_ffbh_u32_e32 v15, v2
	v_min_u32_e32 v15, 32, v15
	v_mov_b32_e32 v44, v17
	v_subrev_u32_e32 v18, 29, v15
	v_lshlrev_b64 v[18:19], v18, v[43:44]
	v_sub_u32_e32 v15, 30, v15
	v_cmp_eq_u32_e32 vcc, 0, v1
	v_cndmask_b32_e32 v1, v1, v15, vcc
	v_lshlrev_b32_e32 v15, 24, v43
	v_and_b32_e32 v18, 3, v18
	v_and_b32_e32 v15, 0x80000000, v15
	v_cndmask_b32_e32 v2, v2, v18, vcc
	v_lshl_add_u32 v1, v1, 23, v15
	v_lshl_or_b32 v1, v2, 21, v1
	v_add_u32_e32 v1, 0x38000000, v1
                                        ; implicit-def: $vgpr2
                                        ; implicit-def: $vgpr43
.LBB4_15991:                            ;   in Loop: Header=BB4_15069 Depth=3
	s_andn2_saveexec_b64 s[36:37], s[36:37]
; %bb.15992:                            ;   in Loop: Header=BB4_15069 Depth=3
	v_mov_b32_e32 v1, -1
	v_cmp_gt_i16_sdwa vcc, sext(v43), v1 src0_sel:BYTE_0 src1_sel:DWORD
	v_mov_b32_e32 v1, 0xff800000
	v_mov_b32_e32 v15, 0x7f800000
	v_cndmask_b32_e32 v1, v1, v15, vcc
	v_cmp_eq_u32_e32 vcc, 0, v2
	v_mov_b32_e32 v2, 0x7f800001
	v_cndmask_b32_e32 v1, v2, v1, vcc
; %bb.15993:                            ;   in Loop: Header=BB4_15069 Depth=3
	s_or_b64 exec, exec, s[36:37]
.LBB4_15994:                            ;   in Loop: Header=BB4_15069 Depth=3
	s_or_b64 exec, exec, s[34:35]
.LBB4_15995:                            ;   in Loop: Header=BB4_15069 Depth=3
	s_or_b64 exec, exec, s[28:29]
	v_cmp_ne_u16_e32 vcc, 0, v56
	s_and_saveexec_b64 s[28:29], vcc
	s_cbranch_execz .LBB4_16003
; %bb.15996:                            ;   in Loop: Header=BB4_15069 Depth=3
	v_cmp_ne_u16_e32 vcc, s97, v56
	v_bfrev_b32_e32 v0, 1
	s_and_saveexec_b64 s[34:35], vcc
	s_cbranch_execz .LBB4_16002
; %bb.15997:                            ;   in Loop: Header=BB4_15069 Depth=3
	v_and_b32_e32 v0, 0x7c, v56
	v_and_b32_e32 v2, 3, v56
	v_cmp_ne_u32_e32 vcc, s85, v0
                                        ; implicit-def: $vgpr0
	s_and_saveexec_b64 s[36:37], vcc
	s_xor_b64 s[36:37], exec, s[36:37]
	s_cbranch_execz .LBB4_15999
; %bb.15998:                            ;   in Loop: Header=BB4_15069 Depth=3
	v_ffbh_u32_e32 v15, v2
	v_min_u32_e32 v15, 32, v15
	v_and_b32_e32 v0, 0xff, v56
	v_mov_b32_e32 v57, v17
	v_subrev_u32_e32 v18, 29, v15
	v_bfe_u32 v0, v0, 2, 5
	v_lshlrev_b64 v[18:19], v18, v[56:57]
	v_sub_u32_e32 v15, 30, v15
	v_cmp_eq_u32_e32 vcc, 0, v0
	v_and_b32_e32 v18, 3, v18
	v_cndmask_b32_e32 v0, v0, v15, vcc
	v_and_b32_sdwa v15, sext(v56), s86 dst_sel:DWORD dst_unused:UNUSED_PAD src0_sel:WORD_0 src1_sel:DWORD
	v_cndmask_b32_e32 v2, v2, v18, vcc
	v_lshl_add_u32 v0, v0, 23, v15
	v_lshl_or_b32 v0, v2, 21, v0
	v_add_u32_e32 v0, 0x38000000, v0
                                        ; implicit-def: $vgpr2
                                        ; implicit-def: $vgpr56
.LBB4_15999:                            ;   in Loop: Header=BB4_15069 Depth=3
	s_andn2_saveexec_b64 s[36:37], s[36:37]
; %bb.16000:                            ;   in Loop: Header=BB4_15069 Depth=3
	v_cmp_lt_i16_e32 vcc, -1, v56
	v_mov_b32_e32 v0, 0xff800000
	v_mov_b32_e32 v15, 0x7f800000
	v_cndmask_b32_e32 v0, v0, v15, vcc
	v_cmp_eq_u32_e32 vcc, 0, v2
	v_mov_b32_e32 v2, 0x7f800001
	v_cndmask_b32_e32 v0, v2, v0, vcc
; %bb.16001:                            ;   in Loop: Header=BB4_15069 Depth=3
	s_or_b64 exec, exec, s[36:37]
.LBB4_16002:                            ;   in Loop: Header=BB4_15069 Depth=3
	s_or_b64 exec, exec, s[34:35]
.LBB4_16003:                            ;   in Loop: Header=BB4_15069 Depth=3
	s_or_b64 exec, exec, s[28:29]
	v_add_f32_e32 v2, v1, v0
	v_and_b32_e32 v18, 0x7f800000, v2
	v_mov_b32_e32 v19, v17
	v_cmp_ne_u64_e32 vcc, s[76:77], v[18:19]
	v_and_b32_e32 v0, 0x7fffff, v2
	v_mov_b32_e32 v1, v17
                                        ; implicit-def: $vgpr18
	s_and_saveexec_b64 s[28:29], vcc
	s_xor_b64 s[34:35], exec, s[28:29]
	s_cbranch_execz .LBB4_16021
; %bb.16004:                            ;   in Loop: Header=BB4_15069 Depth=3
	v_and_b32_e32 v18, 0x7fffffff, v2
	v_mov_b32_e32 v19, v17
	v_cmp_gt_u64_e32 vcc, s[78:79], v[18:19]
	v_and_b32_sdwa v15, v2, s96 dst_sel:DWORD dst_unused:UNUSED_PAD src0_sel:BYTE_3 src1_sel:DWORD
                                        ; implicit-def: $vgpr18
	s_and_saveexec_b64 s[28:29], vcc
	s_xor_b64 s[36:37], exec, s[28:29]
	s_cbranch_execz .LBB4_16018
; %bb.16005:                            ;   in Loop: Header=BB4_15069 Depth=3
	v_cmp_ne_u32_e32 vcc, 0, v2
	v_mov_b32_e32 v18, 0
	s_and_saveexec_b64 s[38:39], vcc
	s_cbranch_execz .LBB4_16017
; %bb.16006:                            ;   in Loop: Header=BB4_15069 Depth=3
	v_bfe_u32 v18, v2, 23, 8
	v_cmp_gt_u32_e64 s[28:29], s46, v18
	v_sub_u32_e32 v2, 0x71, v18
	v_cmp_eq_u32_e32 vcc, 0, v18
	v_cndmask_b32_e64 v2, 0, v2, s[28:29]
	v_mov_b32_e32 v19, 0x70
	v_cndmask_b32_e32 v19, v2, v19, vcc
	v_or_b32_e32 v20, 0x800000, v0
	v_add_u32_e32 v2, 21, v19
	v_cndmask_b32_e32 v0, v20, v0, vcc
	v_lshlrev_b64 v[20:21], v2, -1
	v_add_u32_e32 v2, 20, v19
	v_bfi_b32 v20, v20, 0, v0
	v_lshlrev_b64 v[25:26], v2, 1
	v_lshrrev_b64 v[0:1], v19, v[0:1]
	v_bfi_b32 v21, v21, 0, 0
	v_cmp_eq_u64_e64 s[28:29], v[20:21], v[25:26]
	v_mov_b32_e32 v2, v1
	v_mov_b32_e32 v1, v0
	s_and_saveexec_b64 s[48:49], s[28:29]
; %bb.16007:                            ;   in Loop: Header=BB4_15069 Depth=3
	v_bfe_u32 v1, v0, 21, 1
	v_add_co_u32_e64 v1, s[28:29], v0, v1
	v_add_co_u32_e64 v1, s[28:29], -1, v1
; %bb.16008:                            ;   in Loop: Header=BB4_15069 Depth=3
	s_or_b64 exec, exec, s[48:49]
	v_add_u32_e32 v2, 0xffffff81, v18
	v_mov_b32_e32 v18, 0xffffff82
	v_cndmask_b32_e32 v2, v2, v18, vcc
	v_lshrrev_b32_e32 v18, 23, v0
	v_add3_u32 v19, v19, v2, v18
	v_add_u32_e32 v18, 14, v19
	v_and_b32_e32 v1, 0x1fffff, v1
	v_add_u32_e32 v0, v1, v0
	v_mov_b32_e32 v1, v17
	v_cmp_ne_u32_e32 vcc, 0, v18
                                        ; implicit-def: $vgpr2
	s_and_saveexec_b64 s[28:29], vcc
	s_xor_b64 s[28:29], exec, s[28:29]
; %bb.16009:                            ;   in Loop: Header=BB4_15069 Depth=3
	v_cmp_lt_u64_e32 vcc, s[88:89], v[0:1]
	v_add_u32_e32 v2, 15, v19
	v_cndmask_b32_e32 v2, v18, v2, vcc
	v_cndmask_b32_e64 v18, 0, 1, vcc
	v_lshrrev_b64 v[0:1], v18, v[0:1]
; %bb.16010:                            ;   in Loop: Header=BB4_15069 Depth=3
	s_andn2_saveexec_b64 s[28:29], s[28:29]
; %bb.16011:                            ;   in Loop: Header=BB4_15069 Depth=3
	v_bfe_u32 v2, v0, 23, 1
; %bb.16012:                            ;   in Loop: Header=BB4_15069 Depth=3
	s_or_b64 exec, exec, s[28:29]
	v_lshrrev_b64 v[0:1], 21, v[0:1]
	v_cmp_gt_i32_e32 vcc, 32, v2
	v_cndmask_b32_e32 v1, 0, v1, vcc
	v_cndmask_b32_e32 v0, 3, v0, vcc
	v_cmp_ne_u64_e32 vcc, 0, v[0:1]
	v_cmp_ne_u32_e64 s[28:29], 0, v2
	s_or_b64 s[28:29], s[28:29], vcc
                                        ; implicit-def: $vgpr18
	s_and_saveexec_b64 vcc, s[28:29]
	s_xor_b64 s[28:29], exec, vcc
; %bb.16013:                            ;   in Loop: Header=BB4_15069 Depth=3
	v_min_i32_e32 v1, 31, v2
	v_lshl_or_b32 v1, v1, 2, v15
	v_and_or_b32 v18, v0, 3, v1
                                        ; implicit-def: $vgpr15
; %bb.16014:                            ;   in Loop: Header=BB4_15069 Depth=3
	s_andn2_saveexec_b64 s[28:29], s[28:29]
; %bb.16015:                            ;   in Loop: Header=BB4_15069 Depth=3
	v_mov_b32_e32 v18, v15
; %bb.16016:                            ;   in Loop: Header=BB4_15069 Depth=3
	s_or_b64 exec, exec, s[28:29]
.LBB4_16017:                            ;   in Loop: Header=BB4_15069 Depth=3
	s_or_b64 exec, exec, s[38:39]
                                        ; implicit-def: $vgpr15
.LBB4_16018:                            ;   in Loop: Header=BB4_15069 Depth=3
	s_andn2_saveexec_b64 s[28:29], s[36:37]
; %bb.16019:                            ;   in Loop: Header=BB4_15069 Depth=3
	v_or_b32_e32 v18, 0x7b, v15
; %bb.16020:                            ;   in Loop: Header=BB4_15069 Depth=3
	s_or_b64 exec, exec, s[28:29]
                                        ; implicit-def: $vgpr2
                                        ; implicit-def: $vgpr0_vgpr1
.LBB4_16021:                            ;   in Loop: Header=BB4_15069 Depth=3
	s_andn2_saveexec_b64 s[28:29], s[34:35]
	s_cbranch_execz .LBB4_16027
; %bb.16022:                            ;   in Loop: Header=BB4_15069 Depth=3
	v_cmp_ne_u64_e32 vcc, 0, v[0:1]
                                        ; implicit-def: $vgpr18
	s_and_saveexec_b64 s[34:35], vcc
	s_xor_b64 vcc, exec, s[34:35]
; %bb.16023:                            ;   in Loop: Header=BB4_15069 Depth=3
	v_or_b32_sdwa v18, v2, s47 dst_sel:DWORD dst_unused:UNUSED_PAD src0_sel:BYTE_3 src1_sel:DWORD
                                        ; implicit-def: $vgpr2
; %bb.16024:                            ;   in Loop: Header=BB4_15069 Depth=3
	s_andn2_saveexec_b64 s[34:35], vcc
; %bb.16025:                            ;   in Loop: Header=BB4_15069 Depth=3
	v_cmp_lt_i32_e32 vcc, -1, v2
	v_cndmask_b32_e32 v18, -4, v52, vcc
; %bb.16026:                            ;   in Loop: Header=BB4_15069 Depth=3
	s_or_b64 exec, exec, s[34:35]
.LBB4_16027:                            ;   in Loop: Header=BB4_15069 Depth=3
	s_or_b64 exec, exec, s[28:29]
	v_and_b32_e32 v15, 0xff, v42
	v_cmp_ne_u16_e32 vcc, 0, v15
	v_mov_b32_e32 v0, 0
	v_mov_b32_e32 v1, 0
	s_and_saveexec_b64 s[28:29], vcc
	s_cbranch_execz .LBB4_16035
; %bb.16028:                            ;   in Loop: Header=BB4_15069 Depth=3
	v_cmp_ne_u16_e32 vcc, s96, v15
	v_bfrev_b32_e32 v1, 1
	s_and_saveexec_b64 s[34:35], vcc
	s_cbranch_execz .LBB4_16034
; %bb.16029:                            ;   in Loop: Header=BB4_15069 Depth=3
	v_and_b32_e32 v1, 0x7c, v42
	v_and_b32_e32 v2, 3, v42
	v_cmp_ne_u32_e32 vcc, s85, v1
                                        ; implicit-def: $vgpr1
	s_and_saveexec_b64 s[36:37], vcc
	s_xor_b64 s[36:37], exec, s[36:37]
	s_cbranch_execz .LBB4_16031
; %bb.16030:                            ;   in Loop: Header=BB4_15069 Depth=3
	v_bfe_u32 v1, v15, 2, 5
	v_ffbh_u32_e32 v15, v2
	v_min_u32_e32 v15, 32, v15
	v_mov_b32_e32 v43, v17
	v_subrev_u32_e32 v19, 29, v15
	v_lshlrev_b64 v[19:20], v19, v[42:43]
	v_sub_u32_e32 v15, 30, v15
	v_cmp_eq_u32_e32 vcc, 0, v1
	v_cndmask_b32_e32 v1, v1, v15, vcc
	v_lshlrev_b32_e32 v15, 24, v42
	v_and_b32_e32 v19, 3, v19
	v_and_b32_e32 v15, 0x80000000, v15
	v_cndmask_b32_e32 v2, v2, v19, vcc
	v_lshl_add_u32 v1, v1, 23, v15
	v_lshl_or_b32 v1, v2, 21, v1
	v_add_u32_e32 v1, 0x38000000, v1
                                        ; implicit-def: $vgpr2
                                        ; implicit-def: $vgpr42
.LBB4_16031:                            ;   in Loop: Header=BB4_15069 Depth=3
	s_andn2_saveexec_b64 s[36:37], s[36:37]
; %bb.16032:                            ;   in Loop: Header=BB4_15069 Depth=3
	v_mov_b32_e32 v1, -1
	v_cmp_gt_i16_sdwa vcc, sext(v42), v1 src0_sel:BYTE_0 src1_sel:DWORD
	v_mov_b32_e32 v1, 0xff800000
	v_mov_b32_e32 v15, 0x7f800000
	v_cndmask_b32_e32 v1, v1, v15, vcc
	v_cmp_eq_u32_e32 vcc, 0, v2
	v_mov_b32_e32 v2, 0x7f800001
	v_cndmask_b32_e32 v1, v2, v1, vcc
; %bb.16033:                            ;   in Loop: Header=BB4_15069 Depth=3
	s_or_b64 exec, exec, s[36:37]
.LBB4_16034:                            ;   in Loop: Header=BB4_15069 Depth=3
	s_or_b64 exec, exec, s[34:35]
.LBB4_16035:                            ;   in Loop: Header=BB4_15069 Depth=3
	s_or_b64 exec, exec, s[28:29]
	v_cmp_ne_u16_e32 vcc, 0, v38
	s_and_saveexec_b64 s[28:29], vcc
	s_cbranch_execz .LBB4_16043
; %bb.16036:                            ;   in Loop: Header=BB4_15069 Depth=3
	v_cmp_ne_u16_e32 vcc, s97, v38
	v_bfrev_b32_e32 v0, 1
	s_and_saveexec_b64 s[34:35], vcc
	s_cbranch_execz .LBB4_16042
; %bb.16037:                            ;   in Loop: Header=BB4_15069 Depth=3
	v_and_b32_e32 v0, 0x7c, v38
	v_and_b32_e32 v2, 3, v38
	v_cmp_ne_u32_e32 vcc, s85, v0
                                        ; implicit-def: $vgpr0
	s_and_saveexec_b64 s[36:37], vcc
	s_xor_b64 s[36:37], exec, s[36:37]
	s_cbranch_execz .LBB4_16039
; %bb.16038:                            ;   in Loop: Header=BB4_15069 Depth=3
	v_ffbh_u32_e32 v15, v2
	v_min_u32_e32 v15, 32, v15
	v_and_b32_e32 v0, 0xff, v38
	v_mov_b32_e32 v39, v17
	v_subrev_u32_e32 v19, 29, v15
	v_bfe_u32 v0, v0, 2, 5
	v_lshlrev_b64 v[19:20], v19, v[38:39]
	v_sub_u32_e32 v15, 30, v15
	v_cmp_eq_u32_e32 vcc, 0, v0
	v_and_b32_e32 v19, 3, v19
	v_cndmask_b32_e32 v0, v0, v15, vcc
	v_and_b32_sdwa v15, sext(v38), s86 dst_sel:DWORD dst_unused:UNUSED_PAD src0_sel:WORD_0 src1_sel:DWORD
	v_cndmask_b32_e32 v2, v2, v19, vcc
	v_lshl_add_u32 v0, v0, 23, v15
	v_lshl_or_b32 v0, v2, 21, v0
	v_add_u32_e32 v0, 0x38000000, v0
                                        ; implicit-def: $vgpr2
                                        ; implicit-def: $vgpr38
.LBB4_16039:                            ;   in Loop: Header=BB4_15069 Depth=3
	s_andn2_saveexec_b64 s[36:37], s[36:37]
; %bb.16040:                            ;   in Loop: Header=BB4_15069 Depth=3
	v_cmp_lt_i16_e32 vcc, -1, v38
	v_mov_b32_e32 v0, 0xff800000
	v_mov_b32_e32 v15, 0x7f800000
	v_cndmask_b32_e32 v0, v0, v15, vcc
	v_cmp_eq_u32_e32 vcc, 0, v2
	v_mov_b32_e32 v2, 0x7f800001
	v_cndmask_b32_e32 v0, v2, v0, vcc
; %bb.16041:                            ;   in Loop: Header=BB4_15069 Depth=3
	s_or_b64 exec, exec, s[36:37]
.LBB4_16042:                            ;   in Loop: Header=BB4_15069 Depth=3
	s_or_b64 exec, exec, s[34:35]
.LBB4_16043:                            ;   in Loop: Header=BB4_15069 Depth=3
	s_or_b64 exec, exec, s[28:29]
	v_add_f32_e32 v2, v1, v0
	v_and_b32_e32 v19, 0x7f800000, v2
	v_mov_b32_e32 v20, v17
	v_cmp_ne_u64_e32 vcc, s[76:77], v[19:20]
	v_and_b32_e32 v0, 0x7fffff, v2
	v_mov_b32_e32 v1, v17
                                        ; implicit-def: $vgpr19
	s_and_saveexec_b64 s[28:29], vcc
	s_xor_b64 s[34:35], exec, s[28:29]
	s_cbranch_execz .LBB4_16061
; %bb.16044:                            ;   in Loop: Header=BB4_15069 Depth=3
	v_and_b32_e32 v19, 0x7fffffff, v2
	v_mov_b32_e32 v20, v17
	v_cmp_gt_u64_e32 vcc, s[78:79], v[19:20]
	v_and_b32_sdwa v15, v2, s96 dst_sel:DWORD dst_unused:UNUSED_PAD src0_sel:BYTE_3 src1_sel:DWORD
                                        ; implicit-def: $vgpr19
	s_and_saveexec_b64 s[28:29], vcc
	s_xor_b64 s[36:37], exec, s[28:29]
	s_cbranch_execz .LBB4_16058
; %bb.16045:                            ;   in Loop: Header=BB4_15069 Depth=3
	v_cmp_ne_u32_e32 vcc, 0, v2
	v_mov_b32_e32 v19, 0
	s_and_saveexec_b64 s[38:39], vcc
	s_cbranch_execz .LBB4_16057
; %bb.16046:                            ;   in Loop: Header=BB4_15069 Depth=3
	v_bfe_u32 v19, v2, 23, 8
	v_cmp_gt_u32_e64 s[28:29], s46, v19
	v_sub_u32_e32 v2, 0x71, v19
	v_cmp_eq_u32_e32 vcc, 0, v19
	v_cndmask_b32_e64 v2, 0, v2, s[28:29]
	v_mov_b32_e32 v20, 0x70
	v_cndmask_b32_e32 v20, v2, v20, vcc
	v_add_u32_e32 v2, 21, v20
	v_or_b32_e32 v21, 0x800000, v0
	v_lshlrev_b64 v[25:26], v2, -1
	v_cndmask_b32_e32 v0, v21, v0, vcc
	v_add_u32_e32 v2, 20, v20
	v_bfi_b32 v25, v25, 0, v0
	v_lshlrev_b64 v[30:31], v2, 1
	v_lshrrev_b64 v[0:1], v20, v[0:1]
	v_bfi_b32 v26, v26, 0, 0
	v_cmp_eq_u64_e64 s[28:29], v[25:26], v[30:31]
	v_mov_b32_e32 v2, v1
	v_mov_b32_e32 v1, v0
	s_and_saveexec_b64 s[48:49], s[28:29]
; %bb.16047:                            ;   in Loop: Header=BB4_15069 Depth=3
	v_bfe_u32 v1, v0, 21, 1
	v_add_co_u32_e64 v1, s[28:29], v0, v1
	v_add_co_u32_e64 v1, s[28:29], -1, v1
; %bb.16048:                            ;   in Loop: Header=BB4_15069 Depth=3
	s_or_b64 exec, exec, s[48:49]
	v_add_u32_e32 v2, 0xffffff81, v19
	v_mov_b32_e32 v19, 0xffffff82
	v_cndmask_b32_e32 v2, v2, v19, vcc
	v_lshrrev_b32_e32 v19, 23, v0
	v_add3_u32 v20, v20, v2, v19
	v_add_u32_e32 v19, 14, v20
	v_and_b32_e32 v1, 0x1fffff, v1
	v_add_u32_e32 v0, v1, v0
	v_mov_b32_e32 v1, v17
	v_cmp_ne_u32_e32 vcc, 0, v19
                                        ; implicit-def: $vgpr2
	s_and_saveexec_b64 s[28:29], vcc
	s_xor_b64 s[28:29], exec, s[28:29]
; %bb.16049:                            ;   in Loop: Header=BB4_15069 Depth=3
	v_cmp_lt_u64_e32 vcc, s[88:89], v[0:1]
	v_add_u32_e32 v2, 15, v20
	v_cndmask_b32_e32 v2, v19, v2, vcc
	v_cndmask_b32_e64 v19, 0, 1, vcc
	v_lshrrev_b64 v[0:1], v19, v[0:1]
; %bb.16050:                            ;   in Loop: Header=BB4_15069 Depth=3
	s_andn2_saveexec_b64 s[28:29], s[28:29]
; %bb.16051:                            ;   in Loop: Header=BB4_15069 Depth=3
	v_bfe_u32 v2, v0, 23, 1
; %bb.16052:                            ;   in Loop: Header=BB4_15069 Depth=3
	s_or_b64 exec, exec, s[28:29]
	v_lshrrev_b64 v[0:1], 21, v[0:1]
	v_cmp_gt_i32_e32 vcc, 32, v2
	v_cndmask_b32_e32 v1, 0, v1, vcc
	v_cndmask_b32_e32 v0, 3, v0, vcc
	v_cmp_ne_u64_e32 vcc, 0, v[0:1]
	v_cmp_ne_u32_e64 s[28:29], 0, v2
	s_or_b64 s[28:29], s[28:29], vcc
                                        ; implicit-def: $vgpr19
	s_and_saveexec_b64 vcc, s[28:29]
	s_xor_b64 s[28:29], exec, vcc
; %bb.16053:                            ;   in Loop: Header=BB4_15069 Depth=3
	v_min_i32_e32 v1, 31, v2
	v_lshl_or_b32 v1, v1, 2, v15
	v_and_or_b32 v19, v0, 3, v1
                                        ; implicit-def: $vgpr15
; %bb.16054:                            ;   in Loop: Header=BB4_15069 Depth=3
	s_andn2_saveexec_b64 s[28:29], s[28:29]
; %bb.16055:                            ;   in Loop: Header=BB4_15069 Depth=3
	v_mov_b32_e32 v19, v15
; %bb.16056:                            ;   in Loop: Header=BB4_15069 Depth=3
	s_or_b64 exec, exec, s[28:29]
.LBB4_16057:                            ;   in Loop: Header=BB4_15069 Depth=3
	s_or_b64 exec, exec, s[38:39]
                                        ; implicit-def: $vgpr15
.LBB4_16058:                            ;   in Loop: Header=BB4_15069 Depth=3
	s_andn2_saveexec_b64 s[28:29], s[36:37]
; %bb.16059:                            ;   in Loop: Header=BB4_15069 Depth=3
	v_or_b32_e32 v19, 0x7b, v15
; %bb.16060:                            ;   in Loop: Header=BB4_15069 Depth=3
	s_or_b64 exec, exec, s[28:29]
                                        ; implicit-def: $vgpr2
                                        ; implicit-def: $vgpr0_vgpr1
.LBB4_16061:                            ;   in Loop: Header=BB4_15069 Depth=3
	s_andn2_saveexec_b64 s[28:29], s[34:35]
	s_cbranch_execz .LBB4_16067
; %bb.16062:                            ;   in Loop: Header=BB4_15069 Depth=3
	v_cmp_ne_u64_e32 vcc, 0, v[0:1]
                                        ; implicit-def: $vgpr19
	s_and_saveexec_b64 s[34:35], vcc
	s_xor_b64 vcc, exec, s[34:35]
; %bb.16063:                            ;   in Loop: Header=BB4_15069 Depth=3
	v_or_b32_sdwa v19, v2, s47 dst_sel:DWORD dst_unused:UNUSED_PAD src0_sel:BYTE_3 src1_sel:DWORD
                                        ; implicit-def: $vgpr2
; %bb.16064:                            ;   in Loop: Header=BB4_15069 Depth=3
	s_andn2_saveexec_b64 s[34:35], vcc
; %bb.16065:                            ;   in Loop: Header=BB4_15069 Depth=3
	v_cmp_lt_i32_e32 vcc, -1, v2
	v_cndmask_b32_e32 v19, -4, v52, vcc
; %bb.16066:                            ;   in Loop: Header=BB4_15069 Depth=3
	s_or_b64 exec, exec, s[34:35]
.LBB4_16067:                            ;   in Loop: Header=BB4_15069 Depth=3
	s_or_b64 exec, exec, s[28:29]
	v_and_b32_e32 v15, 0xff, v41
	v_cmp_ne_u16_e32 vcc, 0, v15
	v_mov_b32_e32 v0, 0
	v_mov_b32_e32 v1, 0
	s_and_saveexec_b64 s[28:29], vcc
	s_cbranch_execz .LBB4_16075
; %bb.16068:                            ;   in Loop: Header=BB4_15069 Depth=3
	v_cmp_ne_u16_e32 vcc, s96, v15
	v_bfrev_b32_e32 v1, 1
	s_and_saveexec_b64 s[34:35], vcc
	s_cbranch_execz .LBB4_16074
; %bb.16069:                            ;   in Loop: Header=BB4_15069 Depth=3
	v_and_b32_e32 v1, 0x7c, v41
	v_and_b32_e32 v2, 3, v41
	v_cmp_ne_u32_e32 vcc, s85, v1
                                        ; implicit-def: $vgpr1
	s_and_saveexec_b64 s[36:37], vcc
	s_xor_b64 s[36:37], exec, s[36:37]
	s_cbranch_execz .LBB4_16071
; %bb.16070:                            ;   in Loop: Header=BB4_15069 Depth=3
	v_bfe_u32 v1, v15, 2, 5
	v_ffbh_u32_e32 v15, v2
	v_min_u32_e32 v15, 32, v15
	v_mov_b32_e32 v42, v17
	v_subrev_u32_e32 v20, 29, v15
	v_lshlrev_b64 v[20:21], v20, v[41:42]
	v_sub_u32_e32 v15, 30, v15
	v_cmp_eq_u32_e32 vcc, 0, v1
	v_cndmask_b32_e32 v1, v1, v15, vcc
	v_lshlrev_b32_e32 v15, 24, v41
	v_and_b32_e32 v20, 3, v20
	v_and_b32_e32 v15, 0x80000000, v15
	v_cndmask_b32_e32 v2, v2, v20, vcc
	v_lshl_add_u32 v1, v1, 23, v15
	v_lshl_or_b32 v1, v2, 21, v1
	v_add_u32_e32 v1, 0x38000000, v1
                                        ; implicit-def: $vgpr2
                                        ; implicit-def: $vgpr41
.LBB4_16071:                            ;   in Loop: Header=BB4_15069 Depth=3
	s_andn2_saveexec_b64 s[36:37], s[36:37]
; %bb.16072:                            ;   in Loop: Header=BB4_15069 Depth=3
	v_mov_b32_e32 v1, -1
	v_cmp_gt_i16_sdwa vcc, sext(v41), v1 src0_sel:BYTE_0 src1_sel:DWORD
	v_mov_b32_e32 v1, 0xff800000
	v_mov_b32_e32 v15, 0x7f800000
	v_cndmask_b32_e32 v1, v1, v15, vcc
	v_cmp_eq_u32_e32 vcc, 0, v2
	v_mov_b32_e32 v2, 0x7f800001
	v_cndmask_b32_e32 v1, v2, v1, vcc
; %bb.16073:                            ;   in Loop: Header=BB4_15069 Depth=3
	s_or_b64 exec, exec, s[36:37]
.LBB4_16074:                            ;   in Loop: Header=BB4_15069 Depth=3
	s_or_b64 exec, exec, s[34:35]
.LBB4_16075:                            ;   in Loop: Header=BB4_15069 Depth=3
	s_or_b64 exec, exec, s[28:29]
	v_cmp_ne_u16_e32 vcc, 0, v55
	s_and_saveexec_b64 s[28:29], vcc
	s_cbranch_execz .LBB4_16083
; %bb.16076:                            ;   in Loop: Header=BB4_15069 Depth=3
	v_cmp_ne_u16_e32 vcc, s97, v55
	v_bfrev_b32_e32 v0, 1
	s_and_saveexec_b64 s[34:35], vcc
	s_cbranch_execz .LBB4_16082
; %bb.16077:                            ;   in Loop: Header=BB4_15069 Depth=3
	v_and_b32_e32 v0, 0x7c, v55
	v_and_b32_e32 v2, 3, v55
	v_cmp_ne_u32_e32 vcc, s85, v0
                                        ; implicit-def: $vgpr0
	s_and_saveexec_b64 s[36:37], vcc
	s_xor_b64 s[36:37], exec, s[36:37]
	s_cbranch_execz .LBB4_16079
; %bb.16078:                            ;   in Loop: Header=BB4_15069 Depth=3
	v_ffbh_u32_e32 v15, v2
	v_min_u32_e32 v15, 32, v15
	v_and_b32_e32 v0, 0xff, v55
	v_mov_b32_e32 v56, v17
	v_subrev_u32_e32 v20, 29, v15
	v_bfe_u32 v0, v0, 2, 5
	v_lshlrev_b64 v[20:21], v20, v[55:56]
	v_sub_u32_e32 v15, 30, v15
	v_cmp_eq_u32_e32 vcc, 0, v0
	v_and_b32_e32 v20, 3, v20
	v_cndmask_b32_e32 v0, v0, v15, vcc
	v_and_b32_sdwa v15, sext(v55), s86 dst_sel:DWORD dst_unused:UNUSED_PAD src0_sel:WORD_0 src1_sel:DWORD
	v_cndmask_b32_e32 v2, v2, v20, vcc
	v_lshl_add_u32 v0, v0, 23, v15
	v_lshl_or_b32 v0, v2, 21, v0
	v_add_u32_e32 v0, 0x38000000, v0
                                        ; implicit-def: $vgpr2
                                        ; implicit-def: $vgpr55
.LBB4_16079:                            ;   in Loop: Header=BB4_15069 Depth=3
	s_andn2_saveexec_b64 s[36:37], s[36:37]
; %bb.16080:                            ;   in Loop: Header=BB4_15069 Depth=3
	v_cmp_lt_i16_e32 vcc, -1, v55
	v_mov_b32_e32 v0, 0xff800000
	v_mov_b32_e32 v15, 0x7f800000
	v_cndmask_b32_e32 v0, v0, v15, vcc
	v_cmp_eq_u32_e32 vcc, 0, v2
	v_mov_b32_e32 v2, 0x7f800001
	v_cndmask_b32_e32 v0, v2, v0, vcc
; %bb.16081:                            ;   in Loop: Header=BB4_15069 Depth=3
	s_or_b64 exec, exec, s[36:37]
.LBB4_16082:                            ;   in Loop: Header=BB4_15069 Depth=3
	s_or_b64 exec, exec, s[34:35]
.LBB4_16083:                            ;   in Loop: Header=BB4_15069 Depth=3
	s_or_b64 exec, exec, s[28:29]
	v_add_f32_e32 v2, v1, v0
	v_and_b32_e32 v20, 0x7f800000, v2
	v_mov_b32_e32 v21, v17
	v_cmp_ne_u64_e32 vcc, s[76:77], v[20:21]
	v_and_b32_e32 v0, 0x7fffff, v2
	v_mov_b32_e32 v1, v17
                                        ; implicit-def: $vgpr20
	s_and_saveexec_b64 s[28:29], vcc
	s_xor_b64 s[34:35], exec, s[28:29]
	s_cbranch_execz .LBB4_16101
; %bb.16084:                            ;   in Loop: Header=BB4_15069 Depth=3
	v_and_b32_e32 v20, 0x7fffffff, v2
	v_mov_b32_e32 v21, v17
	v_cmp_gt_u64_e32 vcc, s[78:79], v[20:21]
	v_and_b32_sdwa v15, v2, s96 dst_sel:DWORD dst_unused:UNUSED_PAD src0_sel:BYTE_3 src1_sel:DWORD
                                        ; implicit-def: $vgpr20
	s_and_saveexec_b64 s[28:29], vcc
	s_xor_b64 s[36:37], exec, s[28:29]
	s_cbranch_execz .LBB4_16098
; %bb.16085:                            ;   in Loop: Header=BB4_15069 Depth=3
	v_cmp_ne_u32_e32 vcc, 0, v2
	v_mov_b32_e32 v20, 0
	s_and_saveexec_b64 s[38:39], vcc
	s_cbranch_execz .LBB4_16097
; %bb.16086:                            ;   in Loop: Header=BB4_15069 Depth=3
	v_bfe_u32 v20, v2, 23, 8
	v_cmp_gt_u32_e64 s[28:29], s46, v20
	v_sub_u32_e32 v2, 0x71, v20
	v_cmp_eq_u32_e32 vcc, 0, v20
	v_cndmask_b32_e64 v2, 0, v2, s[28:29]
	v_mov_b32_e32 v21, 0x70
	v_cndmask_b32_e32 v21, v2, v21, vcc
	v_or_b32_e32 v25, 0x800000, v0
	v_add_u32_e32 v2, 21, v21
	v_cndmask_b32_e32 v0, v25, v0, vcc
	v_lshlrev_b64 v[25:26], v2, -1
	v_add_u32_e32 v2, 20, v21
	v_bfi_b32 v25, v25, 0, v0
	v_lshlrev_b64 v[30:31], v2, 1
	v_lshrrev_b64 v[0:1], v21, v[0:1]
	v_bfi_b32 v26, v26, 0, 0
	v_cmp_eq_u64_e64 s[28:29], v[25:26], v[30:31]
	v_mov_b32_e32 v2, v1
	v_mov_b32_e32 v1, v0
	s_and_saveexec_b64 s[48:49], s[28:29]
; %bb.16087:                            ;   in Loop: Header=BB4_15069 Depth=3
	v_bfe_u32 v1, v0, 21, 1
	v_add_co_u32_e64 v1, s[28:29], v0, v1
	v_add_co_u32_e64 v1, s[28:29], -1, v1
; %bb.16088:                            ;   in Loop: Header=BB4_15069 Depth=3
	s_or_b64 exec, exec, s[48:49]
	v_add_u32_e32 v2, 0xffffff81, v20
	v_mov_b32_e32 v20, 0xffffff82
	v_cndmask_b32_e32 v2, v2, v20, vcc
	v_lshrrev_b32_e32 v20, 23, v0
	v_add3_u32 v21, v21, v2, v20
	v_add_u32_e32 v20, 14, v21
	v_and_b32_e32 v1, 0x1fffff, v1
	v_add_u32_e32 v0, v1, v0
	v_mov_b32_e32 v1, v17
	v_cmp_ne_u32_e32 vcc, 0, v20
                                        ; implicit-def: $vgpr2
	s_and_saveexec_b64 s[28:29], vcc
	s_xor_b64 s[28:29], exec, s[28:29]
; %bb.16089:                            ;   in Loop: Header=BB4_15069 Depth=3
	v_cmp_lt_u64_e32 vcc, s[88:89], v[0:1]
	v_add_u32_e32 v2, 15, v21
	v_cndmask_b32_e32 v2, v20, v2, vcc
	v_cndmask_b32_e64 v20, 0, 1, vcc
	v_lshrrev_b64 v[0:1], v20, v[0:1]
; %bb.16090:                            ;   in Loop: Header=BB4_15069 Depth=3
	s_andn2_saveexec_b64 s[28:29], s[28:29]
; %bb.16091:                            ;   in Loop: Header=BB4_15069 Depth=3
	v_bfe_u32 v2, v0, 23, 1
; %bb.16092:                            ;   in Loop: Header=BB4_15069 Depth=3
	s_or_b64 exec, exec, s[28:29]
	v_lshrrev_b64 v[0:1], 21, v[0:1]
	v_cmp_gt_i32_e32 vcc, 32, v2
	v_cndmask_b32_e32 v1, 0, v1, vcc
	v_cndmask_b32_e32 v0, 3, v0, vcc
	v_cmp_ne_u64_e32 vcc, 0, v[0:1]
	v_cmp_ne_u32_e64 s[28:29], 0, v2
	s_or_b64 s[28:29], s[28:29], vcc
                                        ; implicit-def: $vgpr20
	s_and_saveexec_b64 vcc, s[28:29]
	s_xor_b64 s[28:29], exec, vcc
; %bb.16093:                            ;   in Loop: Header=BB4_15069 Depth=3
	v_min_i32_e32 v1, 31, v2
	v_lshl_or_b32 v1, v1, 2, v15
	v_and_or_b32 v20, v0, 3, v1
                                        ; implicit-def: $vgpr15
; %bb.16094:                            ;   in Loop: Header=BB4_15069 Depth=3
	s_andn2_saveexec_b64 s[28:29], s[28:29]
; %bb.16095:                            ;   in Loop: Header=BB4_15069 Depth=3
	v_mov_b32_e32 v20, v15
; %bb.16096:                            ;   in Loop: Header=BB4_15069 Depth=3
	s_or_b64 exec, exec, s[28:29]
.LBB4_16097:                            ;   in Loop: Header=BB4_15069 Depth=3
	s_or_b64 exec, exec, s[38:39]
                                        ; implicit-def: $vgpr15
.LBB4_16098:                            ;   in Loop: Header=BB4_15069 Depth=3
	s_andn2_saveexec_b64 s[28:29], s[36:37]
; %bb.16099:                            ;   in Loop: Header=BB4_15069 Depth=3
	v_or_b32_e32 v20, 0x7b, v15
; %bb.16100:                            ;   in Loop: Header=BB4_15069 Depth=3
	s_or_b64 exec, exec, s[28:29]
                                        ; implicit-def: $vgpr2
                                        ; implicit-def: $vgpr0_vgpr1
.LBB4_16101:                            ;   in Loop: Header=BB4_15069 Depth=3
	s_andn2_saveexec_b64 s[28:29], s[34:35]
	s_cbranch_execz .LBB4_16107
; %bb.16102:                            ;   in Loop: Header=BB4_15069 Depth=3
	v_cmp_ne_u64_e32 vcc, 0, v[0:1]
                                        ; implicit-def: $vgpr20
	s_and_saveexec_b64 s[34:35], vcc
	s_xor_b64 vcc, exec, s[34:35]
; %bb.16103:                            ;   in Loop: Header=BB4_15069 Depth=3
	v_or_b32_sdwa v20, v2, s47 dst_sel:DWORD dst_unused:UNUSED_PAD src0_sel:BYTE_3 src1_sel:DWORD
                                        ; implicit-def: $vgpr2
; %bb.16104:                            ;   in Loop: Header=BB4_15069 Depth=3
	s_andn2_saveexec_b64 s[34:35], vcc
; %bb.16105:                            ;   in Loop: Header=BB4_15069 Depth=3
	v_cmp_lt_i32_e32 vcc, -1, v2
	v_cndmask_b32_e32 v20, -4, v52, vcc
; %bb.16106:                            ;   in Loop: Header=BB4_15069 Depth=3
	s_or_b64 exec, exec, s[34:35]
.LBB4_16107:                            ;   in Loop: Header=BB4_15069 Depth=3
	s_or_b64 exec, exec, s[28:29]
	v_and_b32_e32 v15, 0xff, v40
	v_cmp_ne_u16_e32 vcc, 0, v15
	v_mov_b32_e32 v0, 0
	v_mov_b32_e32 v1, 0
	s_and_saveexec_b64 s[28:29], vcc
	s_cbranch_execz .LBB4_16115
; %bb.16108:                            ;   in Loop: Header=BB4_15069 Depth=3
	v_cmp_ne_u16_e32 vcc, s96, v15
	v_bfrev_b32_e32 v1, 1
	s_and_saveexec_b64 s[34:35], vcc
	s_cbranch_execz .LBB4_16114
; %bb.16109:                            ;   in Loop: Header=BB4_15069 Depth=3
	v_and_b32_e32 v1, 0x7c, v40
	v_and_b32_e32 v2, 3, v40
	v_cmp_ne_u32_e32 vcc, s85, v1
                                        ; implicit-def: $vgpr1
	s_and_saveexec_b64 s[36:37], vcc
	s_xor_b64 s[36:37], exec, s[36:37]
	s_cbranch_execz .LBB4_16111
; %bb.16110:                            ;   in Loop: Header=BB4_15069 Depth=3
	v_bfe_u32 v1, v15, 2, 5
	v_ffbh_u32_e32 v15, v2
	v_min_u32_e32 v15, 32, v15
	v_mov_b32_e32 v41, v17
	v_subrev_u32_e32 v21, 29, v15
	v_lshlrev_b64 v[25:26], v21, v[40:41]
	v_sub_u32_e32 v15, 30, v15
	v_cmp_eq_u32_e32 vcc, 0, v1
	v_cndmask_b32_e32 v1, v1, v15, vcc
	v_lshlrev_b32_e32 v15, 24, v40
	v_and_b32_e32 v21, 3, v25
	v_and_b32_e32 v15, 0x80000000, v15
	v_cndmask_b32_e32 v2, v2, v21, vcc
	v_lshl_add_u32 v1, v1, 23, v15
	v_lshl_or_b32 v1, v2, 21, v1
	v_add_u32_e32 v1, 0x38000000, v1
                                        ; implicit-def: $vgpr2
                                        ; implicit-def: $vgpr40
.LBB4_16111:                            ;   in Loop: Header=BB4_15069 Depth=3
	s_andn2_saveexec_b64 s[36:37], s[36:37]
; %bb.16112:                            ;   in Loop: Header=BB4_15069 Depth=3
	v_mov_b32_e32 v1, -1
	v_cmp_gt_i16_sdwa vcc, sext(v40), v1 src0_sel:BYTE_0 src1_sel:DWORD
	v_mov_b32_e32 v1, 0xff800000
	v_mov_b32_e32 v15, 0x7f800000
	v_cndmask_b32_e32 v1, v1, v15, vcc
	v_cmp_eq_u32_e32 vcc, 0, v2
	v_mov_b32_e32 v2, 0x7f800001
	v_cndmask_b32_e32 v1, v2, v1, vcc
; %bb.16113:                            ;   in Loop: Header=BB4_15069 Depth=3
	s_or_b64 exec, exec, s[36:37]
.LBB4_16114:                            ;   in Loop: Header=BB4_15069 Depth=3
	s_or_b64 exec, exec, s[34:35]
.LBB4_16115:                            ;   in Loop: Header=BB4_15069 Depth=3
	s_or_b64 exec, exec, s[28:29]
	v_cmp_ne_u16_e32 vcc, 0, v36
	s_and_saveexec_b64 s[28:29], vcc
	s_cbranch_execz .LBB4_16123
; %bb.16116:                            ;   in Loop: Header=BB4_15069 Depth=3
	v_cmp_ne_u16_e32 vcc, s97, v36
	v_bfrev_b32_e32 v0, 1
	s_and_saveexec_b64 s[34:35], vcc
	s_cbranch_execz .LBB4_16122
; %bb.16117:                            ;   in Loop: Header=BB4_15069 Depth=3
	v_and_b32_e32 v0, 0x7c, v36
	v_and_b32_e32 v2, 3, v36
	v_cmp_ne_u32_e32 vcc, s85, v0
                                        ; implicit-def: $vgpr0
	s_and_saveexec_b64 s[36:37], vcc
	s_xor_b64 s[36:37], exec, s[36:37]
	s_cbranch_execz .LBB4_16119
; %bb.16118:                            ;   in Loop: Header=BB4_15069 Depth=3
	v_ffbh_u32_e32 v15, v2
	v_min_u32_e32 v15, 32, v15
	v_and_b32_e32 v0, 0xff, v36
	v_mov_b32_e32 v37, v17
	v_subrev_u32_e32 v21, 29, v15
	v_bfe_u32 v0, v0, 2, 5
	v_lshlrev_b64 v[25:26], v21, v[36:37]
	v_sub_u32_e32 v15, 30, v15
	v_cmp_eq_u32_e32 vcc, 0, v0
	v_and_b32_e32 v21, 3, v25
	v_cndmask_b32_e32 v0, v0, v15, vcc
	v_and_b32_sdwa v15, sext(v36), s86 dst_sel:DWORD dst_unused:UNUSED_PAD src0_sel:WORD_0 src1_sel:DWORD
	v_cndmask_b32_e32 v2, v2, v21, vcc
	v_lshl_add_u32 v0, v0, 23, v15
	v_lshl_or_b32 v0, v2, 21, v0
	v_add_u32_e32 v0, 0x38000000, v0
                                        ; implicit-def: $vgpr2
                                        ; implicit-def: $vgpr36
.LBB4_16119:                            ;   in Loop: Header=BB4_15069 Depth=3
	s_andn2_saveexec_b64 s[36:37], s[36:37]
; %bb.16120:                            ;   in Loop: Header=BB4_15069 Depth=3
	v_cmp_lt_i16_e32 vcc, -1, v36
	v_mov_b32_e32 v0, 0xff800000
	v_mov_b32_e32 v15, 0x7f800000
	v_cndmask_b32_e32 v0, v0, v15, vcc
	v_cmp_eq_u32_e32 vcc, 0, v2
	v_mov_b32_e32 v2, 0x7f800001
	v_cndmask_b32_e32 v0, v2, v0, vcc
; %bb.16121:                            ;   in Loop: Header=BB4_15069 Depth=3
	s_or_b64 exec, exec, s[36:37]
.LBB4_16122:                            ;   in Loop: Header=BB4_15069 Depth=3
	s_or_b64 exec, exec, s[34:35]
.LBB4_16123:                            ;   in Loop: Header=BB4_15069 Depth=3
	s_or_b64 exec, exec, s[28:29]
	v_add_f32_e32 v2, v1, v0
	v_and_b32_e32 v25, 0x7f800000, v2
	v_mov_b32_e32 v26, v17
	v_cmp_ne_u64_e32 vcc, s[76:77], v[25:26]
	v_and_b32_e32 v0, 0x7fffff, v2
	v_mov_b32_e32 v1, v17
                                        ; implicit-def: $vgpr21
	s_and_saveexec_b64 s[28:29], vcc
	s_xor_b64 s[34:35], exec, s[28:29]
	s_cbranch_execz .LBB4_16141
; %bb.16124:                            ;   in Loop: Header=BB4_15069 Depth=3
	v_and_b32_e32 v25, 0x7fffffff, v2
	v_mov_b32_e32 v26, v17
	v_cmp_gt_u64_e32 vcc, s[78:79], v[25:26]
	v_and_b32_sdwa v15, v2, s96 dst_sel:DWORD dst_unused:UNUSED_PAD src0_sel:BYTE_3 src1_sel:DWORD
                                        ; implicit-def: $vgpr21
	s_and_saveexec_b64 s[28:29], vcc
	s_xor_b64 s[36:37], exec, s[28:29]
	s_cbranch_execz .LBB4_16138
; %bb.16125:                            ;   in Loop: Header=BB4_15069 Depth=3
	v_cmp_ne_u32_e32 vcc, 0, v2
	v_mov_b32_e32 v21, 0
	s_and_saveexec_b64 s[38:39], vcc
	s_cbranch_execz .LBB4_16137
; %bb.16126:                            ;   in Loop: Header=BB4_15069 Depth=3
	v_bfe_u32 v21, v2, 23, 8
	v_cmp_gt_u32_e64 s[28:29], s46, v21
	v_sub_u32_e32 v2, 0x71, v21
	v_cmp_eq_u32_e32 vcc, 0, v21
	v_cndmask_b32_e64 v2, 0, v2, s[28:29]
	v_mov_b32_e32 v25, 0x70
	v_cndmask_b32_e32 v25, v2, v25, vcc
	v_or_b32_e32 v26, 0x800000, v0
	v_add_u32_e32 v2, 21, v25
	v_cndmask_b32_e32 v0, v26, v0, vcc
	v_lshlrev_b64 v[26:27], v2, -1
	v_add_u32_e32 v2, 20, v25
	v_bfi_b32 v26, v26, 0, v0
	v_lshlrev_b64 v[30:31], v2, 1
	v_lshrrev_b64 v[0:1], v25, v[0:1]
	v_bfi_b32 v27, v27, 0, 0
	v_cmp_eq_u64_e64 s[28:29], v[26:27], v[30:31]
	v_mov_b32_e32 v2, v1
	v_mov_b32_e32 v1, v0
	s_and_saveexec_b64 s[48:49], s[28:29]
; %bb.16127:                            ;   in Loop: Header=BB4_15069 Depth=3
	v_bfe_u32 v1, v0, 21, 1
	v_add_co_u32_e64 v1, s[28:29], v0, v1
	v_add_co_u32_e64 v1, s[28:29], -1, v1
; %bb.16128:                            ;   in Loop: Header=BB4_15069 Depth=3
	s_or_b64 exec, exec, s[48:49]
	v_add_u32_e32 v2, 0xffffff81, v21
	v_mov_b32_e32 v21, 0xffffff82
	v_cndmask_b32_e32 v2, v2, v21, vcc
	v_lshrrev_b32_e32 v21, 23, v0
	v_add3_u32 v25, v25, v2, v21
	v_add_u32_e32 v21, 14, v25
	v_and_b32_e32 v1, 0x1fffff, v1
	v_add_u32_e32 v0, v1, v0
	v_mov_b32_e32 v1, v17
	v_cmp_ne_u32_e32 vcc, 0, v21
                                        ; implicit-def: $vgpr2
	s_and_saveexec_b64 s[28:29], vcc
	s_xor_b64 s[28:29], exec, s[28:29]
; %bb.16129:                            ;   in Loop: Header=BB4_15069 Depth=3
	v_cmp_lt_u64_e32 vcc, s[88:89], v[0:1]
	v_add_u32_e32 v2, 15, v25
	v_cndmask_b32_e32 v2, v21, v2, vcc
	v_cndmask_b32_e64 v21, 0, 1, vcc
	v_lshrrev_b64 v[0:1], v21, v[0:1]
; %bb.16130:                            ;   in Loop: Header=BB4_15069 Depth=3
	s_andn2_saveexec_b64 s[28:29], s[28:29]
; %bb.16131:                            ;   in Loop: Header=BB4_15069 Depth=3
	v_bfe_u32 v2, v0, 23, 1
; %bb.16132:                            ;   in Loop: Header=BB4_15069 Depth=3
	s_or_b64 exec, exec, s[28:29]
	v_lshrrev_b64 v[0:1], 21, v[0:1]
	v_cmp_gt_i32_e32 vcc, 32, v2
	v_cndmask_b32_e32 v1, 0, v1, vcc
	v_cndmask_b32_e32 v0, 3, v0, vcc
	v_cmp_ne_u64_e32 vcc, 0, v[0:1]
	v_cmp_ne_u32_e64 s[28:29], 0, v2
	s_or_b64 s[28:29], s[28:29], vcc
                                        ; implicit-def: $vgpr21
	s_and_saveexec_b64 vcc, s[28:29]
	s_xor_b64 s[28:29], exec, vcc
; %bb.16133:                            ;   in Loop: Header=BB4_15069 Depth=3
	v_min_i32_e32 v1, 31, v2
	v_lshl_or_b32 v1, v1, 2, v15
	v_and_or_b32 v21, v0, 3, v1
                                        ; implicit-def: $vgpr15
; %bb.16134:                            ;   in Loop: Header=BB4_15069 Depth=3
	s_andn2_saveexec_b64 s[28:29], s[28:29]
; %bb.16135:                            ;   in Loop: Header=BB4_15069 Depth=3
	v_mov_b32_e32 v21, v15
; %bb.16136:                            ;   in Loop: Header=BB4_15069 Depth=3
	s_or_b64 exec, exec, s[28:29]
.LBB4_16137:                            ;   in Loop: Header=BB4_15069 Depth=3
	s_or_b64 exec, exec, s[38:39]
                                        ; implicit-def: $vgpr15
.LBB4_16138:                            ;   in Loop: Header=BB4_15069 Depth=3
	s_andn2_saveexec_b64 s[28:29], s[36:37]
; %bb.16139:                            ;   in Loop: Header=BB4_15069 Depth=3
	v_or_b32_e32 v21, 0x7b, v15
; %bb.16140:                            ;   in Loop: Header=BB4_15069 Depth=3
	s_or_b64 exec, exec, s[28:29]
                                        ; implicit-def: $vgpr2
                                        ; implicit-def: $vgpr0_vgpr1
.LBB4_16141:                            ;   in Loop: Header=BB4_15069 Depth=3
	s_andn2_saveexec_b64 s[28:29], s[34:35]
	s_cbranch_execz .LBB4_16147
; %bb.16142:                            ;   in Loop: Header=BB4_15069 Depth=3
	v_cmp_ne_u64_e32 vcc, 0, v[0:1]
                                        ; implicit-def: $vgpr21
	s_and_saveexec_b64 s[34:35], vcc
	s_xor_b64 vcc, exec, s[34:35]
; %bb.16143:                            ;   in Loop: Header=BB4_15069 Depth=3
	v_or_b32_sdwa v21, v2, s47 dst_sel:DWORD dst_unused:UNUSED_PAD src0_sel:BYTE_3 src1_sel:DWORD
                                        ; implicit-def: $vgpr2
; %bb.16144:                            ;   in Loop: Header=BB4_15069 Depth=3
	s_andn2_saveexec_b64 s[34:35], vcc
; %bb.16145:                            ;   in Loop: Header=BB4_15069 Depth=3
	v_cmp_lt_i32_e32 vcc, -1, v2
	v_cndmask_b32_e32 v21, -4, v52, vcc
; %bb.16146:                            ;   in Loop: Header=BB4_15069 Depth=3
	s_or_b64 exec, exec, s[34:35]
.LBB4_16147:                            ;   in Loop: Header=BB4_15069 Depth=3
	s_or_b64 exec, exec, s[28:29]
	v_and_b32_e32 v15, 0xff, v54
	v_cmp_ne_u16_e32 vcc, 0, v15
	v_mov_b32_e32 v0, 0
	v_mov_b32_e32 v1, 0
	s_and_saveexec_b64 s[28:29], vcc
	s_cbranch_execz .LBB4_16155
; %bb.16148:                            ;   in Loop: Header=BB4_15069 Depth=3
	v_cmp_ne_u16_e32 vcc, s96, v15
	v_bfrev_b32_e32 v1, 1
	s_and_saveexec_b64 s[34:35], vcc
	s_cbranch_execz .LBB4_16154
; %bb.16149:                            ;   in Loop: Header=BB4_15069 Depth=3
	v_and_b32_e32 v1, 0x7c, v54
	v_and_b32_e32 v2, 3, v54
	v_cmp_ne_u32_e32 vcc, s85, v1
                                        ; implicit-def: $vgpr1
	s_and_saveexec_b64 s[36:37], vcc
	s_xor_b64 s[36:37], exec, s[36:37]
	s_cbranch_execz .LBB4_16151
; %bb.16150:                            ;   in Loop: Header=BB4_15069 Depth=3
	v_bfe_u32 v1, v15, 2, 5
	v_ffbh_u32_e32 v15, v2
	v_min_u32_e32 v15, 32, v15
	v_mov_b32_e32 v55, v17
	v_subrev_u32_e32 v25, 29, v15
	v_lshlrev_b64 v[25:26], v25, v[54:55]
	v_sub_u32_e32 v15, 30, v15
	v_cmp_eq_u32_e32 vcc, 0, v1
	v_cndmask_b32_e32 v1, v1, v15, vcc
	v_lshlrev_b32_e32 v15, 24, v54
	v_and_b32_e32 v25, 3, v25
	v_and_b32_e32 v15, 0x80000000, v15
	v_cndmask_b32_e32 v2, v2, v25, vcc
	v_lshl_add_u32 v1, v1, 23, v15
	v_lshl_or_b32 v1, v2, 21, v1
	v_add_u32_e32 v1, 0x38000000, v1
                                        ; implicit-def: $vgpr2
                                        ; implicit-def: $vgpr54
.LBB4_16151:                            ;   in Loop: Header=BB4_15069 Depth=3
	s_andn2_saveexec_b64 s[36:37], s[36:37]
; %bb.16152:                            ;   in Loop: Header=BB4_15069 Depth=3
	v_mov_b32_e32 v1, -1
	v_cmp_gt_i16_sdwa vcc, sext(v54), v1 src0_sel:BYTE_0 src1_sel:DWORD
	v_mov_b32_e32 v1, 0xff800000
	v_mov_b32_e32 v15, 0x7f800000
	v_cndmask_b32_e32 v1, v1, v15, vcc
	v_cmp_eq_u32_e32 vcc, 0, v2
	v_mov_b32_e32 v2, 0x7f800001
	v_cndmask_b32_e32 v1, v2, v1, vcc
; %bb.16153:                            ;   in Loop: Header=BB4_15069 Depth=3
	s_or_b64 exec, exec, s[36:37]
.LBB4_16154:                            ;   in Loop: Header=BB4_15069 Depth=3
	s_or_b64 exec, exec, s[34:35]
.LBB4_16155:                            ;   in Loop: Header=BB4_15069 Depth=3
	s_or_b64 exec, exec, s[28:29]
	v_cmp_ne_u16_e32 vcc, 0, v46
	s_and_saveexec_b64 s[28:29], vcc
	s_cbranch_execz .LBB4_16163
; %bb.16156:                            ;   in Loop: Header=BB4_15069 Depth=3
	v_cmp_ne_u16_e32 vcc, s97, v46
	v_bfrev_b32_e32 v0, 1
	s_and_saveexec_b64 s[34:35], vcc
	s_cbranch_execz .LBB4_16162
; %bb.16157:                            ;   in Loop: Header=BB4_15069 Depth=3
	v_and_b32_e32 v0, 0x7c, v46
	v_and_b32_e32 v2, 3, v46
	v_cmp_ne_u32_e32 vcc, s85, v0
                                        ; implicit-def: $vgpr0
	s_and_saveexec_b64 s[36:37], vcc
	s_xor_b64 s[36:37], exec, s[36:37]
	s_cbranch_execz .LBB4_16159
; %bb.16158:                            ;   in Loop: Header=BB4_15069 Depth=3
	v_ffbh_u32_e32 v15, v2
	v_min_u32_e32 v15, 32, v15
	v_mov_b32_e32 v47, v17
	v_subrev_u32_e32 v25, 29, v15
	v_lshlrev_b64 v[25:26], v25, v[46:47]
	buffer_load_dword v47, off, s[0:3], s33 offset:236 ; 4-byte Folded Reload
	v_and_b32_e32 v0, 0xff, v46
	v_bfe_u32 v0, v0, 2, 5
	v_sub_u32_e32 v15, 30, v15
	v_cmp_eq_u32_e32 vcc, 0, v0
	v_and_b32_e32 v25, 3, v25
	v_cndmask_b32_e32 v0, v0, v15, vcc
	v_and_b32_sdwa v15, sext(v46), s86 dst_sel:DWORD dst_unused:UNUSED_PAD src0_sel:WORD_0 src1_sel:DWORD
	v_cndmask_b32_e32 v2, v2, v25, vcc
	v_lshl_add_u32 v0, v0, 23, v15
	v_lshl_or_b32 v0, v2, 21, v0
	v_add_u32_e32 v0, 0x38000000, v0
                                        ; implicit-def: $vgpr2
                                        ; implicit-def: $vgpr46
.LBB4_16159:                            ;   in Loop: Header=BB4_15069 Depth=3
	s_andn2_saveexec_b64 s[36:37], s[36:37]
; %bb.16160:                            ;   in Loop: Header=BB4_15069 Depth=3
	v_cmp_lt_i16_e32 vcc, -1, v46
	v_mov_b32_e32 v0, 0xff800000
	v_mov_b32_e32 v15, 0x7f800000
	v_cndmask_b32_e32 v0, v0, v15, vcc
	v_cmp_eq_u32_e32 vcc, 0, v2
	v_mov_b32_e32 v2, 0x7f800001
	v_cndmask_b32_e32 v0, v2, v0, vcc
; %bb.16161:                            ;   in Loop: Header=BB4_15069 Depth=3
	s_or_b64 exec, exec, s[36:37]
.LBB4_16162:                            ;   in Loop: Header=BB4_15069 Depth=3
	s_or_b64 exec, exec, s[34:35]
.LBB4_16163:                            ;   in Loop: Header=BB4_15069 Depth=3
	s_or_b64 exec, exec, s[28:29]
	v_add_f32_e32 v2, v1, v0
	v_and_b32_e32 v25, 0x7f800000, v2
	v_mov_b32_e32 v26, v17
	v_cmp_ne_u64_e32 vcc, s[76:77], v[25:26]
	v_and_b32_e32 v0, 0x7fffff, v2
	v_mov_b32_e32 v1, v17
                                        ; implicit-def: $vgpr25
	s_and_saveexec_b64 s[28:29], vcc
	s_xor_b64 s[34:35], exec, s[28:29]
	s_cbranch_execz .LBB4_16181
; %bb.16164:                            ;   in Loop: Header=BB4_15069 Depth=3
	v_and_b32_e32 v25, 0x7fffffff, v2
	v_mov_b32_e32 v26, v17
	v_cmp_gt_u64_e32 vcc, s[78:79], v[25:26]
	v_and_b32_sdwa v15, v2, s96 dst_sel:DWORD dst_unused:UNUSED_PAD src0_sel:BYTE_3 src1_sel:DWORD
                                        ; implicit-def: $vgpr25
	s_and_saveexec_b64 s[28:29], vcc
	s_xor_b64 s[36:37], exec, s[28:29]
	s_cbranch_execz .LBB4_16178
; %bb.16165:                            ;   in Loop: Header=BB4_15069 Depth=3
	v_cmp_ne_u32_e32 vcc, 0, v2
	v_mov_b32_e32 v25, 0
	s_and_saveexec_b64 s[38:39], vcc
	s_cbranch_execz .LBB4_16177
; %bb.16166:                            ;   in Loop: Header=BB4_15069 Depth=3
	v_bfe_u32 v25, v2, 23, 8
	v_cmp_gt_u32_e64 s[28:29], s46, v25
	v_sub_u32_e32 v2, 0x71, v25
	v_cmp_eq_u32_e32 vcc, 0, v25
	v_cndmask_b32_e64 v2, 0, v2, s[28:29]
	v_mov_b32_e32 v26, 0x70
	v_cndmask_b32_e32 v26, v2, v26, vcc
	v_add_u32_e32 v2, 21, v26
	v_or_b32_e32 v27, 0x800000, v0
	v_lshlrev_b64 v[30:31], v2, -1
	v_cndmask_b32_e32 v0, v27, v0, vcc
	v_add_u32_e32 v2, 20, v26
	v_bfi_b32 v30, v30, 0, v0
	v_lshlrev_b64 v[34:35], v2, 1
	v_lshrrev_b64 v[0:1], v26, v[0:1]
	v_bfi_b32 v31, v31, 0, 0
	v_cmp_eq_u64_e64 s[28:29], v[30:31], v[34:35]
	v_mov_b32_e32 v2, v1
	v_mov_b32_e32 v1, v0
	s_and_saveexec_b64 s[48:49], s[28:29]
; %bb.16167:                            ;   in Loop: Header=BB4_15069 Depth=3
	v_bfe_u32 v1, v0, 21, 1
	v_add_co_u32_e64 v1, s[28:29], v0, v1
	v_add_co_u32_e64 v1, s[28:29], -1, v1
; %bb.16168:                            ;   in Loop: Header=BB4_15069 Depth=3
	s_or_b64 exec, exec, s[48:49]
	v_add_u32_e32 v2, 0xffffff81, v25
	v_mov_b32_e32 v25, 0xffffff82
	v_cndmask_b32_e32 v2, v2, v25, vcc
	v_lshrrev_b32_e32 v25, 23, v0
	v_add3_u32 v26, v26, v2, v25
	v_add_u32_e32 v25, 14, v26
	v_and_b32_e32 v1, 0x1fffff, v1
	v_add_u32_e32 v0, v1, v0
	v_mov_b32_e32 v1, v17
	v_cmp_ne_u32_e32 vcc, 0, v25
                                        ; implicit-def: $vgpr2
	s_and_saveexec_b64 s[28:29], vcc
	s_xor_b64 s[28:29], exec, s[28:29]
; %bb.16169:                            ;   in Loop: Header=BB4_15069 Depth=3
	v_cmp_lt_u64_e32 vcc, s[88:89], v[0:1]
	v_add_u32_e32 v2, 15, v26
	v_cndmask_b32_e32 v2, v25, v2, vcc
	v_cndmask_b32_e64 v25, 0, 1, vcc
	v_lshrrev_b64 v[0:1], v25, v[0:1]
; %bb.16170:                            ;   in Loop: Header=BB4_15069 Depth=3
	s_andn2_saveexec_b64 s[28:29], s[28:29]
; %bb.16171:                            ;   in Loop: Header=BB4_15069 Depth=3
	v_bfe_u32 v2, v0, 23, 1
; %bb.16172:                            ;   in Loop: Header=BB4_15069 Depth=3
	s_or_b64 exec, exec, s[28:29]
	v_lshrrev_b64 v[0:1], 21, v[0:1]
	v_cmp_gt_i32_e32 vcc, 32, v2
	v_cndmask_b32_e32 v1, 0, v1, vcc
	v_cndmask_b32_e32 v0, 3, v0, vcc
	v_cmp_ne_u64_e32 vcc, 0, v[0:1]
	v_cmp_ne_u32_e64 s[28:29], 0, v2
	s_or_b64 s[28:29], s[28:29], vcc
                                        ; implicit-def: $vgpr25
	s_and_saveexec_b64 vcc, s[28:29]
	s_xor_b64 s[28:29], exec, vcc
; %bb.16173:                            ;   in Loop: Header=BB4_15069 Depth=3
	v_min_i32_e32 v1, 31, v2
	v_lshl_or_b32 v1, v1, 2, v15
	v_and_or_b32 v25, v0, 3, v1
                                        ; implicit-def: $vgpr15
; %bb.16174:                            ;   in Loop: Header=BB4_15069 Depth=3
	s_andn2_saveexec_b64 s[28:29], s[28:29]
; %bb.16175:                            ;   in Loop: Header=BB4_15069 Depth=3
	v_mov_b32_e32 v25, v15
; %bb.16176:                            ;   in Loop: Header=BB4_15069 Depth=3
	s_or_b64 exec, exec, s[28:29]
.LBB4_16177:                            ;   in Loop: Header=BB4_15069 Depth=3
	s_or_b64 exec, exec, s[38:39]
                                        ; implicit-def: $vgpr15
.LBB4_16178:                            ;   in Loop: Header=BB4_15069 Depth=3
	s_andn2_saveexec_b64 s[28:29], s[36:37]
; %bb.16179:                            ;   in Loop: Header=BB4_15069 Depth=3
	v_or_b32_e32 v25, 0x7b, v15
; %bb.16180:                            ;   in Loop: Header=BB4_15069 Depth=3
	s_or_b64 exec, exec, s[28:29]
                                        ; implicit-def: $vgpr2
                                        ; implicit-def: $vgpr0_vgpr1
.LBB4_16181:                            ;   in Loop: Header=BB4_15069 Depth=3
	s_andn2_saveexec_b64 s[28:29], s[34:35]
	s_cbranch_execz .LBB4_16187
; %bb.16182:                            ;   in Loop: Header=BB4_15069 Depth=3
	v_cmp_ne_u64_e32 vcc, 0, v[0:1]
                                        ; implicit-def: $vgpr25
	s_and_saveexec_b64 s[34:35], vcc
	s_xor_b64 vcc, exec, s[34:35]
; %bb.16183:                            ;   in Loop: Header=BB4_15069 Depth=3
	v_or_b32_sdwa v25, v2, s47 dst_sel:DWORD dst_unused:UNUSED_PAD src0_sel:BYTE_3 src1_sel:DWORD
                                        ; implicit-def: $vgpr2
; %bb.16184:                            ;   in Loop: Header=BB4_15069 Depth=3
	s_andn2_saveexec_b64 s[34:35], vcc
; %bb.16185:                            ;   in Loop: Header=BB4_15069 Depth=3
	v_cmp_lt_i32_e32 vcc, -1, v2
	v_cndmask_b32_e32 v25, -4, v52, vcc
; %bb.16186:                            ;   in Loop: Header=BB4_15069 Depth=3
	s_or_b64 exec, exec, s[34:35]
.LBB4_16187:                            ;   in Loop: Header=BB4_15069 Depth=3
	s_or_b64 exec, exec, s[28:29]
	v_and_b32_e32 v26, 0xff, v14
	v_cmp_ne_u16_e32 vcc, 0, v26
	v_mov_b32_e32 v0, 0
	v_mov_b32_e32 v1, 0
	s_and_saveexec_b64 s[28:29], vcc
	s_cbranch_execz .LBB4_16195
; %bb.16188:                            ;   in Loop: Header=BB4_15069 Depth=3
	v_cmp_ne_u16_e32 vcc, s96, v26
	v_bfrev_b32_e32 v1, 1
	s_and_saveexec_b64 s[34:35], vcc
	s_cbranch_execz .LBB4_16194
; %bb.16189:                            ;   in Loop: Header=BB4_15069 Depth=3
	v_and_b32_e32 v1, 0x7c, v14
	v_and_b32_e32 v2, 3, v14
	v_cmp_ne_u32_e32 vcc, s85, v1
                                        ; implicit-def: $vgpr1
	s_and_saveexec_b64 s[36:37], vcc
	s_xor_b64 s[36:37], exec, s[36:37]
	s_cbranch_execz .LBB4_16191
; %bb.16190:                            ;   in Loop: Header=BB4_15069 Depth=3
	v_bfe_u32 v1, v26, 2, 5
	v_ffbh_u32_e32 v26, v2
	v_min_u32_e32 v28, 32, v26
	v_mov_b32_e32 v15, v17
	v_subrev_u32_e32 v26, 29, v28
	v_lshlrev_b64 v[26:27], v26, v[14:15]
	v_sub_u32_e32 v15, 30, v28
	v_cmp_eq_u32_e32 vcc, 0, v1
	v_lshlrev_b32_e32 v14, 24, v14
	v_and_b32_e32 v26, 3, v26
	v_cndmask_b32_e32 v1, v1, v15, vcc
	v_and_b32_e32 v14, 0x80000000, v14
	v_cndmask_b32_e32 v2, v2, v26, vcc
	v_lshl_add_u32 v1, v1, 23, v14
	v_lshl_or_b32 v1, v2, 21, v1
	v_add_u32_e32 v1, 0x38000000, v1
                                        ; implicit-def: $vgpr2
                                        ; implicit-def: $vgpr14
.LBB4_16191:                            ;   in Loop: Header=BB4_15069 Depth=3
	s_andn2_saveexec_b64 s[36:37], s[36:37]
; %bb.16192:                            ;   in Loop: Header=BB4_15069 Depth=3
	v_mov_b32_e32 v1, -1
	v_cmp_gt_i16_sdwa vcc, sext(v14), v1 src0_sel:BYTE_0 src1_sel:DWORD
	v_mov_b32_e32 v1, 0xff800000
	v_mov_b32_e32 v14, 0x7f800000
	v_cndmask_b32_e32 v1, v1, v14, vcc
	v_cmp_eq_u32_e32 vcc, 0, v2
	v_mov_b32_e32 v2, 0x7f800001
	v_cndmask_b32_e32 v1, v2, v1, vcc
; %bb.16193:                            ;   in Loop: Header=BB4_15069 Depth=3
	s_or_b64 exec, exec, s[36:37]
.LBB4_16194:                            ;   in Loop: Header=BB4_15069 Depth=3
	s_or_b64 exec, exec, s[34:35]
.LBB4_16195:                            ;   in Loop: Header=BB4_15069 Depth=3
	s_or_b64 exec, exec, s[28:29]
	v_cmp_ne_u16_e32 vcc, 0, v53
	s_and_saveexec_b64 s[28:29], vcc
	s_cbranch_execz .LBB4_16203
; %bb.16196:                            ;   in Loop: Header=BB4_15069 Depth=3
	v_cmp_ne_u16_e32 vcc, s97, v53
	v_bfrev_b32_e32 v0, 1
	s_and_saveexec_b64 s[34:35], vcc
	s_cbranch_execz .LBB4_16202
; %bb.16197:                            ;   in Loop: Header=BB4_15069 Depth=3
	v_and_b32_e32 v0, 0x7c, v53
	v_and_b32_e32 v2, 3, v53
	v_cmp_ne_u32_e32 vcc, s85, v0
                                        ; implicit-def: $vgpr0
	s_and_saveexec_b64 s[36:37], vcc
	s_xor_b64 s[36:37], exec, s[36:37]
	s_cbranch_execz .LBB4_16199
; %bb.16198:                            ;   in Loop: Header=BB4_15069 Depth=3
	v_ffbh_u32_e32 v14, v2
	v_min_u32_e32 v26, 32, v14
	v_mov_b32_e32 v54, v17
	v_subrev_u32_e32 v14, 29, v26
	v_and_b32_e32 v0, 0xff, v53
	v_lshlrev_b64 v[14:15], v14, v[53:54]
	v_bfe_u32 v0, v0, 2, 5
	v_sub_u32_e32 v15, 30, v26
	v_and_b32_e32 v14, 3, v14
	v_cmp_eq_u32_e32 vcc, 0, v0
	v_cndmask_b32_e32 v0, v0, v15, vcc
	v_cndmask_b32_e32 v2, v2, v14, vcc
	v_and_b32_sdwa v14, sext(v53), s86 dst_sel:DWORD dst_unused:UNUSED_PAD src0_sel:WORD_0 src1_sel:DWORD
	v_lshl_add_u32 v0, v0, 23, v14
	v_lshl_or_b32 v0, v2, 21, v0
	v_add_u32_e32 v0, 0x38000000, v0
                                        ; implicit-def: $vgpr2
                                        ; implicit-def: $vgpr53
.LBB4_16199:                            ;   in Loop: Header=BB4_15069 Depth=3
	s_andn2_saveexec_b64 s[36:37], s[36:37]
; %bb.16200:                            ;   in Loop: Header=BB4_15069 Depth=3
	v_cmp_lt_i16_e32 vcc, -1, v53
	v_mov_b32_e32 v0, 0xff800000
	v_mov_b32_e32 v14, 0x7f800000
	v_cndmask_b32_e32 v0, v0, v14, vcc
	v_cmp_eq_u32_e32 vcc, 0, v2
	v_mov_b32_e32 v2, 0x7f800001
	v_cndmask_b32_e32 v0, v2, v0, vcc
; %bb.16201:                            ;   in Loop: Header=BB4_15069 Depth=3
	s_or_b64 exec, exec, s[36:37]
.LBB4_16202:                            ;   in Loop: Header=BB4_15069 Depth=3
	s_or_b64 exec, exec, s[34:35]
.LBB4_16203:                            ;   in Loop: Header=BB4_15069 Depth=3
	s_or_b64 exec, exec, s[28:29]
	v_add_f32_e32 v15, v1, v0
	v_and_b32_e32 v1, 0x7f800000, v15
	v_mov_b32_e32 v2, v17
	v_cmp_ne_u64_e32 vcc, s[76:77], v[1:2]
	v_and_b32_e32 v0, 0x7fffff, v15
	v_mov_b32_e32 v1, v17
                                        ; implicit-def: $vgpr2
	s_and_saveexec_b64 s[28:29], vcc
	s_xor_b64 s[34:35], exec, s[28:29]
	s_cbranch_execz .LBB4_16221
; %bb.16204:                            ;   in Loop: Header=BB4_15069 Depth=3
	v_and_b32_e32 v26, 0x7fffffff, v15
	v_mov_b32_e32 v27, v17
	v_cmp_gt_u64_e32 vcc, s[78:79], v[26:27]
	v_and_b32_sdwa v14, v15, s96 dst_sel:DWORD dst_unused:UNUSED_PAD src0_sel:BYTE_3 src1_sel:DWORD
                                        ; implicit-def: $vgpr2
	s_and_saveexec_b64 s[28:29], vcc
	s_xor_b64 s[36:37], exec, s[28:29]
	s_cbranch_execz .LBB4_16218
; %bb.16205:                            ;   in Loop: Header=BB4_15069 Depth=3
	v_cmp_ne_u32_e32 vcc, 0, v15
	v_mov_b32_e32 v2, 0
	s_and_saveexec_b64 s[38:39], vcc
	s_cbranch_execz .LBB4_16217
; %bb.16206:                            ;   in Loop: Header=BB4_15069 Depth=3
	v_bfe_u32 v15, v15, 23, 8
	v_cmp_gt_u32_e64 s[28:29], s46, v15
	v_sub_u32_e32 v2, 0x71, v15
	v_cmp_eq_u32_e32 vcc, 0, v15
	v_cndmask_b32_e64 v2, 0, v2, s[28:29]
	v_mov_b32_e32 v26, 0x70
	v_cndmask_b32_e32 v26, v2, v26, vcc
	v_add_u32_e32 v2, 21, v26
	v_or_b32_e32 v27, 0x800000, v0
	v_lshlrev_b64 v[30:31], v2, -1
	v_cndmask_b32_e32 v0, v27, v0, vcc
	v_add_u32_e32 v2, 20, v26
	v_bfi_b32 v30, v30, 0, v0
	v_lshlrev_b64 v[34:35], v2, 1
	v_lshrrev_b64 v[0:1], v26, v[0:1]
	v_bfi_b32 v31, v31, 0, 0
	v_cmp_eq_u64_e64 s[28:29], v[30:31], v[34:35]
	v_mov_b32_e32 v2, v1
	v_mov_b32_e32 v1, v0
	s_and_saveexec_b64 s[48:49], s[28:29]
; %bb.16207:                            ;   in Loop: Header=BB4_15069 Depth=3
	v_bfe_u32 v1, v0, 21, 1
	v_add_co_u32_e64 v1, s[28:29], v0, v1
	v_add_co_u32_e64 v1, s[28:29], -1, v1
; %bb.16208:                            ;   in Loop: Header=BB4_15069 Depth=3
	s_or_b64 exec, exec, s[48:49]
	v_add_u32_e32 v2, 0xffffff81, v15
	v_mov_b32_e32 v15, 0xffffff82
	v_cndmask_b32_e32 v2, v2, v15, vcc
	v_lshrrev_b32_e32 v15, 23, v0
	v_add3_u32 v26, v26, v2, v15
	v_add_u32_e32 v2, 14, v26
	v_and_b32_e32 v1, 0x1fffff, v1
	v_add_u32_e32 v0, v1, v0
	v_mov_b32_e32 v1, v17
	v_cmp_ne_u32_e32 vcc, 0, v2
                                        ; implicit-def: $vgpr15
	s_and_saveexec_b64 s[28:29], vcc
	s_xor_b64 s[28:29], exec, s[28:29]
; %bb.16209:                            ;   in Loop: Header=BB4_15069 Depth=3
	v_cmp_lt_u64_e32 vcc, s[88:89], v[0:1]
	v_add_u32_e32 v15, 15, v26
	v_cndmask_b32_e32 v15, v2, v15, vcc
	v_cndmask_b32_e64 v2, 0, 1, vcc
	v_lshrrev_b64 v[0:1], v2, v[0:1]
; %bb.16210:                            ;   in Loop: Header=BB4_15069 Depth=3
	s_andn2_saveexec_b64 s[28:29], s[28:29]
; %bb.16211:                            ;   in Loop: Header=BB4_15069 Depth=3
	v_bfe_u32 v15, v0, 23, 1
; %bb.16212:                            ;   in Loop: Header=BB4_15069 Depth=3
	s_or_b64 exec, exec, s[28:29]
	v_lshrrev_b64 v[0:1], 21, v[0:1]
	v_cmp_gt_i32_e32 vcc, 32, v15
	v_cndmask_b32_e32 v1, 0, v1, vcc
	v_cndmask_b32_e32 v0, 3, v0, vcc
	v_cmp_ne_u64_e32 vcc, 0, v[0:1]
	v_cmp_ne_u32_e64 s[28:29], 0, v15
	s_or_b64 s[28:29], s[28:29], vcc
                                        ; implicit-def: $vgpr2
	s_and_saveexec_b64 vcc, s[28:29]
	s_xor_b64 s[28:29], exec, vcc
; %bb.16213:                            ;   in Loop: Header=BB4_15069 Depth=3
	v_min_i32_e32 v1, 31, v15
	v_lshl_or_b32 v1, v1, 2, v14
	v_and_or_b32 v2, v0, 3, v1
                                        ; implicit-def: $vgpr14
; %bb.16214:                            ;   in Loop: Header=BB4_15069 Depth=3
	s_andn2_saveexec_b64 s[28:29], s[28:29]
; %bb.16215:                            ;   in Loop: Header=BB4_15069 Depth=3
	v_mov_b32_e32 v2, v14
; %bb.16216:                            ;   in Loop: Header=BB4_15069 Depth=3
	s_or_b64 exec, exec, s[28:29]
.LBB4_16217:                            ;   in Loop: Header=BB4_15069 Depth=3
	s_or_b64 exec, exec, s[38:39]
                                        ; implicit-def: $vgpr14
.LBB4_16218:                            ;   in Loop: Header=BB4_15069 Depth=3
	s_andn2_saveexec_b64 s[28:29], s[36:37]
; %bb.16219:                            ;   in Loop: Header=BB4_15069 Depth=3
	v_or_b32_e32 v2, 0x7b, v14
; %bb.16220:                            ;   in Loop: Header=BB4_15069 Depth=3
	s_or_b64 exec, exec, s[28:29]
                                        ; implicit-def: $vgpr15
                                        ; implicit-def: $vgpr0_vgpr1
.LBB4_16221:                            ;   in Loop: Header=BB4_15069 Depth=3
	s_andn2_saveexec_b64 s[28:29], s[34:35]
	s_cbranch_execz .LBB4_15068
; %bb.16222:                            ;   in Loop: Header=BB4_15069 Depth=3
	v_cmp_ne_u64_e32 vcc, 0, v[0:1]
                                        ; implicit-def: $vgpr2
	s_and_saveexec_b64 s[34:35], vcc
	s_xor_b64 vcc, exec, s[34:35]
; %bb.16223:                            ;   in Loop: Header=BB4_15069 Depth=3
	v_or_b32_sdwa v2, v15, s47 dst_sel:DWORD dst_unused:UNUSED_PAD src0_sel:BYTE_3 src1_sel:DWORD
                                        ; implicit-def: $vgpr15
; %bb.16224:                            ;   in Loop: Header=BB4_15069 Depth=3
	s_andn2_saveexec_b64 s[34:35], vcc
	s_cbranch_execz .LBB4_15067
; %bb.16225:                            ;   in Loop: Header=BB4_15069 Depth=3
	v_cmp_lt_i32_e32 vcc, -1, v15
	v_cndmask_b32_e32 v2, -4, v52, vcc
	s_branch .LBB4_15067
.LBB4_16226:                            ;   in Loop: Header=BB4_7595 Depth=2
	s_or_b64 exec, exec, s[30:31]
	buffer_load_dword v2, off, s[0:3], s33 offset:252 ; 4-byte Folded Reload
	buffer_load_dword v3, off, s[0:3], s33 offset:260 ; 4-byte Folded Reload
	;; [unrolled: 1-line block ×3, first 2 shown]
.LBB4_16227:                            ;   in Loop: Header=BB4_7595 Depth=2
	s_or_b64 exec, exec, s[42:43]
	s_waitcnt vmcnt(0)
	v_lshlrev_b32_e32 v0, 10, v1
	v_cmp_ne_u32_e32 vcc, v23, v0
	s_and_b64 exec, exec, vcc
	s_cbranch_execz .LBB4_16309
; %bb.16228:                            ;   in Loop: Header=BB4_7595 Depth=2
	v_lshlrev_b32_e32 v1, 6, v3
	v_sub_u32_e32 v1, v2, v1
	v_lshlrev_b32_e32 v2, 6, v22
	v_sub_u32_e32 v1, v1, v2
	v_add_u32_e32 v0, v0, v1
	v_sub_u32_e32 v10, v23, v0
	v_cmp_lt_i32_e32 vcc, 0, v10
	s_and_b64 exec, exec, vcc
	s_cbranch_execz .LBB4_16309
; %bb.16229:                            ;   in Loop: Header=BB4_7595 Depth=2
	v_add_u32_e32 v6, v0, v29
	s_trap 2
	ds_read_b128 v[0:3], v0
	v_ashrrev_i32_e32 v7, 31, v6
	s_mov_b64 s[42:43], 0
	s_waitcnt lgkmcnt(0)
	v_add_co_u32_e32 v0, vcc, v0, v6
	ds_read_b64 v[4:5], v0
	v_addc_co_u32_e32 v1, vcc, v1, v7, vcc
	v_add_co_u32_e32 v2, vcc, v2, v6
	v_addc_co_u32_e32 v3, vcc, v3, v7, vcc
	s_waitcnt lgkmcnt(0)
	v_add_co_u32_e32 v4, vcc, v4, v6
	v_addc_co_u32_e32 v5, vcc, v5, v7, vcc
	s_branch .LBB4_16232
.LBB4_16230:                            ;   in Loop: Header=BB4_16232 Depth=3
	s_or_b64 exec, exec, s[30:31]
.LBB4_16231:                            ;   in Loop: Header=BB4_16232 Depth=3
	s_or_b64 exec, exec, s[28:29]
	buffer_load_dword v6, off, s[0:3], s33 offset:108 ; 4-byte Folded Reload
	s_waitcnt vmcnt(0)
	v_add_co_u32_e32 v0, vcc, v0, v6
	v_addc_co_u32_e32 v1, vcc, 0, v1, vcc
	v_add_co_u32_e32 v2, vcc, v2, v6
	v_addc_co_u32_e32 v3, vcc, 0, v3, vcc
	v_sub_u32_e32 v10, v10, v6
	v_cmp_gt_i32_e32 vcc, 1, v10
	flat_store_byte v[4:5], v8 glc slc
	s_or_b64 s[42:43], vcc, s[42:43]
	v_add_co_u32_e32 v4, vcc, v4, v6
	v_addc_co_u32_e32 v5, vcc, 0, v5, vcc
	s_andn2_b64 exec, exec, s[42:43]
	s_cbranch_execz .LBB4_16309
.LBB4_16232:                            ;   Parent Loop BB4_47 Depth=1
                                        ;     Parent Loop BB4_7595 Depth=2
                                        ; =>    This Inner Loop Header: Depth=3
	s_trap 2
	ds_read_b64 v[6:7], v0
	v_mov_b32_e32 v8, 0
	s_waitcnt lgkmcnt(0)
	v_cmp_eq_u32_sdwa vcc, v6, v17 src0_sel:BYTE_0 src1_sel:DWORD
	v_readfirstlane_b32 s28, v6
	v_readfirstlane_b32 s29, v7
	v_mov_b32_e32 v7, 0
	s_and_b64 vcc, exec, vcc
	s_cbranch_vccnz .LBB4_16238
; %bb.16233:                            ;   in Loop: Header=BB4_16232 Depth=3
	s_bfe_i32 s31, s28, 0x80000
	s_and_b32 vcc_lo, 0xffff, s31
	s_cmpk_eq_u32 vcc_lo, 0xff80
	v_bfrev_b32_e32 v8, 1
	s_cbranch_scc1 .LBB4_16238
; %bb.16234:                            ;   in Loop: Header=BB4_16232 Depth=3
	s_and_b32 s30, s28, 3
	s_and_b32 s34, s28, 0x7c
	s_mov_b64 vcc, -1
	s_cmpk_lg_i32 s34, 0x7c
	s_sext_i32_i16 s31, s31
                                        ; implicit-def: $sgpr34
	s_cbranch_scc0 .LBB4_16236
; %bb.16235:                            ;   in Loop: Header=BB4_16232 Depth=3
	s_flbit_i32_b32 vcc_hi, s30
	s_min_u32 vcc_hi, vcc_hi, 32
	s_sub_i32 s34, vcc_hi, 29
	s_bfe_u32 vcc_lo, s28, 0x50002
	s_lshl_b64 s[28:29], s[28:29], s34
	s_sub_i32 s29, 30, vcc_hi
	s_and_b32 s28, s28, 3
	s_cmp_eq_u32 vcc_lo, 0
	s_cselect_b32 s29, s29, vcc_lo
	s_cselect_b32 s28, s28, s30
	s_and_b32 vcc_lo, s31, 0x80000000
	s_lshl_b32 s29, s29, 23
	s_add_i32 s29, s29, vcc_lo
	s_lshl_b32 s28, s28, 21
	s_or_b32 s28, s29, s28
	s_add_i32 s34, s28, 0x38000000
	s_mov_b64 vcc, 0
.LBB4_16236:                            ;   in Loop: Header=BB4_16232 Depth=3
	s_andn2_b64 vcc, exec, vcc
	v_mov_b32_e32 v8, s34
	s_cbranch_vccnz .LBB4_16238
; %bb.16237:                            ;   in Loop: Header=BB4_16232 Depth=3
	s_cmp_eq_u32 s30, 0
	s_cselect_b64 vcc, -1, 0
	s_cmp_gt_i32 s31, -1
	s_cselect_b64 s[28:29], -1, 0
	v_mov_b32_e32 v6, 0xff800000
	v_mov_b32_e32 v8, 0x7f800000
	v_cndmask_b32_e64 v6, v6, v8, s[28:29]
	v_mov_b32_e32 v8, 0x7f800001
	v_cndmask_b32_e32 v8, v8, v6, vcc
.LBB4_16238:                            ;   in Loop: Header=BB4_16232 Depth=3
	flat_load_sbyte v6, v[0:1] glc slc
	s_waitcnt vmcnt(0) lgkmcnt(0)
	v_cmp_ne_u16_e32 vcc, 0, v6
	s_and_saveexec_b64 s[28:29], vcc
	s_cbranch_execz .LBB4_16246
; %bb.16239:                            ;   in Loop: Header=BB4_16232 Depth=3
	v_cmp_ne_u16_e32 vcc, s97, v6
	v_bfrev_b32_e32 v7, 1
	s_and_saveexec_b64 s[30:31], vcc
	s_cbranch_execz .LBB4_16245
; %bb.16240:                            ;   in Loop: Header=BB4_16232 Depth=3
	v_and_b32_e32 v7, 0x7c, v6
	v_and_b32_e32 v9, 3, v6
	v_cmp_ne_u32_e32 vcc, s85, v7
                                        ; implicit-def: $vgpr7
	s_and_saveexec_b64 s[34:35], vcc
	s_xor_b64 s[34:35], exec, s[34:35]
	s_cbranch_execz .LBB4_16242
; %bb.16241:                            ;   in Loop: Header=BB4_16232 Depth=3
	v_and_b32_e32 v11, 0xff, v6
	v_bfe_u32 v13, v11, 2, 5
	v_ffbh_u32_e32 v11, v9
	v_min_u32_e32 v14, 32, v11
	v_mov_b32_e32 v7, v17
	v_subrev_u32_e32 v11, 29, v14
	v_lshlrev_b64 v[11:12], v11, v[6:7]
	v_sub_u32_e32 v7, 30, v14
	v_cmp_eq_u32_e32 vcc, 0, v13
	v_and_b32_e32 v11, 3, v11
	v_cndmask_b32_e32 v7, v13, v7, vcc
	v_and_b32_sdwa v6, sext(v6), s86 dst_sel:DWORD dst_unused:UNUSED_PAD src0_sel:WORD_0 src1_sel:DWORD
	v_cndmask_b32_e32 v9, v9, v11, vcc
	v_lshl_add_u32 v6, v7, 23, v6
	v_lshl_or_b32 v6, v9, 21, v6
	v_add_u32_e32 v7, 0x38000000, v6
                                        ; implicit-def: $vgpr9
                                        ; implicit-def: $vgpr6
.LBB4_16242:                            ;   in Loop: Header=BB4_16232 Depth=3
	s_andn2_saveexec_b64 s[34:35], s[34:35]
; %bb.16243:                            ;   in Loop: Header=BB4_16232 Depth=3
	v_cmp_lt_i16_e32 vcc, -1, v6
	v_mov_b32_e32 v6, 0xff800000
	v_mov_b32_e32 v7, 0x7f800000
	v_cndmask_b32_e32 v6, v6, v7, vcc
	v_cmp_eq_u32_e32 vcc, 0, v9
	v_mov_b32_e32 v7, 0x7f800001
	v_cndmask_b32_e32 v7, v7, v6, vcc
; %bb.16244:                            ;   in Loop: Header=BB4_16232 Depth=3
	s_or_b64 exec, exec, s[34:35]
.LBB4_16245:                            ;   in Loop: Header=BB4_16232 Depth=3
	s_or_b64 exec, exec, s[30:31]
.LBB4_16246:                            ;   in Loop: Header=BB4_16232 Depth=3
	s_or_b64 exec, exec, s[28:29]
	v_mul_f32_e32 v11, v8, v7
	v_and_b32_e32 v8, 0x7f800000, v11
	v_mov_b32_e32 v9, v17
	v_cmp_ne_u64_e32 vcc, s[76:77], v[8:9]
	v_and_b32_e32 v7, 0x7fffff, v11
	v_mov_b32_e32 v8, v17
                                        ; implicit-def: $vgpr6
	s_and_saveexec_b64 s[28:29], vcc
	s_xor_b64 s[30:31], exec, s[28:29]
	s_cbranch_execz .LBB4_16264
; %bb.16247:                            ;   in Loop: Header=BB4_16232 Depth=3
	v_and_b32_e32 v12, 0x7fffffff, v11
	v_mov_b32_e32 v13, v17
	v_cmp_gt_u64_e32 vcc, s[78:79], v[12:13]
	v_and_b32_sdwa v9, v11, s96 dst_sel:DWORD dst_unused:UNUSED_PAD src0_sel:BYTE_3 src1_sel:DWORD
                                        ; implicit-def: $vgpr6
	s_and_saveexec_b64 s[28:29], vcc
	s_xor_b64 s[34:35], exec, s[28:29]
	s_cbranch_execz .LBB4_16261
; %bb.16248:                            ;   in Loop: Header=BB4_16232 Depth=3
	v_cmp_ne_u32_e32 vcc, 0, v11
	v_mov_b32_e32 v6, 0
	s_and_saveexec_b64 s[36:37], vcc
	s_cbranch_execz .LBB4_16260
; %bb.16249:                            ;   in Loop: Header=BB4_16232 Depth=3
	v_bfe_u32 v11, v11, 23, 8
	v_cmp_gt_u32_e64 s[28:29], s46, v11
	v_sub_u32_e32 v6, 0x71, v11
	v_cmp_eq_u32_e32 vcc, 0, v11
	v_cndmask_b32_e64 v6, 0, v6, s[28:29]
	v_mov_b32_e32 v12, 0x70
	v_cndmask_b32_e32 v12, v6, v12, vcc
	v_or_b32_e32 v13, 0x800000, v7
	v_add_u32_e32 v6, 21, v12
	v_cndmask_b32_e32 v7, v13, v7, vcc
	v_lshlrev_b64 v[13:14], v6, -1
	v_add_u32_e32 v6, 20, v12
	v_bfi_b32 v13, v13, 0, v7
	v_lshlrev_b64 v[15:16], v6, 1
	v_lshrrev_b64 v[6:7], v12, v[7:8]
	v_bfi_b32 v14, v14, 0, 0
	v_cmp_eq_u64_e64 s[28:29], v[13:14], v[15:16]
	v_mov_b32_e32 v8, v7
	v_mov_b32_e32 v7, v6
	s_and_saveexec_b64 s[38:39], s[28:29]
; %bb.16250:                            ;   in Loop: Header=BB4_16232 Depth=3
	v_bfe_u32 v7, v6, 21, 1
	v_add_co_u32_e64 v7, s[28:29], v6, v7
	v_add_co_u32_e64 v7, s[28:29], -1, v7
; %bb.16251:                            ;   in Loop: Header=BB4_16232 Depth=3
	s_or_b64 exec, exec, s[38:39]
	v_add_u32_e32 v8, 0xffffff81, v11
	v_mov_b32_e32 v11, 0xffffff82
	v_cndmask_b32_e32 v8, v8, v11, vcc
	v_lshrrev_b32_e32 v11, 23, v6
	v_add3_u32 v12, v12, v8, v11
	v_add_u32_e32 v8, 14, v12
	v_and_b32_e32 v7, 0x1fffff, v7
	v_add_u32_e32 v6, v7, v6
	v_mov_b32_e32 v7, v17
	v_cmp_ne_u32_e32 vcc, 0, v8
                                        ; implicit-def: $vgpr11
	s_and_saveexec_b64 s[28:29], vcc
	s_xor_b64 s[28:29], exec, s[28:29]
; %bb.16252:                            ;   in Loop: Header=BB4_16232 Depth=3
	v_cmp_lt_u64_e32 vcc, s[88:89], v[6:7]
	v_add_u32_e32 v11, 15, v12
	v_cndmask_b32_e32 v11, v8, v11, vcc
	v_cndmask_b32_e64 v8, 0, 1, vcc
	v_lshrrev_b64 v[6:7], v8, v[6:7]
; %bb.16253:                            ;   in Loop: Header=BB4_16232 Depth=3
	s_andn2_saveexec_b64 s[28:29], s[28:29]
; %bb.16254:                            ;   in Loop: Header=BB4_16232 Depth=3
	v_bfe_u32 v11, v6, 23, 1
; %bb.16255:                            ;   in Loop: Header=BB4_16232 Depth=3
	s_or_b64 exec, exec, s[28:29]
	v_lshrrev_b64 v[6:7], 21, v[6:7]
	v_cmp_gt_i32_e32 vcc, 32, v11
	v_cndmask_b32_e32 v8, 0, v7, vcc
	v_cndmask_b32_e32 v7, 3, v6, vcc
	v_cmp_ne_u64_e32 vcc, 0, v[7:8]
	v_cmp_ne_u32_e64 s[28:29], 0, v11
	s_or_b64 s[28:29], s[28:29], vcc
                                        ; implicit-def: $vgpr6
	s_and_saveexec_b64 vcc, s[28:29]
	s_xor_b64 s[28:29], exec, vcc
; %bb.16256:                            ;   in Loop: Header=BB4_16232 Depth=3
	v_min_i32_e32 v6, 31, v11
	v_lshl_or_b32 v6, v6, 2, v9
	v_and_or_b32 v6, v7, 3, v6
                                        ; implicit-def: $vgpr9
; %bb.16257:                            ;   in Loop: Header=BB4_16232 Depth=3
	s_andn2_saveexec_b64 s[28:29], s[28:29]
; %bb.16258:                            ;   in Loop: Header=BB4_16232 Depth=3
	v_mov_b32_e32 v6, v9
; %bb.16259:                            ;   in Loop: Header=BB4_16232 Depth=3
	s_or_b64 exec, exec, s[28:29]
.LBB4_16260:                            ;   in Loop: Header=BB4_16232 Depth=3
	s_or_b64 exec, exec, s[36:37]
                                        ; implicit-def: $vgpr9
.LBB4_16261:                            ;   in Loop: Header=BB4_16232 Depth=3
	s_andn2_saveexec_b64 s[28:29], s[34:35]
; %bb.16262:                            ;   in Loop: Header=BB4_16232 Depth=3
	v_or_b32_e32 v6, 0x7b, v9
; %bb.16263:                            ;   in Loop: Header=BB4_16232 Depth=3
	s_or_b64 exec, exec, s[28:29]
                                        ; implicit-def: $vgpr11
                                        ; implicit-def: $vgpr7_vgpr8
.LBB4_16264:                            ;   in Loop: Header=BB4_16232 Depth=3
	s_andn2_saveexec_b64 s[28:29], s[30:31]
	s_cbranch_execz .LBB4_16270
; %bb.16265:                            ;   in Loop: Header=BB4_16232 Depth=3
	v_cmp_ne_u64_e32 vcc, 0, v[7:8]
                                        ; implicit-def: $vgpr6
	s_and_saveexec_b64 s[30:31], vcc
	s_xor_b64 vcc, exec, s[30:31]
; %bb.16266:                            ;   in Loop: Header=BB4_16232 Depth=3
	v_or_b32_sdwa v6, v11, s47 dst_sel:DWORD dst_unused:UNUSED_PAD src0_sel:BYTE_3 src1_sel:DWORD
                                        ; implicit-def: $vgpr11
; %bb.16267:                            ;   in Loop: Header=BB4_16232 Depth=3
	s_andn2_saveexec_b64 s[30:31], vcc
; %bb.16268:                            ;   in Loop: Header=BB4_16232 Depth=3
	v_cmp_lt_i32_e32 vcc, -1, v11
	v_cndmask_b32_e32 v6, -4, v52, vcc
; %bb.16269:                            ;   in Loop: Header=BB4_16232 Depth=3
	s_or_b64 exec, exec, s[30:31]
.LBB4_16270:                            ;   in Loop: Header=BB4_16232 Depth=3
	s_or_b64 exec, exec, s[28:29]
	flat_load_sbyte v8, v[2:3] glc slc
	v_and_b32_e32 v12, 0xff, v6
	v_cmp_ne_u16_e32 vcc, 0, v12
	v_mov_b32_e32 v9, 0
	v_mov_b32_e32 v7, 0
	s_and_saveexec_b64 s[28:29], vcc
	s_cbranch_execz .LBB4_16278
; %bb.16271:                            ;   in Loop: Header=BB4_16232 Depth=3
	v_cmp_ne_u16_e32 vcc, s96, v12
	v_bfrev_b32_e32 v7, 1
	s_and_saveexec_b64 s[30:31], vcc
	s_cbranch_execz .LBB4_16277
; %bb.16272:                            ;   in Loop: Header=BB4_16232 Depth=3
	v_and_b32_e32 v7, 0x7c, v6
	v_and_b32_e32 v11, 3, v6
	v_cmp_ne_u32_e32 vcc, s85, v7
                                        ; implicit-def: $vgpr7
	s_and_saveexec_b64 s[34:35], vcc
	s_xor_b64 s[34:35], exec, s[34:35]
	s_cbranch_execz .LBB4_16274
; %bb.16273:                            ;   in Loop: Header=BB4_16232 Depth=3
	v_bfe_u32 v14, v12, 2, 5
	v_ffbh_u32_e32 v12, v11
	v_min_u32_e32 v15, 32, v12
	v_mov_b32_e32 v7, v17
	v_subrev_u32_e32 v12, 29, v15
	v_lshlrev_b64 v[12:13], v12, v[6:7]
	v_sub_u32_e32 v7, 30, v15
	v_cmp_eq_u32_e32 vcc, 0, v14
	v_lshlrev_b32_e32 v6, 24, v6
	v_and_b32_e32 v12, 3, v12
	v_cndmask_b32_e32 v7, v14, v7, vcc
	v_and_b32_e32 v6, 0x80000000, v6
	v_cndmask_b32_e32 v11, v11, v12, vcc
	v_lshl_add_u32 v6, v7, 23, v6
	v_lshl_or_b32 v6, v11, 21, v6
	v_add_u32_e32 v7, 0x38000000, v6
                                        ; implicit-def: $vgpr11
                                        ; implicit-def: $vgpr6
.LBB4_16274:                            ;   in Loop: Header=BB4_16232 Depth=3
	s_andn2_saveexec_b64 s[34:35], s[34:35]
; %bb.16275:                            ;   in Loop: Header=BB4_16232 Depth=3
	v_mov_b32_e32 v7, -1
	v_cmp_gt_i16_sdwa vcc, sext(v6), v7 src0_sel:BYTE_0 src1_sel:DWORD
	v_mov_b32_e32 v6, 0xff800000
	v_mov_b32_e32 v7, 0x7f800000
	v_cndmask_b32_e32 v6, v6, v7, vcc
	v_cmp_eq_u32_e32 vcc, 0, v11
	v_mov_b32_e32 v7, 0x7f800001
	v_cndmask_b32_e32 v7, v7, v6, vcc
; %bb.16276:                            ;   in Loop: Header=BB4_16232 Depth=3
	s_or_b64 exec, exec, s[34:35]
.LBB4_16277:                            ;   in Loop: Header=BB4_16232 Depth=3
	s_or_b64 exec, exec, s[30:31]
.LBB4_16278:                            ;   in Loop: Header=BB4_16232 Depth=3
	s_or_b64 exec, exec, s[28:29]
	s_waitcnt vmcnt(0) lgkmcnt(0)
	v_cmp_ne_u16_e32 vcc, 0, v8
	s_and_saveexec_b64 s[28:29], vcc
	s_cbranch_execz .LBB4_16286
; %bb.16279:                            ;   in Loop: Header=BB4_16232 Depth=3
	v_cmp_ne_u16_e32 vcc, s97, v8
	v_bfrev_b32_e32 v9, 1
	s_and_saveexec_b64 s[30:31], vcc
	s_cbranch_execz .LBB4_16285
; %bb.16280:                            ;   in Loop: Header=BB4_16232 Depth=3
	v_and_b32_e32 v9, 0x7c, v8
	v_and_b32_e32 v6, 3, v8
	v_cmp_ne_u32_e32 vcc, s85, v9
                                        ; implicit-def: $vgpr9
	s_and_saveexec_b64 s[34:35], vcc
	s_xor_b64 s[34:35], exec, s[34:35]
	s_cbranch_execz .LBB4_16282
; %bb.16281:                            ;   in Loop: Header=BB4_16232 Depth=3
	v_ffbh_u32_e32 v13, v6
	v_and_b32_e32 v9, 0xff, v8
	v_min_u32_e32 v13, 32, v13
	v_bfe_u32 v11, v9, 2, 5
	v_mov_b32_e32 v9, v17
	v_subrev_u32_e32 v14, 29, v13
	v_and_b32_sdwa v12, sext(v8), s86 dst_sel:DWORD dst_unused:UNUSED_PAD src0_sel:WORD_0 src1_sel:DWORD
	v_lshlrev_b64 v[8:9], v14, v[8:9]
	v_sub_u32_e32 v9, 30, v13
	v_cmp_eq_u32_e32 vcc, 0, v11
	v_and_b32_e32 v8, 3, v8
	v_cndmask_b32_e32 v9, v11, v9, vcc
	v_cndmask_b32_e32 v6, v6, v8, vcc
	v_lshl_add_u32 v8, v9, 23, v12
	v_lshl_or_b32 v6, v6, 21, v8
	v_add_u32_e32 v9, 0x38000000, v6
                                        ; implicit-def: $vgpr8
                                        ; implicit-def: $vgpr6
.LBB4_16282:                            ;   in Loop: Header=BB4_16232 Depth=3
	s_andn2_saveexec_b64 s[34:35], s[34:35]
; %bb.16283:                            ;   in Loop: Header=BB4_16232 Depth=3
	v_cmp_lt_i16_e32 vcc, -1, v8
	v_mov_b32_e32 v8, 0xff800000
	v_mov_b32_e32 v9, 0x7f800000
	v_cndmask_b32_e32 v8, v8, v9, vcc
	v_cmp_eq_u32_e32 vcc, 0, v6
	v_mov_b32_e32 v6, 0x7f800001
	v_cndmask_b32_e32 v9, v6, v8, vcc
; %bb.16284:                            ;   in Loop: Header=BB4_16232 Depth=3
	s_or_b64 exec, exec, s[34:35]
.LBB4_16285:                            ;   in Loop: Header=BB4_16232 Depth=3
	s_or_b64 exec, exec, s[30:31]
.LBB4_16286:                            ;   in Loop: Header=BB4_16232 Depth=3
	s_or_b64 exec, exec, s[28:29]
	v_add_f32_e32 v11, v7, v9
	v_and_b32_e32 v7, 0x7f800000, v11
	v_mov_b32_e32 v8, v17
	v_cmp_ne_u64_e32 vcc, s[76:77], v[7:8]
	v_and_b32_e32 v6, 0x7fffff, v11
	v_mov_b32_e32 v7, v17
                                        ; implicit-def: $vgpr8
	s_and_saveexec_b64 s[28:29], vcc
	s_xor_b64 s[30:31], exec, s[28:29]
	s_cbranch_execz .LBB4_16304
; %bb.16287:                            ;   in Loop: Header=BB4_16232 Depth=3
	v_and_b32_e32 v8, 0x7fffffff, v11
	v_mov_b32_e32 v9, v17
	v_cmp_gt_u64_e32 vcc, s[78:79], v[8:9]
	v_and_b32_sdwa v9, v11, s96 dst_sel:DWORD dst_unused:UNUSED_PAD src0_sel:BYTE_3 src1_sel:DWORD
                                        ; implicit-def: $vgpr8
	s_and_saveexec_b64 s[28:29], vcc
	s_xor_b64 s[34:35], exec, s[28:29]
	s_cbranch_execz .LBB4_16301
; %bb.16288:                            ;   in Loop: Header=BB4_16232 Depth=3
	v_cmp_ne_u32_e32 vcc, 0, v11
	v_mov_b32_e32 v8, 0
	s_and_saveexec_b64 s[36:37], vcc
	s_cbranch_execz .LBB4_16300
; %bb.16289:                            ;   in Loop: Header=BB4_16232 Depth=3
	v_bfe_u32 v11, v11, 23, 8
	v_cmp_gt_u32_e64 s[28:29], s46, v11
	v_sub_u32_e32 v8, 0x71, v11
	v_cmp_eq_u32_e32 vcc, 0, v11
	v_cndmask_b32_e64 v8, 0, v8, s[28:29]
	v_mov_b32_e32 v12, 0x70
	v_cndmask_b32_e32 v12, v8, v12, vcc
	v_or_b32_e32 v13, 0x800000, v6
	v_add_u32_e32 v8, 21, v12
	v_cndmask_b32_e32 v6, v13, v6, vcc
	v_lshlrev_b64 v[13:14], v8, -1
	v_add_u32_e32 v8, 20, v12
	v_bfi_b32 v13, v13, 0, v6
	v_lshlrev_b64 v[15:16], v8, 1
	v_lshrrev_b64 v[6:7], v12, v[6:7]
	v_bfi_b32 v14, v14, 0, 0
	v_cmp_eq_u64_e64 s[28:29], v[13:14], v[15:16]
	v_mov_b32_e32 v8, v7
	v_mov_b32_e32 v7, v6
	s_and_saveexec_b64 s[38:39], s[28:29]
; %bb.16290:                            ;   in Loop: Header=BB4_16232 Depth=3
	v_bfe_u32 v7, v6, 21, 1
	v_add_co_u32_e64 v7, s[28:29], v6, v7
	v_add_co_u32_e64 v7, s[28:29], -1, v7
; %bb.16291:                            ;   in Loop: Header=BB4_16232 Depth=3
	s_or_b64 exec, exec, s[38:39]
	v_add_u32_e32 v8, 0xffffff81, v11
	v_mov_b32_e32 v11, 0xffffff82
	v_cndmask_b32_e32 v8, v8, v11, vcc
	v_lshrrev_b32_e32 v11, 23, v6
	v_add3_u32 v12, v12, v8, v11
	v_add_u32_e32 v8, 14, v12
	v_and_b32_e32 v7, 0x1fffff, v7
	v_add_u32_e32 v6, v7, v6
	v_mov_b32_e32 v7, v17
	v_cmp_ne_u32_e32 vcc, 0, v8
                                        ; implicit-def: $vgpr11
	s_and_saveexec_b64 s[28:29], vcc
	s_xor_b64 s[28:29], exec, s[28:29]
; %bb.16292:                            ;   in Loop: Header=BB4_16232 Depth=3
	v_cmp_lt_u64_e32 vcc, s[88:89], v[6:7]
	v_add_u32_e32 v11, 15, v12
	v_cndmask_b32_e32 v11, v8, v11, vcc
	v_cndmask_b32_e64 v8, 0, 1, vcc
	v_lshrrev_b64 v[6:7], v8, v[6:7]
; %bb.16293:                            ;   in Loop: Header=BB4_16232 Depth=3
	s_andn2_saveexec_b64 s[28:29], s[28:29]
; %bb.16294:                            ;   in Loop: Header=BB4_16232 Depth=3
	v_bfe_u32 v11, v6, 23, 1
; %bb.16295:                            ;   in Loop: Header=BB4_16232 Depth=3
	s_or_b64 exec, exec, s[28:29]
	v_lshrrev_b64 v[6:7], 21, v[6:7]
	v_cmp_gt_i32_e32 vcc, 32, v11
	v_cndmask_b32_e32 v7, 0, v7, vcc
	v_cndmask_b32_e32 v6, 3, v6, vcc
	v_cmp_ne_u64_e32 vcc, 0, v[6:7]
	v_cmp_ne_u32_e64 s[28:29], 0, v11
	s_or_b64 s[28:29], s[28:29], vcc
                                        ; implicit-def: $vgpr8
	s_and_saveexec_b64 vcc, s[28:29]
	s_xor_b64 s[28:29], exec, vcc
; %bb.16296:                            ;   in Loop: Header=BB4_16232 Depth=3
	v_min_i32_e32 v7, 31, v11
	v_lshl_or_b32 v7, v7, 2, v9
	v_and_or_b32 v8, v6, 3, v7
                                        ; implicit-def: $vgpr9
; %bb.16297:                            ;   in Loop: Header=BB4_16232 Depth=3
	s_andn2_saveexec_b64 s[28:29], s[28:29]
; %bb.16298:                            ;   in Loop: Header=BB4_16232 Depth=3
	v_mov_b32_e32 v8, v9
; %bb.16299:                            ;   in Loop: Header=BB4_16232 Depth=3
	s_or_b64 exec, exec, s[28:29]
.LBB4_16300:                            ;   in Loop: Header=BB4_16232 Depth=3
	s_or_b64 exec, exec, s[36:37]
                                        ; implicit-def: $vgpr9
.LBB4_16301:                            ;   in Loop: Header=BB4_16232 Depth=3
	s_andn2_saveexec_b64 s[28:29], s[34:35]
; %bb.16302:                            ;   in Loop: Header=BB4_16232 Depth=3
	v_or_b32_e32 v8, 0x7b, v9
; %bb.16303:                            ;   in Loop: Header=BB4_16232 Depth=3
	s_or_b64 exec, exec, s[28:29]
                                        ; implicit-def: $vgpr11
                                        ; implicit-def: $vgpr6_vgpr7
.LBB4_16304:                            ;   in Loop: Header=BB4_16232 Depth=3
	s_andn2_saveexec_b64 s[28:29], s[30:31]
	s_cbranch_execz .LBB4_16231
; %bb.16305:                            ;   in Loop: Header=BB4_16232 Depth=3
	v_cmp_ne_u64_e32 vcc, 0, v[6:7]
                                        ; implicit-def: $vgpr8
	s_and_saveexec_b64 s[30:31], vcc
	s_xor_b64 vcc, exec, s[30:31]
; %bb.16306:                            ;   in Loop: Header=BB4_16232 Depth=3
	v_or_b32_sdwa v8, v11, s47 dst_sel:DWORD dst_unused:UNUSED_PAD src0_sel:BYTE_3 src1_sel:DWORD
                                        ; implicit-def: $vgpr11
; %bb.16307:                            ;   in Loop: Header=BB4_16232 Depth=3
	s_andn2_saveexec_b64 s[30:31], vcc
	s_cbranch_execz .LBB4_16230
; %bb.16308:                            ;   in Loop: Header=BB4_16232 Depth=3
	v_cmp_lt_i32_e32 vcc, -1, v11
	v_cndmask_b32_e32 v8, -4, v52, vcc
	s_branch .LBB4_16230
.LBB4_16309:                            ;   in Loop: Header=BB4_7595 Depth=2
	s_or_b64 exec, exec, s[40:41]
.LBB4_16310:                            ;   in Loop: Header=BB4_7595 Depth=2
	buffer_load_dword v0, off, s[0:3], s33 offset:204 ; 4-byte Folded Reload
	s_waitcnt vmcnt(0)
	v_cmp_lt_i32_e64 s[28:29], 0, v0
	s_and_saveexec_b64 s[40:41], s[12:13]
	s_cbranch_execnz .LBB4_16311
; %bb.16953:                            ;   in Loop: Header=BB4_7595 Depth=2
	s_getpc_b64 s[98:99]
.Lpost_getpc22:
	s_add_u32 s98, s98, (.LBB4_7671-.Lpost_getpc22)&4294967295
	s_addc_u32 s99, s99, (.LBB4_7671-.Lpost_getpc22)>>32
	s_setpc_b64 s[98:99]
.LBB4_16311:                            ;   in Loop: Header=BB4_7595 Depth=2
	s_and_saveexec_b64 s[42:43], s[58:59]
	s_xor_b64 s[42:43], exec, s[42:43]
	s_cbranch_execz .LBB4_16326
; %bb.16312:                            ;   in Loop: Header=BB4_7595 Depth=2
	s_and_saveexec_b64 s[30:31], s[6:7]
	s_cbranch_execz .LBB4_16325
; %bb.16313:                            ;   in Loop: Header=BB4_7595 Depth=2
	s_mov_b64 s[36:37], exec
	v_mbcnt_lo_u32_b32 v0, s36, 0
	v_mbcnt_hi_u32_b32 v0, s37, v0
	v_cmp_eq_u32_e32 vcc, 0, v0
	s_waitcnt vmcnt(0) lgkmcnt(0)
	buffer_wbinvl1_vol
	s_and_saveexec_b64 s[34:35], vcc
	s_cbranch_execz .LBB4_16315
; %bb.16314:                            ;   in Loop: Header=BB4_7595 Depth=2
	s_bcnt1_i32_b64 vcc_lo, s[36:37]
	v_mov_b32_e32 v0, vcc_lo
	v_mov_b32_e32 v1, v17
	ds_add_u64 v0, v[0:1]
	s_trap 2
.LBB4_16315:                            ;   in Loop: Header=BB4_7595 Depth=2
	s_or_b64 exec, exec, s[34:35]
	s_trap 2
	ds_read_b64 v[0:1], v0
	s_waitcnt lgkmcnt(0)
	buffer_load_dword v2, off, s[0:3], s33 offset:76 ; 4-byte Folded Reload
	buffer_load_dword v3, off, s[0:3], s33 offset:80 ; 4-byte Folded Reload
	;; [unrolled: 1-line block ×3, first 2 shown]
	s_waitcnt vmcnt(0)
	v_add_co_u32_e32 v2, vcc, v2, v4
	v_addc_co_u32_e32 v3, vcc, 0, v3, vcc
	buffer_store_dword v2, off, s[0:3], s33 offset:76 ; 4-byte Folded Spill
	s_nop 0
	buffer_store_dword v3, off, s[0:3], s33 offset:80 ; 4-byte Folded Spill
	v_cmp_lt_u64_e32 vcc, v[0:1], v[2:3]
	s_and_saveexec_b64 s[34:35], vcc
	s_cbranch_execz .LBB4_16324
; %bb.16316:                            ;   in Loop: Header=BB4_7595 Depth=2
	s_mov_b32 s54, 0
	s_mov_b64 s[36:37], 0
                                        ; implicit-def: $sgpr38_sgpr39
                                        ; implicit-def: $sgpr48_sgpr49
	s_branch .LBB4_16318
.LBB4_16317:                            ;   in Loop: Header=BB4_16318 Depth=3
	s_or_b64 exec, exec, s[52:53]
	s_and_b64 vcc, exec, vcc
	s_or_b64 s[36:37], vcc, s[36:37]
	s_andn2_b64 vcc, s[38:39], exec
	s_and_b64 s[38:39], s[48:49], exec
	s_or_b64 s[38:39], vcc, s[38:39]
	s_andn2_b64 exec, exec, s[36:37]
	s_cbranch_execz .LBB4_16322
.LBB4_16318:                            ;   Parent Loop BB4_47 Depth=1
                                        ;     Parent Loop BB4_7595 Depth=2
                                        ; =>    This Inner Loop Header: Depth=3
	s_add_i32 s54, s54, 1
	s_cmpk_lg_i32 s54, 0x2710
	s_cselect_b64 s[50:51], -1, 0
	s_and_b64 vcc, exec, s[50:51]
	s_cbranch_vccz .LBB4_16320
; %bb.16319:                            ;   in Loop: Header=BB4_16318 Depth=3
	s_mov_b64 vcc, -1
	s_or_b64 s[48:49], s[48:49], exec
	s_and_saveexec_b64 s[52:53], s[50:51]
	s_cbranch_execz .LBB4_16317
	s_branch .LBB4_16321
.LBB4_16320:                            ;   in Loop: Header=BB4_16318 Depth=3
	s_trap 2
	ds_read_b64 v[0:1], v0
	s_andn2_b64 s[50:51], s[50:51], exec
	s_mov_b32 s54, 0
	s_waitcnt vmcnt(0) lgkmcnt(0)
	flat_load_dword v0, v[0:1] glc
	s_waitcnt vmcnt(0) lgkmcnt(0)
	buffer_wbinvl1_vol
	v_cmp_eq_u32_e32 vcc, 0, v0
	s_and_b64 vcc, vcc, exec
	s_or_b64 s[50:51], s[50:51], vcc
	s_mov_b64 vcc, -1
	s_or_b64 s[48:49], s[48:49], exec
	s_and_saveexec_b64 s[52:53], s[50:51]
	s_cbranch_execz .LBB4_16317
.LBB4_16321:                            ;   in Loop: Header=BB4_16318 Depth=3
	s_sleep 1
	s_trap 2
	ds_read_b64 v[0:1], v0
	s_waitcnt lgkmcnt(0)
	buffer_load_dword v2, off, s[0:3], s33 offset:76 ; 4-byte Folded Reload
	buffer_load_dword v3, off, s[0:3], s33 offset:80 ; 4-byte Folded Reload
	s_andn2_b64 s[48:49], s[48:49], exec
	s_waitcnt vmcnt(0)
	v_cmp_ge_u64_e32 vcc, v[0:1], v[2:3]
	s_orn2_b64 vcc, vcc, exec
	s_branch .LBB4_16317
.LBB4_16322:                            ;   in Loop: Header=BB4_7595 Depth=2
	s_or_b64 exec, exec, s[36:37]
	s_and_saveexec_b64 vcc, s[38:39]
	s_xor_b64 vcc, exec, vcc
	s_cbranch_execz .LBB4_16324
; %bb.16323:                            ;   in Loop: Header=BB4_7595 Depth=2
	v_mov_b32_e32 v0, 1
	ds_write_b32 v0, v0
	s_trap 2
.LBB4_16324:                            ;   in Loop: Header=BB4_7595 Depth=2
	s_or_b64 exec, exec, s[34:35]
	;;#ASMSTART
	s_wakeup
	;;#ASMEND
.LBB4_16325:                            ;   in Loop: Header=BB4_7595 Depth=2
	s_or_b64 exec, exec, s[30:31]
.LBB4_16326:                            ;   in Loop: Header=BB4_7595 Depth=2
	s_andn2_saveexec_b64 s[42:43], s[42:43]
	s_cbranch_execz .LBB4_16328
; %bb.16327:                            ;   in Loop: Header=BB4_7595 Depth=2
	s_waitcnt vmcnt(0) lgkmcnt(0)
	buffer_wbinvl1_vol
	s_barrier
.LBB4_16328:                            ;   in Loop: Header=BB4_7595 Depth=2
	s_or_b64 exec, exec, s[42:43]
	s_or_b64 exec, exec, s[40:41]
                                        ; implicit-def: $vgpr0
	s_and_saveexec_b64 s[40:41], s[18:19]
	s_xor_b64 s[40:41], exec, s[40:41]
	s_cbranch_execz .LBB4_16329
; %bb.16955:                            ;   in Loop: Header=BB4_7595 Depth=2
	s_getpc_b64 s[98:99]
.Lpost_getpc23:
	s_add_u32 s98, s98, (.LBB4_7672-.Lpost_getpc23)&4294967295
	s_addc_u32 s99, s99, (.LBB4_7672-.Lpost_getpc23)>>32
	s_setpc_b64 s[98:99]
.LBB4_16329:                            ;   in Loop: Header=BB4_7595 Depth=2
	s_andn2_saveexec_b64 s[28:29], s[40:41]
	s_cbranch_execz .LBB4_16348
.LBB4_16330:                            ;   in Loop: Header=BB4_7595 Depth=2
	s_and_saveexec_b64 s[40:41], s[58:59]
	s_xor_b64 s[40:41], exec, s[40:41]
	s_cbranch_execz .LBB4_16345
; %bb.16331:                            ;   in Loop: Header=BB4_7595 Depth=2
	s_and_saveexec_b64 s[42:43], s[6:7]
	s_cbranch_execz .LBB4_16344
; %bb.16332:                            ;   in Loop: Header=BB4_7595 Depth=2
	s_mov_b64 s[34:35], exec
	v_mbcnt_lo_u32_b32 v0, s34, 0
	v_mbcnt_hi_u32_b32 v0, s35, v0
	v_cmp_eq_u32_e32 vcc, 0, v0
	;;#ASMSTART
	s_waitcnt lgkmcnt(0) vmcnt(0)
	;;#ASMEND
	s_and_saveexec_b64 s[30:31], vcc
	s_cbranch_execz .LBB4_16334
; %bb.16333:                            ;   in Loop: Header=BB4_7595 Depth=2
	s_bcnt1_i32_b64 vcc_lo, s[34:35]
	v_mov_b32_e32 v0, vcc_lo
	v_mov_b32_e32 v1, v17
	s_waitcnt lgkmcnt(0)
	ds_add_u64 v0, v[0:1]
	s_trap 2
.LBB4_16334:                            ;   in Loop: Header=BB4_7595 Depth=2
	s_or_b64 exec, exec, s[30:31]
	s_trap 2
	ds_read_b64 v[0:1], v0
	s_waitcnt lgkmcnt(0)
	buffer_load_dword v2, off, s[0:3], s33 offset:76 ; 4-byte Folded Reload
	buffer_load_dword v3, off, s[0:3], s33 offset:80 ; 4-byte Folded Reload
	;; [unrolled: 1-line block ×3, first 2 shown]
	s_waitcnt vmcnt(0)
	v_add_co_u32_e32 v2, vcc, v2, v4
	v_addc_co_u32_e32 v3, vcc, 0, v3, vcc
	buffer_store_dword v2, off, s[0:3], s33 offset:76 ; 4-byte Folded Spill
	s_nop 0
	buffer_store_dword v3, off, s[0:3], s33 offset:80 ; 4-byte Folded Spill
	v_cmp_lt_u64_e32 vcc, v[0:1], v[2:3]
	s_and_saveexec_b64 s[30:31], vcc
	s_cbranch_execz .LBB4_16343
; %bb.16335:                            ;   in Loop: Header=BB4_7595 Depth=2
	s_mov_b32 s52, 0
	s_mov_b64 s[34:35], 0
                                        ; implicit-def: $sgpr36_sgpr37
                                        ; implicit-def: $sgpr38_sgpr39
	s_branch .LBB4_16337
.LBB4_16336:                            ;   in Loop: Header=BB4_16337 Depth=3
	s_or_b64 exec, exec, s[50:51]
	s_and_b64 vcc, exec, vcc
	s_or_b64 s[34:35], vcc, s[34:35]
	s_andn2_b64 vcc, s[36:37], exec
	s_and_b64 s[36:37], s[38:39], exec
	s_or_b64 s[36:37], vcc, s[36:37]
	s_andn2_b64 exec, exec, s[34:35]
	s_cbranch_execz .LBB4_16341
.LBB4_16337:                            ;   Parent Loop BB4_47 Depth=1
                                        ;     Parent Loop BB4_7595 Depth=2
                                        ; =>    This Inner Loop Header: Depth=3
	s_add_i32 s52, s52, 1
	s_cmpk_lg_i32 s52, 0x2710
	s_cselect_b64 s[48:49], -1, 0
	s_and_b64 vcc, exec, s[48:49]
	s_cbranch_vccz .LBB4_16339
; %bb.16338:                            ;   in Loop: Header=BB4_16337 Depth=3
	s_mov_b64 vcc, -1
	s_or_b64 s[38:39], s[38:39], exec
	s_and_saveexec_b64 s[50:51], s[48:49]
	s_cbranch_execz .LBB4_16336
	s_branch .LBB4_16340
.LBB4_16339:                            ;   in Loop: Header=BB4_16337 Depth=3
	s_trap 2
	ds_read_b64 v[0:1], v0
	s_andn2_b64 s[48:49], s[48:49], exec
	s_mov_b32 s52, 0
	s_waitcnt vmcnt(0) lgkmcnt(0)
	flat_load_dword v0, v[0:1] glc
	s_waitcnt vmcnt(0) lgkmcnt(0)
	buffer_wbinvl1_vol
	v_cmp_eq_u32_e32 vcc, 0, v0
	s_and_b64 vcc, vcc, exec
	s_or_b64 s[48:49], s[48:49], vcc
	s_mov_b64 vcc, -1
	s_or_b64 s[38:39], s[38:39], exec
	s_and_saveexec_b64 s[50:51], s[48:49]
	s_cbranch_execz .LBB4_16336
.LBB4_16340:                            ;   in Loop: Header=BB4_16337 Depth=3
	s_sleep 1
	s_trap 2
	ds_read_b64 v[0:1], v0
	s_waitcnt lgkmcnt(0)
	buffer_load_dword v2, off, s[0:3], s33 offset:76 ; 4-byte Folded Reload
	buffer_load_dword v3, off, s[0:3], s33 offset:80 ; 4-byte Folded Reload
	s_andn2_b64 s[38:39], s[38:39], exec
	s_waitcnt vmcnt(0)
	v_cmp_ge_u64_e32 vcc, v[0:1], v[2:3]
	s_orn2_b64 vcc, vcc, exec
	s_branch .LBB4_16336
.LBB4_16341:                            ;   in Loop: Header=BB4_7595 Depth=2
	s_or_b64 exec, exec, s[34:35]
	s_and_saveexec_b64 vcc, s[36:37]
	s_xor_b64 vcc, exec, vcc
	s_cbranch_execz .LBB4_16343
; %bb.16342:                            ;   in Loop: Header=BB4_7595 Depth=2
	v_mov_b32_e32 v0, 1
	ds_write_b32 v0, v0
	s_trap 2
.LBB4_16343:                            ;   in Loop: Header=BB4_7595 Depth=2
	s_or_b64 exec, exec, s[30:31]
	;;#ASMSTART
	s_wakeup
	;;#ASMEND
.LBB4_16344:                            ;   in Loop: Header=BB4_7595 Depth=2
	s_or_b64 exec, exec, s[42:43]
.LBB4_16345:                            ;   in Loop: Header=BB4_7595 Depth=2
	s_andn2_saveexec_b64 s[40:41], s[40:41]
	s_cbranch_execz .LBB4_16347
; %bb.16346:                            ;   in Loop: Header=BB4_7595 Depth=2
	;;#ASMSTART
	s_waitcnt lgkmcnt(0) vmcnt(0)
	;;#ASMEND
	s_waitcnt vmcnt(0) lgkmcnt(0)
	s_barrier
.LBB4_16347:                            ;   in Loop: Header=BB4_7595 Depth=2
	s_or_b64 exec, exec, s[40:41]
	buffer_load_dword v0, off, s[0:3], s33 offset:72 ; 4-byte Folded Reload
	s_waitcnt vmcnt(0)
	v_and_b32_e32 v0, 16, v0
.LBB4_16348:                            ;   in Loop: Header=BB4_7595 Depth=2
	s_or_b64 exec, exec, s[28:29]
	v_cmp_ne_u32_e32 vcc, 0, v0
	s_xor_b64 s[28:29], s[20:21], -1
	s_and_b64 s[40:41], vcc, s[28:29]
	s_and_saveexec_b64 s[28:29], s[40:41]
	s_cbranch_execz .LBB4_16350
; %bb.16349:                            ;   in Loop: Header=BB4_7595 Depth=2
	buffer_load_dword v0, off, s[0:3], s33 offset:140 ; 4-byte Folded Reload
	buffer_load_dword v1, off, s[0:3], s33 offset:144 ; 4-byte Folded Reload
	v_mov_b32_e32 v2, 1
	s_waitcnt vmcnt(0)
	flat_store_dword v[0:1], v2
.LBB4_16350:                            ;   in Loop: Header=BB4_7595 Depth=2
	s_or_b64 exec, exec, s[28:29]
	buffer_load_dword v0, off, s[0:3], s33 offset:72 ; 4-byte Folded Reload
	s_waitcnt vmcnt(0)
	v_and_b32_e32 v0, 48, v0
	v_cmp_ne_u32_e32 vcc, 0, v0
	s_and_saveexec_b64 s[28:29], vcc
	s_cbranch_execnz .LBB4_16351
; %bb.16957:                            ;   in Loop: Header=BB4_7595 Depth=2
	s_getpc_b64 s[98:99]
.Lpost_getpc24:
	s_add_u32 s98, s98, (.LBB4_7594-.Lpost_getpc24)&4294967295
	s_addc_u32 s99, s99, (.LBB4_7594-.Lpost_getpc24)>>32
	s_setpc_b64 s[98:99]
.LBB4_16351:                            ;   in Loop: Header=BB4_7595 Depth=2
	buffer_load_dword v2, off, s[0:3], s33 offset:84 ; 4-byte Folded Reload
	buffer_load_dword v3, off, s[0:3], s33 offset:88 ; 4-byte Folded Reload
	;; [unrolled: 1-line block ×4, first 2 shown]
	s_waitcnt vmcnt(0)
	v_add_co_u32_e32 v2, vcc, 2, v2
	v_addc_co_u32_e32 v3, vcc, 0, v3, vcc
	buffer_store_dword v2, off, s[0:3], s33 offset:84 ; 4-byte Folded Spill
	s_nop 0
	buffer_store_dword v3, off, s[0:3], s33 offset:88 ; 4-byte Folded Spill
	flat_store_dwordx2 v[0:1], v[2:3]
; %bb.16935:                            ;   in Loop: Header=BB4_7595 Depth=2
	s_getpc_b64 s[98:99]
.Lpost_getpc13:
	s_add_u32 s98, s98, (.LBB4_7594-.Lpost_getpc13)&4294967295
	s_addc_u32 s99, s99, (.LBB4_7594-.Lpost_getpc13)>>32
	s_setpc_b64 s[98:99]
.LBB4_16352:                            ;   in Loop: Header=BB4_47 Depth=1
	s_or_b64 exec, exec, s[90:91]
	v_cmp_gt_i32_e32 vcc, 2, v2
	s_and_saveexec_b64 s[40:41], vcc
	s_cbranch_execz .LBB4_16428
.LBB4_16353:                            ;   in Loop: Header=BB4_47 Depth=1
	buffer_load_dword v9, off, s[0:3], s33 offset:100 ; 4-byte Folded Reload
	buffer_load_dword v10, off, s[0:3], s33 offset:104 ; 4-byte Folded Reload
	;; [unrolled: 1-line block ×3, first 2 shown]
	v_cmp_eq_u32_e64 s[90:91], 0, v2
	s_mov_b64 s[42:43], 0
	s_branch .LBB4_16355
.LBB4_16354:                            ;   in Loop: Header=BB4_16355 Depth=2
	s_or_b64 exec, exec, s[28:29]
	v_mov_b32_e32 v0, v10
	v_add_u32_e32 v0, v9, v0
	s_mov_b64 s[90:91], 0
	s_andn2_b64 exec, exec, s[42:43]
	s_cbranch_execz .LBB4_16429
.LBB4_16355:                            ;   Parent Loop BB4_47 Depth=1
                                        ; =>  This Loop Header: Depth=2
                                        ;       Child Loop BB4_16361 Depth 3
                                        ;       Child Loop BB4_16389 Depth 3
	;; [unrolled: 1-line block ×3, first 2 shown]
	s_waitcnt vmcnt(0)
	v_mov_b32_e32 v10, v0
	v_sub_u32_e32 v0, v47, v0
	v_min_i32_e32 v9, v9, v0
	buffer_load_dword v0, off, s[0:3], s33 offset:72 ; 4-byte Folded Reload
	s_waitcnt vmcnt(0)
	v_and_b32_e32 v0, 12, v0
	v_cmp_ne_u32_e32 vcc, 0, v0
	s_and_saveexec_b64 s[92:93], vcc
	s_cbranch_execz .LBB4_16381
; %bb.16356:                            ;   in Loop: Header=BB4_16355 Depth=2
	buffer_load_dword v0, off, s[0:3], s33 offset:72 ; 4-byte Folded Reload
	s_waitcnt vmcnt(0)
	v_and_b32_e32 v8, 8, v0
	buffer_load_dword v0, off, s[0:3], s33 offset:56 ; 4-byte Folded Reload
	buffer_load_dword v1, off, s[0:3], s33 offset:60 ; 4-byte Folded Reload
	s_waitcnt vmcnt(0)
	v_add_co_u32_e32 v2, vcc, v0, v8
	v_addc_co_u32_e32 v3, vcc, 0, v1, vcc
	buffer_load_dword v0, off, s[0:3], s33 offset:84 ; 4-byte Folded Reload
	buffer_load_dword v1, off, s[0:3], s33 offset:88 ; 4-byte Folded Reload
	s_waitcnt vmcnt(0)
	v_add_co_u32_e32 v0, vcc, 2, v0
	v_addc_co_u32_e32 v1, vcc, 0, v1, vcc
	v_cmp_lt_u64_e32 vcc, v[2:3], v[0:1]
	s_and_saveexec_b64 s[94:95], vcc
	s_cbranch_execz .LBB4_16368
; %bb.16357:                            ;   in Loop: Header=BB4_16355 Depth=2
	buffer_load_dword v2, off, s[0:3], s33 offset:72 ; 4-byte Folded Reload
	s_mov_b32 s8, 0
	s_mov_b64 s[30:31], 0
                                        ; implicit-def: $sgpr34_sgpr35
                                        ; implicit-def: $sgpr36_sgpr37
                                        ; implicit-def: $sgpr38_sgpr39
	s_waitcnt vmcnt(0)
	v_and_b32_e32 v2, 64, v2
	v_cmp_eq_u32_e32 vcc, 0, v2
	s_branch .LBB4_16361
.LBB4_16358:                            ;   in Loop: Header=BB4_16361 Depth=3
	buffer_load_dword v3, off, s[0:3], s33 offset:56 ; 4-byte Folded Reload
	buffer_load_dword v4, off, s[0:3], s33 offset:60 ; 4-byte Folded Reload
	s_or_b64 s[52:53], s[52:53], exec
	s_waitcnt vmcnt(1)
	v_add_co_u32_e64 v3, s[28:29], v3, v8
	s_waitcnt vmcnt(0)
	v_addc_co_u32_e64 v4, s[28:29], 0, v4, s[28:29]
	v_cmp_ge_u64_e64 s[28:29], v[3:4], v[0:1]
	s_orn2_b64 s[50:51], s[28:29], exec
.LBB4_16359:                            ;   in Loop: Header=BB4_16361 Depth=3
	s_or_b64 exec, exec, s[64:65]
	s_andn2_b64 s[28:29], s[38:39], exec
	s_and_b64 s[38:39], s[52:53], exec
	s_or_b64 s[38:39], s[28:29], s[38:39]
	s_andn2_b64 s[28:29], s[36:37], exec
	s_and_b64 s[36:37], s[50:51], exec
	s_or_b64 s[36:37], s[28:29], s[36:37]
.LBB4_16360:                            ;   in Loop: Header=BB4_16361 Depth=3
	s_or_b64 exec, exec, s[48:49]
	s_and_b64 s[28:29], exec, s[36:37]
	s_or_b64 s[30:31], s[28:29], s[30:31]
	s_andn2_b64 s[28:29], s[34:35], exec
	s_and_b64 s[34:35], s[38:39], exec
	s_or_b64 s[34:35], s[28:29], s[34:35]
	s_andn2_b64 exec, exec, s[30:31]
	s_cbranch_execz .LBB4_16365
.LBB4_16361:                            ;   Parent Loop BB4_47 Depth=1
                                        ;     Parent Loop BB4_16355 Depth=2
                                        ; =>    This Inner Loop Header: Depth=3
	s_sleep 1
	buffer_load_dword v2, off, s[0:3], s33 offset:64 ; 4-byte Folded Reload
	buffer_load_dword v3, off, s[0:3], s33 offset:68 ; 4-byte Folded Reload
	s_or_b64 s[38:39], s[38:39], exec
	s_or_b64 s[36:37], s[36:37], exec
	s_waitcnt vmcnt(0)
	flat_load_dwordx2 v[2:3], v[2:3] glc
	s_waitcnt vmcnt(0) lgkmcnt(0)
	buffer_store_dword v2, off, s[0:3], s33 offset:56 ; 4-byte Folded Spill
	s_nop 0
	buffer_store_dword v3, off, s[0:3], s33 offset:60 ; 4-byte Folded Spill
                                        ; implicit-def: $vgpr2
	s_and_saveexec_b64 s[48:49], vcc
	s_cbranch_execz .LBB4_16360
; %bb.16362:                            ;   in Loop: Header=BB4_16361 Depth=3
	s_cmpk_lt_i32 s8, 0x270f
	s_cselect_b64 s[54:55], -1, 0
	s_cmpk_gt_i32 s8, 0x270e
	s_mov_b64 s[50:51], -1
	s_cbranch_scc0 .LBB4_16364
; %bb.16363:                            ;   in Loop: Header=BB4_16361 Depth=3
	s_trap 2
	ds_read_b64 v[2:3], v0
	s_andn2_b64 s[54:55], s[54:55], exec
	s_mov_b32 s8, 0
	s_mov_b64 s[52:53], 0
	s_waitcnt vmcnt(0) lgkmcnt(0)
	flat_load_dword v2, v[2:3] glc
	s_waitcnt vmcnt(0) lgkmcnt(0)
	buffer_wbinvl1_vol
	v_cmp_eq_u32_e64 s[28:29], 0, v2
	s_and_b64 s[28:29], s[28:29], exec
	s_or_b64 s[54:55], s[54:55], s[28:29]
	s_and_saveexec_b64 s[64:65], s[54:55]
	s_cbranch_execz .LBB4_16359
	s_branch .LBB4_16358
.LBB4_16364:                            ;   in Loop: Header=BB4_16361 Depth=3
	s_add_i32 s8, s8, 1
	s_mov_b64 s[52:53], -1
                                        ; implicit-def: $vgpr2
	s_and_saveexec_b64 s[64:65], s[54:55]
	s_cbranch_execz .LBB4_16359
	s_branch .LBB4_16358
.LBB4_16365:                            ;   in Loop: Header=BB4_16355 Depth=2
	s_or_b64 exec, exec, s[30:31]
	s_xor_b64 s[28:29], s[34:35], -1
	s_and_saveexec_b64 vcc, s[28:29]
	s_xor_b64 s[28:29], exec, vcc
	s_cbranch_execz .LBB4_16367
; %bb.16366:                            ;   in Loop: Header=BB4_16355 Depth=2
	ds_write_b32 v0, v2
	s_trap 2
	buffer_load_dword v2, off, s[0:3], s33 offset:72 ; 4-byte Folded Reload
	s_waitcnt vmcnt(0)
	v_or_b32_e32 v2, 64, v2
	buffer_store_dword v2, off, s[0:3], s33 offset:72 ; 4-byte Folded Spill
.LBB4_16367:                            ;   in Loop: Header=BB4_16355 Depth=2
	s_or_b64 exec, exec, s[28:29]
.LBB4_16368:                            ;   in Loop: Header=BB4_16355 Depth=2
	s_or_b64 exec, exec, s[94:95]
	;;#ASMSTART
	s_wakeup
	;;#ASMEND
	buffer_load_dword v2, off, s[0:3], s33 offset:72 ; 4-byte Folded Reload
	s_waitcnt vmcnt(0)
	v_and_b32_e32 v2, 0x108, v2
	v_cmp_ne_u32_e32 vcc, s9, v2
                                        ; implicit-def: $vgpr2_vgpr3
	s_and_saveexec_b64 s[28:29], vcc
	s_xor_b64 s[28:29], exec, s[28:29]
	s_cbranch_execz .LBB4_16370
; %bb.16369:                            ;   in Loop: Header=BB4_16355 Depth=2
	buffer_load_dword v2, off, s[0:3], s33 offset:84 ; 4-byte Folded Reload
	buffer_load_dword v3, off, s[0:3], s33 offset:88 ; 4-byte Folded Reload
	s_waitcnt vmcnt(0)
	v_mov_b32_e32 v3, v17
                                        ; implicit-def: $vgpr4_vgpr5
                                        ; kill: killed $vgpr4_vgpr5
	v_and_b32_e32 v2, 7, v2
.LBB4_16370:                            ;   in Loop: Header=BB4_16355 Depth=2
	s_andn2_saveexec_b64 s[28:29], s[28:29]
	s_cbranch_execz .LBB4_16372
; %bb.16371:                            ;   in Loop: Header=BB4_16355 Depth=2
	buffer_load_dword v2, off, s[0:3], s33 offset:84 ; 4-byte Folded Reload
	buffer_load_dword v3, off, s[0:3], s33 offset:88 ; 4-byte Folded Reload
	;; [unrolled: 1-line block ×6, first 2 shown]
	s_waitcnt vmcnt(0)
	v_mov_b32_e32 v6, v9
	v_ashrrev_i32_e32 v7, 31, v6
	v_and_b32_e32 v2, 7, v2
	v_mad_u64_u32 v[4:5], s[94:95], v2, 24, v[3:4]
	v_mov_b32_e32 v3, v17
	flat_store_dwordx2 v[4:5], v[6:7] offset:8
.LBB4_16372:                            ;   in Loop: Header=BB4_16355 Depth=2
	s_or_b64 exec, exec, s[28:29]
	buffer_load_dword v4, off, s[0:3], s33 offset:72 ; 4-byte Folded Reload
	s_mov_b64 s[28:29], -1
	s_waitcnt vmcnt(0)
	v_and_b32_e32 v4, 0x100, v4
	v_cmp_ne_u32_e32 vcc, 0, v4
                                        ; implicit-def: $vgpr4_vgpr5
	s_and_saveexec_b64 s[94:95], vcc
	s_cbranch_execz .LBB4_16376
; %bb.16373:                            ;   in Loop: Header=BB4_16355 Depth=2
	buffer_load_dword v4, off, s[0:3], s33 offset:124 ; 4-byte Folded Reload
	buffer_load_dword v5, off, s[0:3], s33 offset:128 ; 4-byte Folded Reload
	;; [unrolled: 1-line block ×4, first 2 shown]
	s_waitcnt vmcnt(0)
	v_mad_u64_u32 v[6:7], s[28:29], v2, 24, v[4:5]
	v_mov_b32_e32 v4, v7
	v_mad_u64_u32 v[4:5], s[28:29], v3, 24, v[4:5]
	v_mov_b32_e32 v7, v4
	flat_load_dword v4, v[6:7]
	s_waitcnt vmcnt(0) lgkmcnt(0)
	v_cmp_ne_u32_e32 vcc, 1, v4
	v_cmp_eq_u32_e64 s[28:29], 1, v4
                                        ; implicit-def: $vgpr4_vgpr5
	s_and_saveexec_b64 s[30:31], s[28:29]
	s_cbranch_execz .LBB4_16375
; %bb.16374:                            ;   in Loop: Header=BB4_16355 Depth=2
	flat_load_dword v4, v[6:7] offset:4 glc
	s_waitcnt vmcnt(0) lgkmcnt(0)
	v_ashrrev_i32_e32 v5, 31, v4
.LBB4_16375:                            ;   in Loop: Header=BB4_16355 Depth=2
	s_or_b64 exec, exec, s[30:31]
	s_orn2_b64 s[28:29], vcc, exec
.LBB4_16376:                            ;   in Loop: Header=BB4_16355 Depth=2
	s_or_b64 exec, exec, s[94:95]
	s_and_saveexec_b64 s[94:95], s[28:29]
	s_cbranch_execz .LBB4_16378
; %bb.16377:                            ;   in Loop: Header=BB4_16355 Depth=2
	buffer_load_dword v4, off, s[0:3], s33 offset:152 ; 4-byte Folded Reload
	buffer_load_dword v5, off, s[0:3], s33 offset:172 ; 4-byte Folded Reload
	s_waitcnt vmcnt(0)
	v_mul_lo_u32 v3, v3, v4
	v_mul_lo_u32 v6, v2, v5
	v_mad_u64_u32 v[4:5], s[28:29], v2, v4, 0
	v_add3_u32 v5, v5, v6, v3
.LBB4_16378:                            ;   in Loop: Header=BB4_16355 Depth=2
	s_or_b64 exec, exec, s[94:95]
	v_cmp_eq_u32_e32 vcc, 0, v8
	v_mov_b32_e32 v2, 0x90
	v_mov_b32_e32 v3, 0xd0
	v_cndmask_b32_e32 v6, v3, v2, vcc
	buffer_load_dword v2, off, s[0:3], s33 offset:116 ; 4-byte Folded Reload
	buffer_load_dword v3, off, s[0:3], s33 offset:120 ; 4-byte Folded Reload
	s_waitcnt vmcnt(0)
	v_add_co_u32_e32 v2, vcc, v2, v4
	v_addc_co_u32_e32 v3, vcc, v3, v5, vcc
	v_add_u32_e32 v4, v0, v6
	ds_write_b64 v4, v[2:3] offset:584
	buffer_load_dword v2, off, s[0:3], s33 offset:72 ; 4-byte Folded Reload
	s_waitcnt vmcnt(0)
	v_and_b32_e32 v2, 0x2000, v2
	v_cmp_ne_u32_e32 vcc, 0, v2
	s_and_saveexec_b64 s[28:29], vcc
	s_cbranch_execz .LBB4_16380
; %bb.16379:                            ;   in Loop: Header=BB4_16355 Depth=2
	ds_read_b64 v[2:3], v0 offset:872
	s_waitcnt lgkmcnt(0)
	v_add_co_u32_e32 v2, vcc, 1, v2
	v_addc_co_u32_e32 v3, vcc, 0, v3, vcc
	ds_write_b64 v0, v[2:3] offset:872
.LBB4_16380:                            ;   in Loop: Header=BB4_16355 Depth=2
	s_or_b64 exec, exec, s[28:29]
	buffer_store_dword v0, off, s[0:3], s33 offset:84 ; 4-byte Folded Spill
	s_nop 0
	buffer_store_dword v1, off, s[0:3], s33 offset:88 ; 4-byte Folded Spill
.LBB4_16381:                            ;   in Loop: Header=BB4_16355 Depth=2
	s_or_b64 exec, exec, s[92:93]
	s_xor_b64 s[28:29], s[90:91], -1
	s_and_b64 s[28:29], exec, s[28:29]
	s_or_b64 s[42:43], s[28:29], s[42:43]
	s_and_saveexec_b64 s[28:29], s[12:13]
	s_cbranch_execz .LBB4_16400
; %bb.16382:                            ;   in Loop: Header=BB4_16355 Depth=2
	s_and_saveexec_b64 s[90:91], s[58:59]
	s_xor_b64 s[90:91], exec, s[90:91]
	s_cbranch_execz .LBB4_16397
; %bb.16383:                            ;   in Loop: Header=BB4_16355 Depth=2
	s_and_saveexec_b64 s[92:93], s[6:7]
	s_cbranch_execz .LBB4_16396
; %bb.16384:                            ;   in Loop: Header=BB4_16355 Depth=2
	s_mov_b64 s[30:31], exec
	v_mbcnt_lo_u32_b32 v0, s30, 0
	v_mbcnt_hi_u32_b32 v0, s31, v0
	v_cmp_eq_u32_e32 vcc, 0, v0
	s_waitcnt vmcnt(0) lgkmcnt(0)
	buffer_wbinvl1_vol
	s_and_saveexec_b64 s[94:95], vcc
	s_cbranch_execz .LBB4_16386
; %bb.16385:                            ;   in Loop: Header=BB4_16355 Depth=2
	s_bcnt1_i32_b64 s8, s[30:31]
	v_mov_b32_e32 v0, s8
	v_mov_b32_e32 v1, v17
	ds_add_u64 v0, v[0:1]
	s_trap 2
.LBB4_16386:                            ;   in Loop: Header=BB4_16355 Depth=2
	s_or_b64 exec, exec, s[94:95]
	s_trap 2
	ds_read_b64 v[0:1], v0
	s_waitcnt lgkmcnt(0)
	buffer_load_dword v2, off, s[0:3], s33 offset:76 ; 4-byte Folded Reload
	buffer_load_dword v3, off, s[0:3], s33 offset:80 ; 4-byte Folded Reload
	;; [unrolled: 1-line block ×3, first 2 shown]
	s_waitcnt vmcnt(0)
	v_add_co_u32_e32 v2, vcc, v2, v4
	v_addc_co_u32_e32 v3, vcc, 0, v3, vcc
	buffer_store_dword v2, off, s[0:3], s33 offset:76 ; 4-byte Folded Spill
	s_nop 0
	buffer_store_dword v3, off, s[0:3], s33 offset:80 ; 4-byte Folded Spill
	v_cmp_lt_u64_e32 vcc, v[0:1], v[2:3]
	s_and_saveexec_b64 s[94:95], vcc
	s_cbranch_execz .LBB4_16395
; %bb.16387:                            ;   in Loop: Header=BB4_16355 Depth=2
	s_mov_b32 s8, 0
	s_mov_b64 s[30:31], 0
                                        ; implicit-def: $sgpr34_sgpr35
                                        ; implicit-def: $sgpr36_sgpr37
	s_branch .LBB4_16389
.LBB4_16388:                            ;   in Loop: Header=BB4_16389 Depth=3
	s_or_b64 exec, exec, s[48:49]
	s_and_b64 vcc, exec, vcc
	s_or_b64 s[30:31], vcc, s[30:31]
	s_andn2_b64 vcc, s[34:35], exec
	s_and_b64 s[34:35], s[36:37], exec
	s_or_b64 s[34:35], vcc, s[34:35]
	s_andn2_b64 exec, exec, s[30:31]
	s_cbranch_execz .LBB4_16393
.LBB4_16389:                            ;   Parent Loop BB4_47 Depth=1
                                        ;     Parent Loop BB4_16355 Depth=2
                                        ; =>    This Inner Loop Header: Depth=3
	s_add_i32 s8, s8, 1
	s_cmpk_lg_i32 s8, 0x2710
	s_cselect_b64 s[38:39], -1, 0
	s_and_b64 vcc, exec, s[38:39]
	s_cbranch_vccz .LBB4_16391
; %bb.16390:                            ;   in Loop: Header=BB4_16389 Depth=3
	s_mov_b64 vcc, -1
	s_or_b64 s[36:37], s[36:37], exec
	s_and_saveexec_b64 s[48:49], s[38:39]
	s_cbranch_execz .LBB4_16388
	s_branch .LBB4_16392
.LBB4_16391:                            ;   in Loop: Header=BB4_16389 Depth=3
	s_trap 2
	ds_read_b64 v[0:1], v0
	s_andn2_b64 s[38:39], s[38:39], exec
	s_mov_b32 s8, 0
	s_waitcnt vmcnt(0) lgkmcnt(0)
	flat_load_dword v0, v[0:1] glc
	s_waitcnt vmcnt(0) lgkmcnt(0)
	buffer_wbinvl1_vol
	v_cmp_eq_u32_e32 vcc, 0, v0
	s_and_b64 vcc, vcc, exec
	s_or_b64 s[38:39], s[38:39], vcc
	s_mov_b64 vcc, -1
	s_or_b64 s[36:37], s[36:37], exec
	s_and_saveexec_b64 s[48:49], s[38:39]
	s_cbranch_execz .LBB4_16388
.LBB4_16392:                            ;   in Loop: Header=BB4_16389 Depth=3
	s_sleep 1
	s_trap 2
	ds_read_b64 v[0:1], v0
	s_waitcnt lgkmcnt(0)
	buffer_load_dword v2, off, s[0:3], s33 offset:76 ; 4-byte Folded Reload
	buffer_load_dword v3, off, s[0:3], s33 offset:80 ; 4-byte Folded Reload
	s_andn2_b64 s[36:37], s[36:37], exec
	s_waitcnt vmcnt(0)
	v_cmp_ge_u64_e32 vcc, v[0:1], v[2:3]
	s_orn2_b64 vcc, vcc, exec
	s_branch .LBB4_16388
.LBB4_16393:                            ;   in Loop: Header=BB4_16355 Depth=2
	s_or_b64 exec, exec, s[30:31]
	s_and_saveexec_b64 vcc, s[34:35]
	s_xor_b64 vcc, exec, vcc
	s_cbranch_execz .LBB4_16395
; %bb.16394:                            ;   in Loop: Header=BB4_16355 Depth=2
	v_mov_b32_e32 v0, 1
	ds_write_b32 v0, v0
	s_trap 2
.LBB4_16395:                            ;   in Loop: Header=BB4_16355 Depth=2
	s_or_b64 exec, exec, s[94:95]
	;;#ASMSTART
	s_wakeup
	;;#ASMEND
.LBB4_16396:                            ;   in Loop: Header=BB4_16355 Depth=2
	s_or_b64 exec, exec, s[92:93]
.LBB4_16397:                            ;   in Loop: Header=BB4_16355 Depth=2
	s_andn2_saveexec_b64 s[90:91], s[90:91]
	s_cbranch_execz .LBB4_16399
; %bb.16398:                            ;   in Loop: Header=BB4_16355 Depth=2
	s_waitcnt vmcnt(0) lgkmcnt(0)
	buffer_wbinvl1_vol
	s_barrier
.LBB4_16399:                            ;   in Loop: Header=BB4_16355 Depth=2
	s_or_b64 exec, exec, s[90:91]
.LBB4_16400:                            ;   in Loop: Header=BB4_16355 Depth=2
	s_or_b64 exec, exec, s[28:29]
                                        ; implicit-def: $vgpr0
	s_and_saveexec_b64 s[28:29], s[18:19]
	s_xor_b64 s[28:29], exec, s[28:29]
	s_cbranch_execz .LBB4_16404
; %bb.16401:                            ;   in Loop: Header=BB4_16355 Depth=2
	s_trap 2
	buffer_load_dword v1, off, s[0:3], s33 offset:72 ; 4-byte Folded Reload
	ds_read_b32 v0, v0
	v_cmp_lt_i32_e32 vcc, 0, v9
	s_waitcnt lgkmcnt(0)
	v_readfirstlane_b32 s8, v0
	s_cmp_eq_u32 s8, 0
	s_cselect_b64 s[90:91], -1, 0
	s_and_b64 s[90:91], vcc, s[90:91]
	s_waitcnt vmcnt(0)
	v_and_b32_e32 v0, 16, v1
	v_and_b32_e32 v1, 16, v1
	v_cmp_ne_u32_e32 vcc, 0, v1
	s_and_b64 s[92:93], vcc, s[90:91]
	s_and_saveexec_b64 s[90:91], s[92:93]
	s_cbranch_execz .LBB4_16403
; %bb.16402:                            ;   in Loop: Header=BB4_16355 Depth=2
	v_mov_b32_e32 v0, 1
	buffer_wbinvl1_vol
.LBB4_16403:                            ;   in Loop: Header=BB4_16355 Depth=2
	s_or_b64 exec, exec, s[90:91]
	s_andn2_saveexec_b64 s[28:29], s[28:29]
	s_cbranch_execz .LBB4_16423
	s_branch .LBB4_16405
.LBB4_16404:                            ;   in Loop: Header=BB4_16355 Depth=2
	s_andn2_saveexec_b64 s[28:29], s[28:29]
	s_cbranch_execz .LBB4_16423
.LBB4_16405:                            ;   in Loop: Header=BB4_16355 Depth=2
	s_and_saveexec_b64 s[90:91], s[58:59]
	s_xor_b64 s[90:91], exec, s[90:91]
	s_cbranch_execz .LBB4_16420
; %bb.16406:                            ;   in Loop: Header=BB4_16355 Depth=2
	s_and_saveexec_b64 s[92:93], s[6:7]
	s_cbranch_execz .LBB4_16419
; %bb.16407:                            ;   in Loop: Header=BB4_16355 Depth=2
	s_mov_b64 s[30:31], exec
	v_mbcnt_lo_u32_b32 v0, s30, 0
	v_mbcnt_hi_u32_b32 v0, s31, v0
	v_cmp_eq_u32_e32 vcc, 0, v0
	;;#ASMSTART
	s_waitcnt lgkmcnt(0) vmcnt(0)
	;;#ASMEND
	s_and_saveexec_b64 s[94:95], vcc
	s_cbranch_execz .LBB4_16409
; %bb.16408:                            ;   in Loop: Header=BB4_16355 Depth=2
	s_bcnt1_i32_b64 s8, s[30:31]
	v_mov_b32_e32 v0, s8
	v_mov_b32_e32 v1, v17
	s_waitcnt lgkmcnt(0)
	ds_add_u64 v0, v[0:1]
	s_trap 2
.LBB4_16409:                            ;   in Loop: Header=BB4_16355 Depth=2
	s_or_b64 exec, exec, s[94:95]
	s_trap 2
	ds_read_b64 v[0:1], v0
	s_waitcnt lgkmcnt(0)
	buffer_load_dword v2, off, s[0:3], s33 offset:76 ; 4-byte Folded Reload
	buffer_load_dword v3, off, s[0:3], s33 offset:80 ; 4-byte Folded Reload
	buffer_load_dword v4, off, s[0:3], s33 offset:92 ; 4-byte Folded Reload
	s_waitcnt vmcnt(0)
	v_add_co_u32_e32 v2, vcc, v2, v4
	v_addc_co_u32_e32 v3, vcc, 0, v3, vcc
	buffer_store_dword v2, off, s[0:3], s33 offset:76 ; 4-byte Folded Spill
	s_nop 0
	buffer_store_dword v3, off, s[0:3], s33 offset:80 ; 4-byte Folded Spill
	v_cmp_lt_u64_e32 vcc, v[0:1], v[2:3]
	s_and_saveexec_b64 s[94:95], vcc
	s_cbranch_execz .LBB4_16418
; %bb.16410:                            ;   in Loop: Header=BB4_16355 Depth=2
	s_mov_b32 s8, 0
	s_mov_b64 s[30:31], 0
                                        ; implicit-def: $sgpr34_sgpr35
                                        ; implicit-def: $sgpr36_sgpr37
	s_branch .LBB4_16412
.LBB4_16411:                            ;   in Loop: Header=BB4_16412 Depth=3
	s_or_b64 exec, exec, s[48:49]
	s_and_b64 vcc, exec, vcc
	s_or_b64 s[30:31], vcc, s[30:31]
	s_andn2_b64 vcc, s[34:35], exec
	s_and_b64 s[34:35], s[36:37], exec
	s_or_b64 s[34:35], vcc, s[34:35]
	s_andn2_b64 exec, exec, s[30:31]
	s_cbranch_execz .LBB4_16416
.LBB4_16412:                            ;   Parent Loop BB4_47 Depth=1
                                        ;     Parent Loop BB4_16355 Depth=2
                                        ; =>    This Inner Loop Header: Depth=3
	s_add_i32 s8, s8, 1
	s_cmpk_lg_i32 s8, 0x2710
	s_cselect_b64 s[38:39], -1, 0
	s_and_b64 vcc, exec, s[38:39]
	s_cbranch_vccz .LBB4_16414
; %bb.16413:                            ;   in Loop: Header=BB4_16412 Depth=3
	s_mov_b64 vcc, -1
	s_or_b64 s[36:37], s[36:37], exec
	s_and_saveexec_b64 s[48:49], s[38:39]
	s_cbranch_execz .LBB4_16411
	s_branch .LBB4_16415
.LBB4_16414:                            ;   in Loop: Header=BB4_16412 Depth=3
	s_trap 2
	ds_read_b64 v[0:1], v0
	s_andn2_b64 s[38:39], s[38:39], exec
	s_mov_b32 s8, 0
	s_waitcnt vmcnt(0) lgkmcnt(0)
	flat_load_dword v0, v[0:1] glc
	s_waitcnt vmcnt(0) lgkmcnt(0)
	buffer_wbinvl1_vol
	v_cmp_eq_u32_e32 vcc, 0, v0
	s_and_b64 vcc, vcc, exec
	s_or_b64 s[38:39], s[38:39], vcc
	s_mov_b64 vcc, -1
	s_or_b64 s[36:37], s[36:37], exec
	s_and_saveexec_b64 s[48:49], s[38:39]
	s_cbranch_execz .LBB4_16411
.LBB4_16415:                            ;   in Loop: Header=BB4_16412 Depth=3
	s_sleep 1
	s_trap 2
	ds_read_b64 v[0:1], v0
	s_waitcnt lgkmcnt(0)
	buffer_load_dword v2, off, s[0:3], s33 offset:76 ; 4-byte Folded Reload
	buffer_load_dword v3, off, s[0:3], s33 offset:80 ; 4-byte Folded Reload
	s_andn2_b64 s[36:37], s[36:37], exec
	s_waitcnt vmcnt(0)
	v_cmp_ge_u64_e32 vcc, v[0:1], v[2:3]
	s_orn2_b64 vcc, vcc, exec
	s_branch .LBB4_16411
.LBB4_16416:                            ;   in Loop: Header=BB4_16355 Depth=2
	s_or_b64 exec, exec, s[30:31]
	s_and_saveexec_b64 vcc, s[34:35]
	s_xor_b64 vcc, exec, vcc
	s_cbranch_execz .LBB4_16418
; %bb.16417:                            ;   in Loop: Header=BB4_16355 Depth=2
	v_mov_b32_e32 v0, 1
	ds_write_b32 v0, v0
	s_trap 2
.LBB4_16418:                            ;   in Loop: Header=BB4_16355 Depth=2
	s_or_b64 exec, exec, s[94:95]
	;;#ASMSTART
	s_wakeup
	;;#ASMEND
.LBB4_16419:                            ;   in Loop: Header=BB4_16355 Depth=2
	s_or_b64 exec, exec, s[92:93]
.LBB4_16420:                            ;   in Loop: Header=BB4_16355 Depth=2
	s_andn2_saveexec_b64 s[90:91], s[90:91]
	s_cbranch_execz .LBB4_16422
; %bb.16421:                            ;   in Loop: Header=BB4_16355 Depth=2
	;;#ASMSTART
	s_waitcnt lgkmcnt(0) vmcnt(0)
	;;#ASMEND
	s_waitcnt vmcnt(0) lgkmcnt(0)
	s_barrier
.LBB4_16422:                            ;   in Loop: Header=BB4_16355 Depth=2
	s_or_b64 exec, exec, s[90:91]
	buffer_load_dword v0, off, s[0:3], s33 offset:72 ; 4-byte Folded Reload
	s_waitcnt vmcnt(0)
	v_and_b32_e32 v0, 16, v0
.LBB4_16423:                            ;   in Loop: Header=BB4_16355 Depth=2
	s_or_b64 exec, exec, s[28:29]
	v_cmp_ne_u32_e32 vcc, 0, v0
	s_xor_b64 s[28:29], s[20:21], -1
	s_and_b64 s[90:91], vcc, s[28:29]
	s_and_saveexec_b64 s[28:29], s[90:91]
	s_cbranch_execz .LBB4_16425
; %bb.16424:                            ;   in Loop: Header=BB4_16355 Depth=2
	buffer_load_dword v0, off, s[0:3], s33 offset:140 ; 4-byte Folded Reload
	buffer_load_dword v1, off, s[0:3], s33 offset:144 ; 4-byte Folded Reload
	v_mov_b32_e32 v2, 1
	s_waitcnt vmcnt(0)
	flat_store_dword v[0:1], v2
.LBB4_16425:                            ;   in Loop: Header=BB4_16355 Depth=2
	s_or_b64 exec, exec, s[28:29]
	buffer_load_dword v0, off, s[0:3], s33 offset:72 ; 4-byte Folded Reload
	s_waitcnt vmcnt(0)
	v_and_b32_e32 v0, 48, v0
	v_cmp_ne_u32_e32 vcc, 0, v0
	s_and_saveexec_b64 s[28:29], vcc
	s_cbranch_execz .LBB4_16354
; %bb.16426:                            ;   in Loop: Header=BB4_16355 Depth=2
	buffer_load_dword v2, off, s[0:3], s33 offset:84 ; 4-byte Folded Reload
	buffer_load_dword v3, off, s[0:3], s33 offset:88 ; 4-byte Folded Reload
	;; [unrolled: 1-line block ×4, first 2 shown]
	s_waitcnt vmcnt(0)
	v_add_co_u32_e32 v2, vcc, 2, v2
	v_addc_co_u32_e32 v3, vcc, 0, v3, vcc
	buffer_store_dword v2, off, s[0:3], s33 offset:84 ; 4-byte Folded Spill
	s_nop 0
	buffer_store_dword v3, off, s[0:3], s33 offset:88 ; 4-byte Folded Spill
	flat_store_dwordx2 v[0:1], v[2:3]
	s_branch .LBB4_16354
.LBB4_16427:                            ;   in Loop: Header=BB4_47 Depth=1
	s_or_b64 exec, exec, s[92:93]
	s_or_b64 exec, exec, s[90:91]
	v_cmp_gt_i32_e32 vcc, 2, v2
	s_and_saveexec_b64 s[40:41], vcc
	s_cbranch_execnz .LBB4_16353
.LBB4_16428:                            ;   in Loop: Header=BB4_47 Depth=1
	s_or_b64 exec, exec, s[40:41]
	s_and_b64 vcc, exec, s[26:27]
	s_cbranch_vccz .LBB4_16430
	s_branch .LBB4_16686
.LBB4_16429:                            ;   in Loop: Header=BB4_47 Depth=1
	s_or_b64 exec, exec, s[42:43]
	s_or_b64 exec, exec, s[40:41]
	s_and_b64 vcc, exec, s[26:27]
	s_cbranch_vccnz .LBB4_16686
.LBB4_16430:                            ;   in Loop: Header=BB4_47 Depth=1
	s_mov_b32 s8, 1
.LBB4_16431:                            ;   Parent Loop BB4_47 Depth=1
                                        ; =>  This Loop Header: Depth=2
                                        ;       Child Loop BB4_16434 Depth 3
                                        ;         Child Loop BB4_16442 Depth 4
                                        ;         Child Loop BB4_16470 Depth 4
	;; [unrolled: 1-line block ×9, first 2 shown]
                                        ;           Child Loop BB4_16524 Depth 5
                                        ;         Child Loop BB4_16531 Depth 4
                                        ;         Child Loop BB4_16536 Depth 4
                                        ;           Child Loop BB4_16537 Depth 5
                                        ;         Child Loop BB4_16573 Depth 4
                                        ;         Child Loop BB4_16592 Depth 4
                                        ;       Child Loop BB4_16610 Depth 3
                                        ;         Child Loop BB4_16616 Depth 4
                                        ;         Child Loop BB4_16644 Depth 4
	;; [unrolled: 1-line block ×3, first 2 shown]
	buffer_load_dword v4, off, s[0:3], s33 offset:352 ; 4-byte Folded Reload
	buffer_load_dword v5, off, s[0:3], s33 offset:356 ; 4-byte Folded Reload
	s_sub_i32 s26, s70, s8
	s_cmp_ge_i32 s26, s66
	s_cselect_b32 s27, s66, 0
	s_sub_i32 s26, s26, s27
	s_ashr_i32 s28, s26, 31
	v_mov_b32_e32 v15, 0
	s_waitcnt vmcnt(0)
	v_mul_lo_u32 v3, v4, s28
	v_mul_lo_u32 v2, v5, s26
	v_mad_u64_u32 v[0:1], s[26:27], v4, s26, 0
	v_add3_u32 v1, v1, v3, v2
	buffer_load_dword v2, off, s[0:3], s33 offset:344 ; 4-byte Folded Reload
	buffer_load_dword v3, off, s[0:3], s33 offset:348 ; 4-byte Folded Reload
	s_waitcnt vmcnt(0)
	v_sub_co_u32_e32 v2, vcc, v2, v0
	v_subb_co_u32_e32 v3, vcc, v3, v1, vcc
	v_cmp_lt_i64_e32 vcc, v[4:5], v[2:3]
	v_cndmask_b32_e32 v3, v2, v4, vcc
	v_max_i32_e32 v14, 0, v3
	v_add_u32_e32 v2, 31, v14
	v_lshrrev_b32_e32 v2, 1, v2
	v_and_b32_e32 v2, 0x3ffffff0, v2
	v_cmp_lt_i32_e32 vcc, 0, v3
	v_max_i32_e32 v2, s81, v2
	s_and_b64 s[26:27], s[74:75], vcc
	v_mov_b32_e32 v3, 0
	s_and_saveexec_b64 s[42:43], s[26:27]
	s_cbranch_execz .LBB4_16607
; %bb.16432:                            ;   in Loop: Header=BB4_16431 Depth=2
	buffer_load_dword v3, off, s[0:3], s33 offset:196 ; 4-byte Folded Reload
	s_mov_b32 s64, 1
	s_mov_b64 s[92:93], -1
	v_mov_b32_e32 v15, 0
	s_mov_b64 s[90:91], 0
	s_waitcnt vmcnt(0)
	v_add_co_u32_e32 v16, vcc, v0, v3
	buffer_load_dword v0, off, s[0:3], s33 offset:200 ; 4-byte Folded Reload
	s_waitcnt vmcnt(0)
	v_addc_co_u32_e32 v18, vcc, v1, v0, vcc
	s_branch .LBB4_16434
.LBB4_16433:                            ;   in Loop: Header=BB4_16434 Depth=3
	s_or_b64 exec, exec, s[26:27]
	v_add_u32_e32 v15, v2, v15
	v_cmp_ge_i32_e32 vcc, v15, v14
	s_xor_b64 s[26:27], s[92:93], -1
	s_or_b64 s[26:27], s[26:27], vcc
	s_and_b64 s[26:27], exec, s[26:27]
	s_or_b64 s[90:91], s[26:27], s[90:91]
	s_mov_b64 s[92:93], 0
	v_mov_b32_e32 v3, s64
	s_mov_b32 s64, 2
	s_andn2_b64 exec, exec, s[90:91]
	s_cbranch_execz .LBB4_16682
.LBB4_16434:                            ;   Parent Loop BB4_47 Depth=1
                                        ;     Parent Loop BB4_16431 Depth=2
                                        ; =>    This Loop Header: Depth=3
                                        ;         Child Loop BB4_16442 Depth 4
                                        ;         Child Loop BB4_16470 Depth 4
	;; [unrolled: 1-line block ×9, first 2 shown]
                                        ;           Child Loop BB4_16524 Depth 5
                                        ;         Child Loop BB4_16531 Depth 4
                                        ;         Child Loop BB4_16536 Depth 4
                                        ;           Child Loop BB4_16537 Depth 5
                                        ;         Child Loop BB4_16573 Depth 4
                                        ;         Child Loop BB4_16592 Depth 4
	s_and_saveexec_b64 s[26:27], s[4:5]
	s_cbranch_execz .LBB4_16436
; %bb.16435:                            ;   in Loop: Header=BB4_16434 Depth=3
	s_trap 2
	ds_read_b128 v[3:6], v0
	s_waitcnt lgkmcnt(0)
	v_add_co_u32_e32 v0, vcc, v3, v16
	v_addc_co_u32_e32 v1, vcc, v4, v18, vcc
	v_ashrrev_i32_e32 v3, 31, v15
	v_add_co_u32_e32 v0, vcc, v0, v15
	v_addc_co_u32_e32 v1, vcc, v1, v3, vcc
	ds_write_b64 v0, v[0:1]
	v_add_co_u32_e32 v0, vcc, v5, v16
	v_addc_co_u32_e32 v1, vcc, v6, v18, vcc
	v_add_co_u32_e32 v0, vcc, v0, v15
	v_addc_co_u32_e32 v1, vcc, v1, v3, vcc
	v_cmp_ne_u64_e32 vcc, 0, v[5:6]
	v_cndmask_b32_e32 v1, 0, v1, vcc
	v_cndmask_b32_e32 v0, 0, v0, vcc
	ds_write_b64 v0, v[0:1]
.LBB4_16436:                            ;   in Loop: Header=BB4_16434 Depth=3
	s_or_b64 exec, exec, s[26:27]
	v_sub_u32_e32 v0, v14, v15
	v_min_i32_e32 v2, v2, v0
	buffer_load_dword v0, off, s[0:3], s33 offset:72 ; 4-byte Folded Reload
	s_waitcnt vmcnt(0)
	v_and_b32_e32 v0, 12, v0
	v_cmp_ne_u32_e32 vcc, 0, v0
	s_and_saveexec_b64 s[28:29], vcc
	s_cbranch_execz .LBB4_16462
; %bb.16437:                            ;   in Loop: Header=BB4_16434 Depth=3
	buffer_load_dword v0, off, s[0:3], s33 offset:72 ; 4-byte Folded Reload
	s_waitcnt vmcnt(0)
	v_and_b32_e32 v10, 8, v0
	buffer_load_dword v0, off, s[0:3], s33 offset:56 ; 4-byte Folded Reload
	buffer_load_dword v1, off, s[0:3], s33 offset:60 ; 4-byte Folded Reload
	s_waitcnt vmcnt(0)
	v_add_co_u32_e32 v3, vcc, v0, v10
	v_addc_co_u32_e32 v4, vcc, 0, v1, vcc
	buffer_load_dword v0, off, s[0:3], s33 offset:84 ; 4-byte Folded Reload
	buffer_load_dword v1, off, s[0:3], s33 offset:88 ; 4-byte Folded Reload
	s_waitcnt vmcnt(0)
	v_add_co_u32_e32 v0, vcc, 2, v0
	v_addc_co_u32_e32 v1, vcc, 0, v1, vcc
	v_cmp_lt_u64_e32 vcc, v[3:4], v[0:1]
	s_and_saveexec_b64 s[40:41], vcc
	s_cbranch_execz .LBB4_16449
; %bb.16438:                            ;   in Loop: Header=BB4_16434 Depth=3
	buffer_load_dword v3, off, s[0:3], s33 offset:72 ; 4-byte Folded Reload
	s_mov_b32 s65, 0
	s_mov_b64 s[94:95], 0
                                        ; implicit-def: $sgpr30_sgpr31
                                        ; implicit-def: $sgpr34_sgpr35
                                        ; implicit-def: $sgpr36_sgpr37
	s_waitcnt vmcnt(0)
	v_and_b32_e32 v3, 64, v3
	v_cmp_eq_u32_e32 vcc, 0, v3
	s_branch .LBB4_16442
.LBB4_16439:                            ;   in Loop: Header=BB4_16442 Depth=4
	buffer_load_dword v4, off, s[0:3], s33 offset:56 ; 4-byte Folded Reload
	buffer_load_dword v5, off, s[0:3], s33 offset:60 ; 4-byte Folded Reload
	s_or_b64 s[50:51], s[50:51], exec
	s_waitcnt vmcnt(1)
	v_add_co_u32_e64 v4, s[26:27], v4, v10
	s_waitcnt vmcnt(0)
	v_addc_co_u32_e64 v5, s[26:27], 0, v5, s[26:27]
	v_cmp_ge_u64_e64 s[26:27], v[4:5], v[0:1]
	s_orn2_b64 s[48:49], s[26:27], exec
.LBB4_16440:                            ;   in Loop: Header=BB4_16442 Depth=4
	s_or_b64 exec, exec, s[54:55]
	s_andn2_b64 s[26:27], s[36:37], exec
	s_and_b64 s[36:37], s[50:51], exec
	s_or_b64 s[36:37], s[26:27], s[36:37]
	s_andn2_b64 s[26:27], s[34:35], exec
	s_and_b64 s[34:35], s[48:49], exec
	s_or_b64 s[34:35], s[26:27], s[34:35]
.LBB4_16441:                            ;   in Loop: Header=BB4_16442 Depth=4
	s_or_b64 exec, exec, s[38:39]
	s_and_b64 s[26:27], exec, s[34:35]
	s_or_b64 s[94:95], s[26:27], s[94:95]
	s_andn2_b64 s[26:27], s[30:31], exec
	s_and_b64 s[30:31], s[36:37], exec
	s_or_b64 s[30:31], s[26:27], s[30:31]
	s_andn2_b64 exec, exec, s[94:95]
	s_cbranch_execz .LBB4_16446
.LBB4_16442:                            ;   Parent Loop BB4_47 Depth=1
                                        ;     Parent Loop BB4_16431 Depth=2
                                        ;       Parent Loop BB4_16434 Depth=3
                                        ; =>      This Inner Loop Header: Depth=4
	s_sleep 1
	buffer_load_dword v3, off, s[0:3], s33 offset:64 ; 4-byte Folded Reload
	buffer_load_dword v4, off, s[0:3], s33 offset:68 ; 4-byte Folded Reload
	s_or_b64 s[36:37], s[36:37], exec
	s_or_b64 s[34:35], s[34:35], exec
	s_waitcnt vmcnt(0)
	flat_load_dwordx2 v[3:4], v[3:4] glc
	s_waitcnt vmcnt(0) lgkmcnt(0)
	buffer_store_dword v3, off, s[0:3], s33 offset:56 ; 4-byte Folded Spill
	s_nop 0
	buffer_store_dword v4, off, s[0:3], s33 offset:60 ; 4-byte Folded Spill
                                        ; implicit-def: $vgpr3
	s_and_saveexec_b64 s[38:39], vcc
	s_cbranch_execz .LBB4_16441
; %bb.16443:                            ;   in Loop: Header=BB4_16442 Depth=4
	s_cmpk_lt_i32 s65, 0x270f
	s_cselect_b64 s[52:53], -1, 0
	s_cmpk_gt_i32 s65, 0x270e
	s_mov_b64 s[48:49], -1
	s_cbranch_scc0 .LBB4_16445
; %bb.16444:                            ;   in Loop: Header=BB4_16442 Depth=4
	s_trap 2
	ds_read_b64 v[3:4], v0
	s_andn2_b64 s[52:53], s[52:53], exec
	s_mov_b32 s65, 0
	s_mov_b64 s[50:51], 0
	s_waitcnt vmcnt(0) lgkmcnt(0)
	flat_load_dword v3, v[3:4] glc
	s_waitcnt vmcnt(0) lgkmcnt(0)
	buffer_wbinvl1_vol
	v_cmp_eq_u32_e64 s[26:27], 0, v3
	s_and_b64 s[26:27], s[26:27], exec
	s_or_b64 s[52:53], s[52:53], s[26:27]
	s_and_saveexec_b64 s[54:55], s[52:53]
	s_cbranch_execz .LBB4_16440
	s_branch .LBB4_16439
.LBB4_16445:                            ;   in Loop: Header=BB4_16442 Depth=4
	s_add_i32 s65, s65, 1
	s_mov_b64 s[50:51], -1
                                        ; implicit-def: $vgpr3
	s_and_saveexec_b64 s[54:55], s[52:53]
	s_cbranch_execz .LBB4_16440
	s_branch .LBB4_16439
.LBB4_16446:                            ;   in Loop: Header=BB4_16434 Depth=3
	s_or_b64 exec, exec, s[94:95]
	s_xor_b64 s[26:27], s[30:31], -1
	s_and_saveexec_b64 s[94:95], s[26:27]
	s_xor_b64 s[26:27], exec, s[94:95]
	s_cbranch_execz .LBB4_16448
; %bb.16447:                            ;   in Loop: Header=BB4_16434 Depth=3
	ds_write_b32 v0, v3
	s_trap 2
	buffer_load_dword v3, off, s[0:3], s33 offset:72 ; 4-byte Folded Reload
	s_waitcnt vmcnt(0)
	v_or_b32_e32 v3, 64, v3
	buffer_store_dword v3, off, s[0:3], s33 offset:72 ; 4-byte Folded Spill
.LBB4_16448:                            ;   in Loop: Header=BB4_16434 Depth=3
	s_or_b64 exec, exec, s[26:27]
.LBB4_16449:                            ;   in Loop: Header=BB4_16434 Depth=3
	s_or_b64 exec, exec, s[40:41]
	;;#ASMSTART
	s_wakeup
	;;#ASMEND
	buffer_load_dword v3, off, s[0:3], s33 offset:72 ; 4-byte Folded Reload
                                        ; implicit-def: $vgpr4_vgpr5
	s_waitcnt vmcnt(0)
	v_and_b32_e32 v3, 0x108, v3
	v_cmp_ne_u32_e32 vcc, s9, v3
	s_and_saveexec_b64 s[26:27], vcc
	s_xor_b64 s[26:27], exec, s[26:27]
	s_cbranch_execz .LBB4_16451
; %bb.16450:                            ;   in Loop: Header=BB4_16434 Depth=3
	buffer_load_dword v3, off, s[0:3], s33 offset:84 ; 4-byte Folded Reload
	buffer_load_dword v4, off, s[0:3], s33 offset:88 ; 4-byte Folded Reload
	v_mov_b32_e32 v5, v17
                                        ; implicit-def: $vgpr6_vgpr7
                                        ; kill: killed $vgpr6_vgpr7
	s_waitcnt vmcnt(0)
	v_and_b32_e32 v4, 7, v3
.LBB4_16451:                            ;   in Loop: Header=BB4_16434 Depth=3
	s_andn2_saveexec_b64 s[26:27], s[26:27]
	s_cbranch_execz .LBB4_16453
; %bb.16452:                            ;   in Loop: Header=BB4_16434 Depth=3
	buffer_load_dword v3, off, s[0:3], s33 offset:84 ; 4-byte Folded Reload
	buffer_load_dword v4, off, s[0:3], s33 offset:88 ; 4-byte Folded Reload
	;; [unrolled: 1-line block ×6, first 2 shown]
	s_waitcnt vmcnt(0)
	v_and_b32_e32 v4, 7, v3
	v_mad_u64_u32 v[6:7], s[40:41], v4, 24, v[5:6]
	v_mov_b32_e32 v5, v17
	v_ashrrev_i32_e32 v3, 31, v2
	flat_store_dwordx2 v[6:7], v[2:3] offset:8
.LBB4_16453:                            ;   in Loop: Header=BB4_16434 Depth=3
	s_or_b64 exec, exec, s[26:27]
	buffer_load_dword v3, off, s[0:3], s33 offset:72 ; 4-byte Folded Reload
	s_mov_b64 s[26:27], -1
                                        ; implicit-def: $vgpr6_vgpr7
	s_waitcnt vmcnt(0)
	v_and_b32_e32 v3, 0x100, v3
	v_cmp_ne_u32_e32 vcc, 0, v3
	s_and_saveexec_b64 s[40:41], vcc
	s_cbranch_execz .LBB4_16457
; %bb.16454:                            ;   in Loop: Header=BB4_16434 Depth=3
	buffer_load_dword v6, off, s[0:3], s33 offset:124 ; 4-byte Folded Reload
	buffer_load_dword v7, off, s[0:3], s33 offset:128 ; 4-byte Folded Reload
	;; [unrolled: 1-line block ×4, first 2 shown]
	s_waitcnt vmcnt(0)
	v_mad_u64_u32 v[8:9], s[26:27], v4, 24, v[6:7]
	v_mov_b32_e32 v3, v9
	v_mad_u64_u32 v[6:7], s[26:27], v5, 24, v[3:4]
	v_mov_b32_e32 v9, v6
	flat_load_dword v3, v[8:9]
                                        ; implicit-def: $vgpr6_vgpr7
	s_waitcnt vmcnt(0) lgkmcnt(0)
	v_cmp_ne_u32_e32 vcc, 1, v3
	v_cmp_eq_u32_e64 s[26:27], 1, v3
	s_and_saveexec_b64 s[94:95], s[26:27]
	s_cbranch_execz .LBB4_16456
; %bb.16455:                            ;   in Loop: Header=BB4_16434 Depth=3
	flat_load_dword v6, v[8:9] offset:4 glc
	s_waitcnt vmcnt(0) lgkmcnt(0)
	v_ashrrev_i32_e32 v7, 31, v6
.LBB4_16456:                            ;   in Loop: Header=BB4_16434 Depth=3
	s_or_b64 exec, exec, s[94:95]
	s_orn2_b64 s[26:27], vcc, exec
.LBB4_16457:                            ;   in Loop: Header=BB4_16434 Depth=3
	s_or_b64 exec, exec, s[40:41]
	s_and_saveexec_b64 s[40:41], s[26:27]
	s_cbranch_execz .LBB4_16459
; %bb.16458:                            ;   in Loop: Header=BB4_16434 Depth=3
	buffer_load_dword v6, off, s[0:3], s33 offset:152 ; 4-byte Folded Reload
	s_waitcnt vmcnt(0)
	v_mul_lo_u32 v3, v5, v6
	buffer_load_dword v5, off, s[0:3], s33 offset:172 ; 4-byte Folded Reload
	v_mad_u64_u32 v[6:7], s[26:27], v4, v6, 0
	s_waitcnt vmcnt(0)
	v_mul_lo_u32 v5, v4, v5
	v_add3_u32 v7, v7, v5, v3
.LBB4_16459:                            ;   in Loop: Header=BB4_16434 Depth=3
	s_or_b64 exec, exec, s[40:41]
	v_cmp_eq_u32_e32 vcc, 0, v10
	v_mov_b32_e32 v3, 0xd0
	v_mov_b32_e32 v4, 0x88
	v_cndmask_b32_e32 v5, v3, v4, vcc
	buffer_load_dword v3, off, s[0:3], s33 offset:116 ; 4-byte Folded Reload
	buffer_load_dword v4, off, s[0:3], s33 offset:120 ; 4-byte Folded Reload
	v_add_u32_e32 v5, v0, v5
	s_waitcnt vmcnt(0)
	v_add_co_u32_e32 v3, vcc, v3, v6
	v_addc_co_u32_e32 v4, vcc, v4, v7, vcc
	ds_write_b64 v5, v[3:4] offset:584
	buffer_load_dword v3, off, s[0:3], s33 offset:72 ; 4-byte Folded Reload
	s_waitcnt vmcnt(0)
	v_and_b32_e32 v3, 0x2000, v3
	v_cmp_ne_u32_e32 vcc, 0, v3
	s_and_saveexec_b64 s[26:27], vcc
	s_cbranch_execz .LBB4_16461
; %bb.16460:                            ;   in Loop: Header=BB4_16434 Depth=3
	ds_read_b64 v[3:4], v0 offset:872
	s_waitcnt lgkmcnt(0)
	v_add_co_u32_e32 v3, vcc, 1, v3
	v_addc_co_u32_e32 v4, vcc, 0, v4, vcc
	ds_write_b64 v0, v[3:4] offset:872
.LBB4_16461:                            ;   in Loop: Header=BB4_16434 Depth=3
	s_or_b64 exec, exec, s[26:27]
	buffer_store_dword v0, off, s[0:3], s33 offset:84 ; 4-byte Folded Spill
	s_nop 0
	buffer_store_dword v1, off, s[0:3], s33 offset:88 ; 4-byte Folded Spill
.LBB4_16462:                            ;   in Loop: Header=BB4_16434 Depth=3
	s_or_b64 exec, exec, s[28:29]
	s_and_saveexec_b64 s[26:27], s[12:13]
	s_cbranch_execz .LBB4_16481
; %bb.16463:                            ;   in Loop: Header=BB4_16434 Depth=3
	s_and_saveexec_b64 s[28:29], s[58:59]
	s_xor_b64 s[28:29], exec, s[28:29]
	s_cbranch_execz .LBB4_16478
; %bb.16464:                            ;   in Loop: Header=BB4_16434 Depth=3
	s_and_saveexec_b64 s[40:41], s[6:7]
	s_cbranch_execz .LBB4_16477
; %bb.16465:                            ;   in Loop: Header=BB4_16434 Depth=3
	s_mov_b64 s[30:31], exec
	v_mbcnt_lo_u32_b32 v0, s30, 0
	v_mbcnt_hi_u32_b32 v0, s31, v0
	v_cmp_eq_u32_e32 vcc, 0, v0
	s_waitcnt vmcnt(0) lgkmcnt(0)
	buffer_wbinvl1_vol
	s_and_saveexec_b64 s[94:95], vcc
	s_cbranch_execz .LBB4_16467
; %bb.16466:                            ;   in Loop: Header=BB4_16434 Depth=3
	s_bcnt1_i32_b64 vcc_lo, s[30:31]
	v_mov_b32_e32 v0, vcc_lo
	v_mov_b32_e32 v1, v17
	ds_add_u64 v0, v[0:1]
	s_trap 2
.LBB4_16467:                            ;   in Loop: Header=BB4_16434 Depth=3
	s_or_b64 exec, exec, s[94:95]
	s_trap 2
	ds_read_b64 v[0:1], v0
	s_waitcnt lgkmcnt(0)
	buffer_load_dword v3, off, s[0:3], s33 offset:76 ; 4-byte Folded Reload
	buffer_load_dword v4, off, s[0:3], s33 offset:80 ; 4-byte Folded Reload
	;; [unrolled: 1-line block ×3, first 2 shown]
	s_waitcnt vmcnt(0)
	v_add_co_u32_e32 v3, vcc, v3, v5
	v_addc_co_u32_e32 v4, vcc, 0, v4, vcc
	buffer_store_dword v3, off, s[0:3], s33 offset:76 ; 4-byte Folded Spill
	s_nop 0
	buffer_store_dword v4, off, s[0:3], s33 offset:80 ; 4-byte Folded Spill
	v_cmp_lt_u64_e32 vcc, v[0:1], v[3:4]
	s_and_saveexec_b64 s[94:95], vcc
	s_cbranch_execz .LBB4_16476
; %bb.16468:                            ;   in Loop: Header=BB4_16434 Depth=3
	s_mov_b32 s50, 0
	s_mov_b64 s[30:31], 0
                                        ; implicit-def: $sgpr34_sgpr35
                                        ; implicit-def: $sgpr36_sgpr37
	s_branch .LBB4_16470
.LBB4_16469:                            ;   in Loop: Header=BB4_16470 Depth=4
	s_or_b64 exec, exec, s[48:49]
	s_and_b64 vcc, exec, vcc
	s_or_b64 s[30:31], vcc, s[30:31]
	s_andn2_b64 vcc, s[34:35], exec
	s_and_b64 s[34:35], s[36:37], exec
	s_or_b64 s[34:35], vcc, s[34:35]
	s_andn2_b64 exec, exec, s[30:31]
	s_cbranch_execz .LBB4_16474
.LBB4_16470:                            ;   Parent Loop BB4_47 Depth=1
                                        ;     Parent Loop BB4_16431 Depth=2
                                        ;       Parent Loop BB4_16434 Depth=3
                                        ; =>      This Inner Loop Header: Depth=4
	s_add_i32 s50, s50, 1
	s_cmpk_lg_i32 s50, 0x2710
	s_cselect_b64 s[38:39], -1, 0
	s_and_b64 vcc, exec, s[38:39]
	s_cbranch_vccz .LBB4_16472
; %bb.16471:                            ;   in Loop: Header=BB4_16470 Depth=4
	s_mov_b64 vcc, -1
	s_or_b64 s[36:37], s[36:37], exec
	s_and_saveexec_b64 s[48:49], s[38:39]
	s_cbranch_execz .LBB4_16469
	s_branch .LBB4_16473
.LBB4_16472:                            ;   in Loop: Header=BB4_16470 Depth=4
	s_trap 2
	ds_read_b64 v[0:1], v0
	s_andn2_b64 s[38:39], s[38:39], exec
	s_mov_b32 s50, 0
	s_waitcnt vmcnt(0) lgkmcnt(0)
	flat_load_dword v0, v[0:1] glc
	s_waitcnt vmcnt(0) lgkmcnt(0)
	buffer_wbinvl1_vol
	v_cmp_eq_u32_e32 vcc, 0, v0
	s_and_b64 vcc, vcc, exec
	s_or_b64 s[38:39], s[38:39], vcc
	s_mov_b64 vcc, -1
	s_or_b64 s[36:37], s[36:37], exec
	s_and_saveexec_b64 s[48:49], s[38:39]
	s_cbranch_execz .LBB4_16469
.LBB4_16473:                            ;   in Loop: Header=BB4_16470 Depth=4
	s_sleep 1
	s_trap 2
	ds_read_b64 v[0:1], v0
	s_waitcnt lgkmcnt(0)
	buffer_load_dword v3, off, s[0:3], s33 offset:76 ; 4-byte Folded Reload
	buffer_load_dword v4, off, s[0:3], s33 offset:80 ; 4-byte Folded Reload
	s_andn2_b64 s[36:37], s[36:37], exec
	s_waitcnt vmcnt(0)
	v_cmp_ge_u64_e32 vcc, v[0:1], v[3:4]
	s_orn2_b64 vcc, vcc, exec
	s_branch .LBB4_16469
.LBB4_16474:                            ;   in Loop: Header=BB4_16434 Depth=3
	s_or_b64 exec, exec, s[30:31]
	s_and_saveexec_b64 vcc, s[34:35]
	s_xor_b64 vcc, exec, vcc
	s_cbranch_execz .LBB4_16476
; %bb.16475:                            ;   in Loop: Header=BB4_16434 Depth=3
	v_mov_b32_e32 v0, 1
	ds_write_b32 v0, v0
	s_trap 2
.LBB4_16476:                            ;   in Loop: Header=BB4_16434 Depth=3
	s_or_b64 exec, exec, s[94:95]
	;;#ASMSTART
	s_wakeup
	;;#ASMEND
.LBB4_16477:                            ;   in Loop: Header=BB4_16434 Depth=3
	s_or_b64 exec, exec, s[40:41]
.LBB4_16478:                            ;   in Loop: Header=BB4_16434 Depth=3
	s_andn2_saveexec_b64 s[28:29], s[28:29]
	s_cbranch_execz .LBB4_16480
; %bb.16479:                            ;   in Loop: Header=BB4_16434 Depth=3
	s_waitcnt vmcnt(0) lgkmcnt(0)
	buffer_wbinvl1_vol
	s_barrier
.LBB4_16480:                            ;   in Loop: Header=BB4_16434 Depth=3
	s_or_b64 exec, exec, s[28:29]
.LBB4_16481:                            ;   in Loop: Header=BB4_16434 Depth=3
	s_or_b64 exec, exec, s[26:27]
	s_trap 2
	ds_read_b32 v5, v0
	buffer_load_dword v0, off, s[0:3], s33 offset:72 ; 4-byte Folded Reload
	s_xor_b64 s[26:27], s[10:11], -1
	s_waitcnt vmcnt(0)
	v_and_b32_e32 v0, 0x4000, v0
	v_cmp_ne_u32_e32 vcc, 0, v0
	s_and_b64 s[28:29], s[26:27], vcc
	s_and_saveexec_b64 s[26:27], s[28:29]
	s_cbranch_execz .LBB4_16500
; %bb.16482:                            ;   in Loop: Header=BB4_16434 Depth=3
	s_and_saveexec_b64 s[28:29], s[58:59]
	s_xor_b64 s[28:29], exec, s[28:29]
	s_cbranch_execz .LBB4_16497
; %bb.16483:                            ;   in Loop: Header=BB4_16434 Depth=3
	s_and_saveexec_b64 s[40:41], s[6:7]
	s_cbranch_execz .LBB4_16496
; %bb.16484:                            ;   in Loop: Header=BB4_16434 Depth=3
	s_mov_b64 s[30:31], exec
	v_mbcnt_lo_u32_b32 v0, s30, 0
	v_mbcnt_hi_u32_b32 v0, s31, v0
	v_cmp_eq_u32_e32 vcc, 0, v0
	s_waitcnt lgkmcnt(0)
	buffer_wbinvl1_vol
	s_and_saveexec_b64 s[94:95], vcc
	s_cbranch_execz .LBB4_16486
; %bb.16485:                            ;   in Loop: Header=BB4_16434 Depth=3
	s_bcnt1_i32_b64 vcc_lo, s[30:31]
	v_mov_b32_e32 v0, vcc_lo
	v_mov_b32_e32 v1, v17
	ds_add_u64 v0, v[0:1]
	s_trap 2
.LBB4_16486:                            ;   in Loop: Header=BB4_16434 Depth=3
	s_or_b64 exec, exec, s[94:95]
	s_trap 2
	ds_read_b64 v[0:1], v0
	s_waitcnt lgkmcnt(0)
	buffer_load_dword v3, off, s[0:3], s33 offset:76 ; 4-byte Folded Reload
	buffer_load_dword v4, off, s[0:3], s33 offset:80 ; 4-byte Folded Reload
	;; [unrolled: 1-line block ×3, first 2 shown]
	s_waitcnt vmcnt(0)
	v_add_co_u32_e32 v3, vcc, v3, v6
	v_addc_co_u32_e32 v4, vcc, 0, v4, vcc
	buffer_store_dword v3, off, s[0:3], s33 offset:76 ; 4-byte Folded Spill
	s_nop 0
	buffer_store_dword v4, off, s[0:3], s33 offset:80 ; 4-byte Folded Spill
	v_cmp_lt_u64_e32 vcc, v[0:1], v[3:4]
	s_and_saveexec_b64 s[94:95], vcc
	s_cbranch_execz .LBB4_16495
; %bb.16487:                            ;   in Loop: Header=BB4_16434 Depth=3
	s_mov_b32 s50, 0
	s_mov_b64 s[30:31], 0
                                        ; implicit-def: $sgpr34_sgpr35
                                        ; implicit-def: $sgpr36_sgpr37
	s_branch .LBB4_16489
.LBB4_16488:                            ;   in Loop: Header=BB4_16489 Depth=4
	s_or_b64 exec, exec, s[48:49]
	s_and_b64 vcc, exec, vcc
	s_or_b64 s[30:31], vcc, s[30:31]
	s_andn2_b64 vcc, s[34:35], exec
	s_and_b64 s[34:35], s[36:37], exec
	s_or_b64 s[34:35], vcc, s[34:35]
	s_andn2_b64 exec, exec, s[30:31]
	s_cbranch_execz .LBB4_16493
.LBB4_16489:                            ;   Parent Loop BB4_47 Depth=1
                                        ;     Parent Loop BB4_16431 Depth=2
                                        ;       Parent Loop BB4_16434 Depth=3
                                        ; =>      This Inner Loop Header: Depth=4
	s_add_i32 s50, s50, 1
	s_cmpk_lg_i32 s50, 0x2710
	s_cselect_b64 s[38:39], -1, 0
	s_and_b64 vcc, exec, s[38:39]
	s_cbranch_vccz .LBB4_16491
; %bb.16490:                            ;   in Loop: Header=BB4_16489 Depth=4
	s_mov_b64 vcc, -1
	s_or_b64 s[36:37], s[36:37], exec
	s_and_saveexec_b64 s[48:49], s[38:39]
	s_cbranch_execz .LBB4_16488
	s_branch .LBB4_16492
.LBB4_16491:                            ;   in Loop: Header=BB4_16489 Depth=4
	s_trap 2
	ds_read_b64 v[0:1], v0
	s_andn2_b64 s[38:39], s[38:39], exec
	s_mov_b32 s50, 0
	s_waitcnt vmcnt(0) lgkmcnt(0)
	flat_load_dword v0, v[0:1] glc
	s_waitcnt vmcnt(0) lgkmcnt(0)
	buffer_wbinvl1_vol
	v_cmp_eq_u32_e32 vcc, 0, v0
	s_and_b64 vcc, vcc, exec
	s_or_b64 s[38:39], s[38:39], vcc
	s_mov_b64 vcc, -1
	s_or_b64 s[36:37], s[36:37], exec
	s_and_saveexec_b64 s[48:49], s[38:39]
	s_cbranch_execz .LBB4_16488
.LBB4_16492:                            ;   in Loop: Header=BB4_16489 Depth=4
	s_sleep 1
	s_trap 2
	ds_read_b64 v[0:1], v0
	s_waitcnt lgkmcnt(0)
	buffer_load_dword v3, off, s[0:3], s33 offset:76 ; 4-byte Folded Reload
	buffer_load_dword v4, off, s[0:3], s33 offset:80 ; 4-byte Folded Reload
	s_andn2_b64 s[36:37], s[36:37], exec
	s_waitcnt vmcnt(0)
	v_cmp_ge_u64_e32 vcc, v[0:1], v[3:4]
	s_orn2_b64 vcc, vcc, exec
	s_branch .LBB4_16488
.LBB4_16493:                            ;   in Loop: Header=BB4_16434 Depth=3
	s_or_b64 exec, exec, s[30:31]
	s_and_saveexec_b64 vcc, s[34:35]
	s_xor_b64 vcc, exec, vcc
	s_cbranch_execz .LBB4_16495
; %bb.16494:                            ;   in Loop: Header=BB4_16434 Depth=3
	v_mov_b32_e32 v0, 1
	ds_write_b32 v0, v0
	s_trap 2
.LBB4_16495:                            ;   in Loop: Header=BB4_16434 Depth=3
	s_or_b64 exec, exec, s[94:95]
	;;#ASMSTART
	s_wakeup
	;;#ASMEND
.LBB4_16496:                            ;   in Loop: Header=BB4_16434 Depth=3
	s_or_b64 exec, exec, s[40:41]
.LBB4_16497:                            ;   in Loop: Header=BB4_16434 Depth=3
	s_andn2_saveexec_b64 s[28:29], s[28:29]
	s_cbranch_execz .LBB4_16499
; %bb.16498:                            ;   in Loop: Header=BB4_16434 Depth=3
	s_waitcnt vmcnt(0) lgkmcnt(0)
	buffer_wbinvl1_vol
	s_barrier
.LBB4_16499:                            ;   in Loop: Header=BB4_16434 Depth=3
	s_or_b64 exec, exec, s[28:29]
.LBB4_16500:                            ;   in Loop: Header=BB4_16434 Depth=3
	s_or_b64 exec, exec, s[26:27]
	s_trap 2
	ds_read_b64 v[0:1], v0
	s_waitcnt lgkmcnt(0)
	v_cmp_eq_u64_e32 vcc, 0, v[0:1]
	s_cbranch_vccnz .LBB4_16509
; %bb.16501:                            ;   in Loop: Header=BB4_16434 Depth=3
	s_trap 2
	ds_read_b64 v[3:4], v0
	s_waitcnt lgkmcnt(0)
	v_cmp_eq_u64_e32 vcc, 0, v[3:4]
	s_cbranch_vccnz .LBB4_16509
; %bb.16502:                            ;   in Loop: Header=BB4_16434 Depth=3
	s_trap 2
	ds_read_b64 v[12:13], v0
	v_cmp_eq_u32_e64 s[26:27], 0, v5
	v_cndmask_b32_e64 v19, 0, v2, s[26:27]
	s_waitcnt lgkmcnt(0)
	v_cmp_ne_u64_e32 vcc, 0, v[12:13]
	s_cbranch_vccz .LBB4_16514
; %bb.16503:                            ;   in Loop: Header=BB4_16434 Depth=3
	s_mov_b64 s[28:29], -1
	s_and_saveexec_b64 s[26:27], s[16:17]
	s_cbranch_execz .LBB4_16505
; %bb.16504:                            ;   in Loop: Header=BB4_16434 Depth=3
	ds_read_b32 v5, v0 offset:720
	s_waitcnt lgkmcnt(0)
	v_and_b32_e32 v5, 15, v5
	v_cmp_eq_u32_e32 vcc, 0, v5
	s_orn2_b64 s[28:29], vcc, exec
.LBB4_16505:                            ;   in Loop: Header=BB4_16434 Depth=3
	s_or_b64 exec, exec, s[26:27]
	s_and_saveexec_b64 s[26:27], s[24:25]
	s_cbranch_execz .LBB4_16507
; %bb.16506:                            ;   in Loop: Header=BB4_16434 Depth=3
	ds_read_b32 v5, v0 offset:784
	s_waitcnt lgkmcnt(0)
	v_and_b32_e32 v5, 15, v5
	v_cmp_eq_u32_e32 vcc, 0, v5
	s_and_b64 s[40:41], s[28:29], vcc
	s_andn2_b64 s[28:29], s[28:29], exec
	s_and_b64 s[40:41], s[40:41], exec
	s_or_b64 s[28:29], s[28:29], s[40:41]
.LBB4_16507:                            ;   in Loop: Header=BB4_16434 Depth=3
	s_or_b64 exec, exec, s[26:27]
	buffer_load_dword v21, off, s[0:3], s33 offset:176 ; 4-byte Folded Reload
	s_xor_b64 s[28:29], s[28:29], -1
	v_cndmask_b32_e64 v5, 0, 1, s[28:29]
	s_mov_b64 s[26:27], -1
	v_mov_b32_e32 v11, 0
	v_cmp_ne_u32_e32 vcc, 0, v5
	v_mov_b32_e32 v20, v19
	s_cbranch_vccz .LBB4_16516
; %bb.16508:                            ;   in Loop: Header=BB4_16434 Depth=3
	s_and_saveexec_b64 s[40:41], s[26:27]
	s_cbranch_execnz .LBB4_16529
	s_branch .LBB4_16539
.LBB4_16509:                            ;   in Loop: Header=BB4_16434 Depth=3
	s_mov_b64 s[26:27], 0
	s_and_saveexec_b64 s[28:29], s[12:13]
	s_cbranch_execnz .LBB4_16566
.LBB4_16510:                            ;   in Loop: Header=BB4_16434 Depth=3
	s_or_b64 exec, exec, s[28:29]
                                        ; implicit-def: $vgpr0
	s_and_saveexec_b64 s[28:29], s[18:19]
	s_xor_b64 s[28:29], exec, s[28:29]
	s_cbranch_execz .LBB4_16584
.LBB4_16511:                            ;   in Loop: Header=BB4_16434 Depth=3
	buffer_load_dword v1, off, s[0:3], s33 offset:72 ; 4-byte Folded Reload
	s_waitcnt vmcnt(0)
	v_and_b32_e32 v0, 16, v1
	v_and_b32_e32 v1, 16, v1
	v_cmp_ne_u32_e32 vcc, 0, v1
	s_and_b64 s[40:41], vcc, s[26:27]
	s_and_saveexec_b64 s[26:27], s[40:41]
	s_cbranch_execz .LBB4_16513
; %bb.16512:                            ;   in Loop: Header=BB4_16434 Depth=3
	v_mov_b32_e32 v0, 1
	s_waitcnt lgkmcnt(0)
	buffer_wbinvl1_vol
.LBB4_16513:                            ;   in Loop: Header=BB4_16434 Depth=3
	s_or_b64 exec, exec, s[26:27]
	s_andn2_saveexec_b64 s[26:27], s[28:29]
	s_cbranch_execz .LBB4_16603
	s_branch .LBB4_16585
.LBB4_16514:                            ;   in Loop: Header=BB4_16434 Depth=3
	s_cbranch_execnz .LBB4_16540
.LBB4_16515:                            ;   in Loop: Header=BB4_16434 Depth=3
	v_cmp_lt_i32_e64 s[26:27], 0, v19
	s_and_saveexec_b64 s[28:29], s[12:13]
	s_cbranch_execnz .LBB4_16566
	s_branch .LBB4_16510
.LBB4_16516:                            ;   in Loop: Header=BB4_16434 Depth=3
	v_ashrrev_i32_e32 v5, 31, v19
	v_lshrrev_b32_e32 v5, 21, v5
	v_add_u32_e32 v5, v19, v5
	v_ashrrev_i32_e32 v11, 11, v5
	buffer_load_dword v5, off, s[0:3], s33 offset:220 ; 4-byte Folded Reload
	s_waitcnt vmcnt(0)
	v_sub_u32_e32 v22, v11, v5
	v_cmp_lt_i32_e32 vcc, 0, v22
	s_and_saveexec_b64 s[26:27], vcc
	s_cbranch_execz .LBB4_16520
; %bb.16517:                            ;   in Loop: Header=BB4_16434 Depth=3
	buffer_load_dword v9, off, s[0:3], s33 offset:360 ; 4-byte Folded Reload
	buffer_load_dword v20, off, s[0:3], s33 offset:92 ; 4-byte Folded Reload
	buffer_load_dword v21, off, s[0:3], s33 offset:112 ; 4-byte Folded Reload
	s_mov_b64 s[28:29], 0
	s_waitcnt vmcnt(2)
	v_add_co_u32_e32 v5, vcc, v0, v9
	v_addc_co_u32_e32 v6, vcc, 0, v1, vcc
	v_add_co_u32_e32 v7, vcc, v3, v9
	v_addc_co_u32_e32 v8, vcc, 0, v4, vcc
	v_add_co_u32_e32 v9, vcc, v12, v9
	v_addc_co_u32_e32 v10, vcc, 0, v13, vcc
.LBB4_16518:                            ;   Parent Loop BB4_47 Depth=1
                                        ;     Parent Loop BB4_16431 Depth=2
                                        ;       Parent Loop BB4_16434 Depth=3
                                        ; =>      This Inner Loop Header: Depth=4
	global_load_dwordx4 v[23:26], v[5:6], off glc slc
	global_load_dwordx4 v[30:33], v[5:6], off offset:1024 glc slc
	s_waitcnt vmcnt(2)
	v_add_co_u32_e32 v5, vcc, v5, v21
	v_addc_co_u32_e32 v6, vcc, 0, v6, vcc
	v_sub_u32_e32 v22, v22, v20
	v_cmp_gt_i32_e32 vcc, 1, v22
	s_or_b64 s[28:29], vcc, s[28:29]
	s_waitcnt vmcnt(1)
	global_store_dwordx4 v[7:8], v[23:26], off glc slc
	s_waitcnt vmcnt(1)
	global_store_dwordx4 v[7:8], v[30:33], off offset:1024 glc slc
	global_store_dwordx4 v[9:10], v[23:26], off glc slc
	global_store_dwordx4 v[9:10], v[30:33], off offset:1024 glc slc
	v_add_co_u32_e32 v7, vcc, v7, v21
	v_addc_co_u32_e32 v8, vcc, 0, v8, vcc
	v_add_co_u32_e32 v9, vcc, v9, v21
	v_addc_co_u32_e32 v10, vcc, 0, v10, vcc
	s_andn2_b64 exec, exec, s[28:29]
	s_cbranch_execnz .LBB4_16518
; %bb.16519:                            ;   in Loop: Header=BB4_16434 Depth=3
	s_or_b64 exec, exec, s[28:29]
.LBB4_16520:                            ;   in Loop: Header=BB4_16434 Depth=3
	s_or_b64 exec, exec, s[26:27]
	v_lshlrev_b32_e32 v7, 11, v11
	v_cmp_ne_u32_e32 vcc, v19, v7
	s_mov_b64 s[26:27], 0
	v_mov_b32_e32 v11, 0
                                        ; implicit-def: $vgpr20
                                        ; implicit-def: $vgpr21
	s_and_saveexec_b64 s[94:95], vcc
	s_cbranch_execz .LBB4_16528
; %bb.16521:                            ;   in Loop: Header=BB4_16434 Depth=3
	buffer_load_dword v8, off, s[0:3], s33 offset:340 ; 4-byte Folded Reload
	v_lshlrev_b32_e32 v5, 6, v22
	v_sub_u32_e32 v6, v19, v7
	s_waitcnt vmcnt(0)
	v_sub_u32_e32 v5, v8, v5
	v_ashrrev_i32_e32 v8, 31, v5
	v_lshrrev_b32_e32 v8, 26, v8
	v_add_u32_e32 v8, v5, v8
	v_ashrrev_i32_e32 v9, 6, v8
	v_and_b32_e32 v8, 0xffffffc0, v8
	v_sub_u32_e32 v21, v5, v8
	v_ashrrev_i32_e32 v8, 31, v6
	v_lshrrev_b32_e32 v8, 22, v8
	v_add_u32_e32 v8, v6, v8
	v_and_b32_e32 v20, 0xfffffc00, v8
	v_lshlrev_b32_e32 v5, 4, v21
	v_sub_u32_e32 v22, v6, v20
	v_lshl_add_u32 v5, v9, 10, v5
	v_ashrrev_i32_e32 v10, 10, v8
	v_cmp_lt_i32_e64 s[26:27], 15, v22
	v_sub_u32_e32 v24, v6, v5
	v_addc_co_u32_e64 v6, vcc, 0, v10, s[26:27]
	v_sub_u32_e32 v23, v6, v9
	v_cmp_lt_i32_e32 vcc, 15, v24
	s_and_saveexec_b64 s[30:31], vcc
	s_cbranch_execz .LBB4_16527
; %bb.16522:                            ;   in Loop: Header=BB4_16434 Depth=3
	v_add_u32_e32 v8, v5, v7
	v_ashrrev_i32_e32 v9, 31, v8
	v_add_co_u32_e32 v5, vcc, v8, v0
	v_addc_co_u32_e32 v6, vcc, v9, v1, vcc
	v_add_co_u32_e32 v25, vcc, v8, v3
	v_addc_co_u32_e32 v26, vcc, v9, v4, vcc
	;; [unrolled: 2-line block ×3, first 2 shown]
	s_mov_b64 s[34:35], 0
.LBB4_16523:                            ;   Parent Loop BB4_47 Depth=1
                                        ;     Parent Loop BB4_16431 Depth=2
                                        ;       Parent Loop BB4_16434 Depth=3
                                        ; =>      This Loop Header: Depth=4
                                        ;           Child Loop BB4_16524 Depth 5
	global_load_dwordx4 v[8:11], v[5:6], off glc slc
	s_mov_b64 s[36:37], -1
	s_mov_b64 s[38:39], 0
	s_waitcnt vmcnt(0)
.LBB4_16524:                            ;   Parent Loop BB4_47 Depth=1
                                        ;     Parent Loop BB4_16431 Depth=2
                                        ;       Parent Loop BB4_16434 Depth=3
                                        ;         Parent Loop BB4_16523 Depth=4
                                        ; =>        This Inner Loop Header: Depth=5
	s_cmp_eq_u32 s38, 1
	s_cselect_b64 s[28:29], -1, 0
	v_cndmask_b32_e64 v29, v26, v30, s[28:29]
	v_cndmask_b32_e64 v28, v25, v27, s[28:29]
	global_store_dwordx4 v[28:29], v[8:11], off glc slc
	v_add_co_u32_e32 v28, vcc, 0x400, v28
	s_cmp_eq_u32 s38, 0
	v_addc_co_u32_e32 v29, vcc, 0, v29, vcc
	s_cselect_b64 vcc, -1, 0
	s_and_b64 s[40:41], exec, s[36:37]
	s_mov_b64 s[38:39], 1
	v_cndmask_b32_e64 v27, v27, v28, s[28:29]
	s_mov_b64 s[36:37], 0
	v_cndmask_b32_e64 v30, v30, v29, s[28:29]
	v_cndmask_b32_e32 v26, v26, v29, vcc
	v_cndmask_b32_e32 v25, v25, v28, vcc
	s_mov_b64 vcc, s[40:41]
	s_cbranch_vccnz .LBB4_16524
; %bb.16525:                            ;   in Loop: Header=BB4_16523 Depth=4
	buffer_load_dword v8, off, s[0:3], s33 offset:180 ; 4-byte Folded Reload
	buffer_load_dword v9, off, s[0:3], s33 offset:184 ; 4-byte Folded Reload
	s_waitcnt vmcnt(1)
	v_add_co_u32_e32 v25, vcc, v25, v8
	s_waitcnt vmcnt(0)
	v_addc_co_u32_e32 v26, vcc, v26, v9, vcc
	v_add_co_u32_e32 v27, vcc, v27, v8
	buffer_load_dword v8, off, s[0:3], s33 offset:188 ; 4-byte Folded Reload
	v_addc_co_u32_e32 v30, vcc, v30, v9, vcc
	s_waitcnt vmcnt(0)
	v_add_co_u32_e32 v5, vcc, v8, v5
	buffer_load_dword v8, off, s[0:3], s33 offset:192 ; 4-byte Folded Reload
	s_waitcnt vmcnt(0)
	v_addc_co_u32_e32 v6, vcc, v8, v6, vcc
	buffer_load_dword v8, off, s[0:3], s33 offset:96 ; 4-byte Folded Reload
	s_waitcnt vmcnt(0)
	v_sub_u32_e32 v24, v24, v8
	buffer_load_dword v8, off, s[0:3], s33 offset:92 ; 4-byte Folded Reload
	v_cmp_gt_i32_e32 vcc, 16, v24
	s_or_b64 s[34:35], vcc, s[34:35]
	s_waitcnt vmcnt(0)
	v_sub_u32_e32 v23, v23, v8
	s_andn2_b64 exec, exec, s[34:35]
	s_cbranch_execnz .LBB4_16523
; %bb.16526:                            ;   in Loop: Header=BB4_16434 Depth=3
	s_or_b64 exec, exec, s[34:35]
.LBB4_16527:                            ;   in Loop: Header=BB4_16434 Depth=3
	s_or_b64 exec, exec, s[30:31]
	v_and_b32_e32 v5, 15, v19
	v_sub_u32_e32 v6, v22, v5
	v_cndmask_b32_e64 v6, 0, v6, s[26:27]
	v_add3_u32 v11, v20, v7, v6
	v_cndmask_b32_e64 v20, v22, v5, s[26:27]
	buffer_load_dword v5, off, s[0:3], s33 offset:92 ; 4-byte Folded Reload
	v_cmp_lt_i32_e32 vcc, 0, v23
	s_waitcnt vmcnt(0)
	v_cndmask_b32_e32 v5, 0, v5, vcc
	v_sub_u32_e32 v5, v5, v23
	v_cmp_ne_u32_e32 vcc, 0, v20
	v_lshl_add_u32 v21, v5, 6, v21
	s_and_b64 s[26:27], vcc, exec
.LBB4_16528:                            ;   in Loop: Header=BB4_16434 Depth=3
	s_or_b64 exec, exec, s[94:95]
	s_and_saveexec_b64 s[40:41], s[26:27]
	s_cbranch_execz .LBB4_16539
.LBB4_16529:                            ;   in Loop: Header=BB4_16434 Depth=3
	s_waitcnt vmcnt(0)
	v_ashrrev_i32_e32 v5, 31, v21
	v_ashrrev_i32_e32 v6, 31, v20
	v_lshrrev_b32_e32 v5, 26, v5
	v_lshrrev_b32_e32 v6, 22, v6
	v_add_u32_e32 v5, v21, v5
	v_add_u32_e32 v6, v20, v6
	v_ashrrev_i32_e32 v22, 6, v5
	v_ashrrev_i32_e32 v24, 10, v6
	v_sub_u32_e32 v23, v24, v22
	v_cmp_lt_i32_e32 vcc, 0, v23
	s_and_saveexec_b64 s[26:27], vcc
	s_cbranch_execz .LBB4_16533
; %bb.16530:                            ;   in Loop: Header=BB4_16434 Depth=3
	buffer_load_dword v48, off, s[0:3], s33 offset:92 ; 4-byte Folded Reload
	buffer_load_dword v49, off, s[0:3], s33 offset:96 ; 4-byte Folded Reload
	v_and_b32_e32 v5, 0xffffffc0, v5
	v_sub_u32_e32 v5, v21, v5
	v_lshlrev_b32_e32 v6, 10, v22
	v_add3_u32 v9, v11, v5, v6
	v_ashrrev_i32_e32 v10, 31, v9
	v_add_co_u32_e32 v5, vcc, v9, v3
	v_addc_co_u32_e32 v6, vcc, v10, v4, vcc
	v_add_co_u32_e32 v7, vcc, v9, v12
	v_addc_co_u32_e32 v8, vcc, v10, v13, vcc
	;; [unrolled: 2-line block ×4, first 2 shown]
	s_mov_b64 s[28:29], 0
.LBB4_16531:                            ;   Parent Loop BB4_47 Depth=1
                                        ;     Parent Loop BB4_16431 Depth=2
                                        ;       Parent Loop BB4_16434 Depth=3
                                        ; =>      This Inner Loop Header: Depth=4
	v_add_co_u32_e32 v12, vcc, 0xfffffc40, v9
	v_addc_co_u32_e32 v13, vcc, -1, v10, vcc
	v_add_co_u32_e32 v25, vcc, 0xfffffc80, v9
	v_addc_co_u32_e32 v26, vcc, -1, v10, vcc
	flat_load_ubyte v12, v[12:13] glc slc
	s_waitcnt vmcnt(0)
	v_sub_u32_e32 v23, v23, v48
	flat_load_ubyte v13, v[25:26] glc slc
	v_add_co_u32_e32 v25, vcc, 0xfffffcc0, v9
	v_addc_co_u32_e32 v26, vcc, -1, v10, vcc
	flat_load_ubyte v25, v[25:26] glc slc
	v_add_co_u32_e32 v26, vcc, 0xfffffd00, v9
	v_addc_co_u32_e32 v27, vcc, -1, v10, vcc
	;; [unrolled: 3-line block ×13, first 2 shown]
	flat_load_ubyte v39, v[28:29] glc slc
	s_nop 0
	flat_load_ubyte v28, v[9:10] glc slc
	s_waitcnt lgkmcnt(0)
	flat_store_byte v[5:6], v12 glc slc
	s_waitcnt vmcnt(0)
	flat_store_byte v[5:6], v13 offset:64 glc slc
	flat_store_byte v[5:6], v25 offset:128 glc slc
	;; [unrolled: 1-line block ×15, first 2 shown]
	flat_store_byte v[7:8], v12 glc slc
	flat_store_byte v[7:8], v13 offset:64 glc slc
	flat_store_byte v[7:8], v25 offset:128 glc slc
	;; [unrolled: 1-line block ×15, first 2 shown]
	v_add_co_u32_e32 v5, vcc, v5, v49
	v_addc_co_u32_e32 v6, vcc, 0, v6, vcc
	v_add_co_u32_e32 v7, vcc, v7, v49
	v_addc_co_u32_e32 v8, vcc, 0, v8, vcc
	;; [unrolled: 2-line block ×3, first 2 shown]
	v_cmp_gt_i32_e32 vcc, 1, v23
	s_or_b64 s[28:29], vcc, s[28:29]
	s_andn2_b64 exec, exec, s[28:29]
	s_cbranch_execnz .LBB4_16531
; %bb.16532:                            ;   in Loop: Header=BB4_16434 Depth=3
	s_or_b64 exec, exec, s[28:29]
.LBB4_16533:                            ;   in Loop: Header=BB4_16434 Depth=3
	s_or_b64 exec, exec, s[26:27]
	v_lshlrev_b32_e32 v5, 10, v24
	v_cmp_ne_u32_e32 vcc, v20, v5
	s_and_b64 exec, exec, vcc
	s_cbranch_execz .LBB4_16539
; %bb.16534:                            ;   in Loop: Header=BB4_16434 Depth=3
	v_lshlrev_b32_e32 v6, 6, v22
	v_sub_u32_e32 v6, v21, v6
	v_lshlrev_b32_e32 v7, 6, v23
	v_sub_u32_e32 v6, v6, v7
	v_add_u32_e32 v5, v5, v6
	v_sub_u32_e32 v7, v20, v5
	v_cmp_lt_i32_e32 vcc, 0, v7
	s_and_b64 exec, exec, vcc
	s_cbranch_execz .LBB4_16539
; %bb.16535:                            ;   in Loop: Header=BB4_16434 Depth=3
	v_add_u32_e32 v12, v5, v11
	s_trap 2
	ds_read_b64 v[5:6], v0
	ds_read_b128 v[8:11], v0
	v_ashrrev_i32_e32 v13, 31, v12
	s_mov_b64 s[94:95], 0
	s_waitcnt lgkmcnt(0)
	v_add_co_u32_e32 v5, vcc, v5, v12
	v_addc_co_u32_e32 v6, vcc, v6, v13, vcc
	v_add_co_u32_e32 v8, vcc, v8, v12
	v_addc_co_u32_e32 v9, vcc, v9, v13, vcc
	v_add_co_u32_e32 v10, vcc, v10, v12
	v_addc_co_u32_e32 v11, vcc, v11, v13, vcc
.LBB4_16536:                            ;   Parent Loop BB4_47 Depth=1
                                        ;     Parent Loop BB4_16431 Depth=2
                                        ;       Parent Loop BB4_16434 Depth=3
                                        ; =>      This Loop Header: Depth=4
                                        ;           Child Loop BB4_16537 Depth 5
	flat_load_ubyte v12, v[5:6] glc slc
	s_mov_b64 s[30:31], -1
	s_mov_b64 s[34:35], 0
	s_waitcnt vmcnt(0)
.LBB4_16537:                            ;   Parent Loop BB4_47 Depth=1
                                        ;     Parent Loop BB4_16431 Depth=2
                                        ;       Parent Loop BB4_16434 Depth=3
                                        ;         Parent Loop BB4_16536 Depth=4
                                        ; =>        This Inner Loop Header: Depth=5
	s_cmp_eq_u32 s34, 1
	s_cselect_b64 vcc, -1, 0
	v_cndmask_b32_e32 v20, v8, v10, vcc
	v_cndmask_b32_e32 v21, v9, v11, vcc
	v_add_co_u32_e64 v13, s[26:27], 64, v20
	s_cmp_eq_u32 s34, 0
	s_waitcnt lgkmcnt(0)
	flat_store_byte v[20:21], v12 glc slc
	v_addc_co_u32_e64 v20, s[26:27], 0, v21, s[26:27]
	s_cselect_b64 s[26:27], -1, 0
	s_and_b64 s[28:29], exec, s[30:31]
	s_mov_b64 s[34:35], 1
	s_mov_b64 s[30:31], 0
	v_cndmask_b32_e32 v11, v11, v20, vcc
	v_cndmask_b32_e32 v10, v10, v13, vcc
	v_cndmask_b32_e64 v9, v9, v20, s[26:27]
	v_cndmask_b32_e64 v8, v8, v13, s[26:27]
	s_mov_b64 vcc, s[28:29]
	s_cbranch_vccnz .LBB4_16537
; %bb.16538:                            ;   in Loop: Header=BB4_16536 Depth=4
	buffer_load_dword v12, off, s[0:3], s33 offset:156 ; 4-byte Folded Reload
	buffer_load_dword v13, off, s[0:3], s33 offset:160 ; 4-byte Folded Reload
	s_waitcnt vmcnt(0)
	v_add_co_u32_e32 v8, vcc, v8, v12
	v_addc_co_u32_e32 v9, vcc, v9, v13, vcc
	v_add_co_u32_e32 v10, vcc, v10, v12
	buffer_load_dword v12, off, s[0:3], s33 offset:108 ; 4-byte Folded Reload
	v_addc_co_u32_e32 v11, vcc, v11, v13, vcc
	s_waitcnt vmcnt(0)
	v_sub_u32_e32 v7, v7, v12
	buffer_load_dword v12, off, s[0:3], s33 offset:164 ; 4-byte Folded Reload
	v_cmp_gt_i32_e32 vcc, 1, v7
	s_or_b64 s[94:95], vcc, s[94:95]
	s_waitcnt vmcnt(0)
	v_add_co_u32_e32 v5, vcc, v12, v5
	buffer_load_dword v12, off, s[0:3], s33 offset:168 ; 4-byte Folded Reload
	s_waitcnt vmcnt(0)
	v_addc_co_u32_e32 v6, vcc, v12, v6, vcc
	s_andn2_b64 exec, exec, s[94:95]
	s_cbranch_execnz .LBB4_16536
.LBB4_16539:                            ;   in Loop: Header=BB4_16434 Depth=3
	s_or_b64 exec, exec, s[40:41]
	s_branch .LBB4_16515
.LBB4_16540:                            ;   in Loop: Header=BB4_16434 Depth=3
	s_mov_b64 s[26:27], -1
	s_and_saveexec_b64 s[28:29], s[16:17]
	s_cbranch_execz .LBB4_16542
; %bb.16541:                            ;   in Loop: Header=BB4_16434 Depth=3
	ds_read_b32 v5, v0 offset:720
	s_waitcnt lgkmcnt(0)
	v_and_b32_e32 v5, 15, v5
	v_cmp_eq_u32_e32 vcc, 0, v5
	s_orn2_b64 s[26:27], vcc, exec
.LBB4_16542:                            ;   in Loop: Header=BB4_16434 Depth=3
	s_or_b64 exec, exec, s[28:29]
	s_and_saveexec_b64 s[28:29], s[14:15]
	s_cbranch_execz .LBB4_16544
; %bb.16543:                            ;   in Loop: Header=BB4_16434 Depth=3
	ds_read_b32 v5, v0 offset:784
	s_waitcnt lgkmcnt(0)
	v_and_b32_e32 v5, 15, v5
	v_cmp_eq_u32_e32 vcc, 0, v5
	s_and_b64 s[40:41], s[26:27], vcc
	s_andn2_b64 s[26:27], s[26:27], exec
	s_and_b64 s[40:41], s[40:41], exec
	s_or_b64 s[26:27], s[26:27], s[40:41]
.LBB4_16544:                            ;   in Loop: Header=BB4_16434 Depth=3
	s_or_b64 exec, exec, s[28:29]
	buffer_load_dword v7, off, s[0:3], s33 offset:176 ; 4-byte Folded Reload
	s_xor_b64 s[26:27], s[26:27], -1
	v_cndmask_b32_e64 v6, 0, 1, s[26:27]
	s_mov_b64 s[40:41], -1
	v_mov_b32_e32 v5, 0
	v_cmp_ne_u32_e32 vcc, 0, v6
	v_mov_b32_e32 v6, v19
	s_cbranch_vccz .LBB4_16546
; %bb.16545:                            ;   in Loop: Header=BB4_16434 Depth=3
	s_and_saveexec_b64 s[26:27], s[40:41]
	s_cbranch_execnz .LBB4_16557
	s_branch .LBB4_16565
.LBB4_16546:                            ;   in Loop: Header=BB4_16434 Depth=3
	v_ashrrev_i32_e32 v5, 31, v19
	v_lshrrev_b32_e32 v5, 20, v5
	v_add_u32_e32 v5, v19, v5
	v_ashrrev_i32_e32 v10, 12, v5
	buffer_load_dword v5, off, s[0:3], s33 offset:220 ; 4-byte Folded Reload
	s_waitcnt vmcnt(0)
	v_sub_u32_e32 v9, v10, v5
	v_cmp_lt_i32_e32 vcc, 0, v9
	s_and_saveexec_b64 s[26:27], vcc
	s_cbranch_execz .LBB4_16550
; %bb.16547:                            ;   in Loop: Header=BB4_16434 Depth=3
	buffer_load_dword v13, off, s[0:3], s33 offset:92 ; 4-byte Folded Reload
	buffer_load_dword v28, off, s[0:3], s33 offset:336 ; 4-byte Folded Reload
	;; [unrolled: 1-line block ×3, first 2 shown]
	v_mov_b32_e32 v6, v4
	v_mov_b32_e32 v8, v1
	s_mov_b64 s[28:29], 0
	v_mov_b32_e32 v5, v3
	v_mov_b32_e32 v7, v0
.LBB4_16548:                            ;   Parent Loop BB4_47 Depth=1
                                        ;     Parent Loop BB4_16431 Depth=2
                                        ;       Parent Loop BB4_16434 Depth=3
                                        ; =>      This Inner Loop Header: Depth=4
	s_waitcnt vmcnt(0)
	v_add_co_u32_e32 v11, vcc, v29, v7
	v_addc_co_u32_e32 v12, vcc, 0, v8, vcc
	global_load_dwordx4 v[20:23], v[11:12], off glc slc
	global_load_dwordx4 v[24:27], v[11:12], off offset:1024 glc slc
	global_load_dwordx4 v[30:33], v[11:12], off offset:2048 glc slc
	;; [unrolled: 1-line block ×3, first 2 shown]
	v_add_co_u32_e32 v11, vcc, v29, v5
	v_addc_co_u32_e32 v12, vcc, 0, v6, vcc
	v_add_co_u32_e32 v7, vcc, v7, v28
	v_addc_co_u32_e32 v8, vcc, 0, v8, vcc
	v_add_co_u32_e32 v5, vcc, v5, v28
	v_sub_u32_e32 v9, v9, v13
	v_addc_co_u32_e32 v6, vcc, 0, v6, vcc
	v_cmp_gt_i32_e32 vcc, 1, v9
	s_or_b64 s[28:29], vcc, s[28:29]
	s_waitcnt vmcnt(0)
	global_store_dwordx4 v[11:12], v[20:23], off glc slc
	global_store_dwordx4 v[11:12], v[24:27], off offset:1024 glc slc
	global_store_dwordx4 v[11:12], v[30:33], off offset:2048 glc slc
	;; [unrolled: 1-line block ×3, first 2 shown]
	s_andn2_b64 exec, exec, s[28:29]
	s_cbranch_execnz .LBB4_16548
; %bb.16549:                            ;   in Loop: Header=BB4_16434 Depth=3
	s_or_b64 exec, exec, s[28:29]
.LBB4_16550:                            ;   in Loop: Header=BB4_16434 Depth=3
	s_or_b64 exec, exec, s[26:27]
	v_lshlrev_b32_e32 v8, 12, v10
	v_cmp_ne_u32_e32 vcc, v19, v8
	s_mov_b64 s[40:41], 0
	v_mov_b32_e32 v5, 0
                                        ; implicit-def: $vgpr6
                                        ; implicit-def: $vgpr7
	s_and_saveexec_b64 s[28:29], vcc
	s_cbranch_execz .LBB4_16556
; %bb.16551:                            ;   in Loop: Header=BB4_16434 Depth=3
	buffer_load_dword v7, off, s[0:3], s33 offset:340 ; 4-byte Folded Reload
	v_lshlrev_b32_e32 v5, 6, v9
	v_sub_u32_e32 v6, v19, v8
	s_waitcnt vmcnt(0)
	v_sub_u32_e32 v5, v7, v5
	v_ashrrev_i32_e32 v7, 31, v5
	v_lshrrev_b32_e32 v7, 26, v7
	v_add_u32_e32 v7, v5, v7
	v_ashrrev_i32_e32 v9, 6, v7
	v_and_b32_e32 v7, 0xffffffc0, v7
	v_sub_u32_e32 v7, v5, v7
	v_lshlrev_b32_e32 v5, 4, v7
	v_lshl_add_u32 v11, v9, 10, v5
	v_ashrrev_i32_e32 v5, 31, v6
	v_lshrrev_b32_e32 v5, 22, v5
	v_add_u32_e32 v5, v6, v5
	v_ashrrev_i32_e32 v12, 10, v5
	v_and_b32_e32 v5, 0xfffffc00, v5
	v_sub_u32_e32 v10, v6, v11
	v_sub_u32_e32 v6, v6, v5
	v_cmp_lt_i32_e32 vcc, 15, v6
	v_addc_co_u32_e64 v12, s[26:27], 0, v12, vcc
	v_sub_u32_e32 v9, v12, v9
	v_cmp_lt_i32_e64 s[26:27], 15, v10
	s_and_saveexec_b64 s[40:41], s[26:27]
	s_cbranch_execz .LBB4_16555
; %bb.16552:                            ;   in Loop: Header=BB4_16434 Depth=3
	buffer_load_dword v13, off, s[0:3], s33 offset:92 ; 4-byte Folded Reload
	buffer_load_dword v26, off, s[0:3], s33 offset:96 ; 4-byte Folded Reload
	v_add_u32_e32 v11, v11, v8
	v_ashrrev_i32_e32 v12, 31, v11
	s_mov_b64 s[94:95], 0
.LBB4_16553:                            ;   Parent Loop BB4_47 Depth=1
                                        ;     Parent Loop BB4_16431 Depth=2
                                        ;       Parent Loop BB4_16434 Depth=3
                                        ; =>      This Inner Loop Header: Depth=4
	v_add_co_u32_e64 v20, s[26:27], v0, v11
	v_addc_co_u32_e64 v21, s[26:27], v1, v12, s[26:27]
	global_load_dwordx4 v[20:23], v[20:21], off glc slc
	v_add_co_u32_e64 v24, s[26:27], v3, v11
	v_addc_co_u32_e64 v25, s[26:27], v4, v12, s[26:27]
	s_waitcnt vmcnt(0)
	v_add_co_u32_e64 v11, s[26:27], v11, v26
	v_sub_u32_e32 v10, v10, v26
	v_addc_co_u32_e64 v12, s[26:27], 0, v12, s[26:27]
	v_cmp_gt_i32_e64 s[26:27], 16, v10
	v_sub_u32_e32 v9, v9, v13
	s_or_b64 s[94:95], s[26:27], s[94:95]
	global_store_dwordx4 v[24:25], v[20:23], off glc slc
	s_andn2_b64 exec, exec, s[94:95]
	s_cbranch_execnz .LBB4_16553
; %bb.16554:                            ;   in Loop: Header=BB4_16434 Depth=3
	s_or_b64 exec, exec, s[94:95]
.LBB4_16555:                            ;   in Loop: Header=BB4_16434 Depth=3
	s_or_b64 exec, exec, s[40:41]
	v_and_b32_e32 v10, 15, v19
	v_sub_u32_e32 v11, v6, v10
	v_cndmask_b32_e32 v11, 0, v11, vcc
	v_add3_u32 v5, v5, v8, v11
	buffer_load_dword v8, off, s[0:3], s33 offset:92 ; 4-byte Folded Reload
	v_cndmask_b32_e32 v6, v6, v10, vcc
	v_cmp_lt_i32_e32 vcc, 0, v9
	s_waitcnt vmcnt(0)
	v_cndmask_b32_e32 v8, 0, v8, vcc
	v_sub_u32_e32 v8, v8, v9
	v_cmp_ne_u32_e32 vcc, 0, v6
	v_lshl_add_u32 v7, v8, 6, v7
	s_and_b64 s[40:41], vcc, exec
.LBB4_16556:                            ;   in Loop: Header=BB4_16434 Depth=3
	s_or_b64 exec, exec, s[28:29]
	s_and_saveexec_b64 s[26:27], s[40:41]
	s_cbranch_execz .LBB4_16565
.LBB4_16557:                            ;   in Loop: Header=BB4_16434 Depth=3
	s_waitcnt vmcnt(0)
	v_ashrrev_i32_e32 v8, 31, v7
	v_ashrrev_i32_e32 v9, 31, v6
	v_lshrrev_b32_e32 v8, 26, v8
	v_lshrrev_b32_e32 v9, 22, v9
	v_add_u32_e32 v11, v7, v8
	v_add_u32_e32 v9, v6, v9
	v_ashrrev_i32_e32 v8, 6, v11
	v_ashrrev_i32_e32 v10, 10, v9
	v_sub_u32_e32 v9, v10, v8
	v_cmp_lt_i32_e32 vcc, 0, v9
	s_and_saveexec_b64 s[28:29], vcc
	s_cbranch_execz .LBB4_16561
; %bb.16558:                            ;   in Loop: Header=BB4_16434 Depth=3
	buffer_load_dword v37, off, s[0:3], s33 offset:92 ; 4-byte Folded Reload
	buffer_load_dword v38, off, s[0:3], s33 offset:96 ; 4-byte Folded Reload
	v_and_b32_e32 v11, 0xffffffc0, v11
	v_sub_u32_e32 v11, v7, v11
	v_lshlrev_b32_e32 v12, 10, v8
	v_add3_u32 v11, v5, v11, v12
	v_ashrrev_i32_e32 v12, 31, v11
	s_mov_b64 s[40:41], 0
.LBB4_16559:                            ;   Parent Loop BB4_47 Depth=1
                                        ;     Parent Loop BB4_16431 Depth=2
                                        ;       Parent Loop BB4_16434 Depth=3
                                        ; =>      This Inner Loop Header: Depth=4
	v_add_co_u32_e32 v20, vcc, v11, v0
	v_addc_co_u32_e32 v21, vcc, v12, v1, vcc
	flat_load_ubyte v13, v[20:21] glc slc
	flat_load_ubyte v22, v[20:21] offset:64 glc slc
	flat_load_ubyte v23, v[20:21] offset:128 glc slc
	flat_load_ubyte v24, v[20:21] offset:192 glc slc
	flat_load_ubyte v25, v[20:21] offset:256 glc slc
	flat_load_ubyte v26, v[20:21] offset:320 glc slc
	flat_load_ubyte v27, v[20:21] offset:384 glc slc
	flat_load_ubyte v28, v[20:21] offset:448 glc slc
	flat_load_ubyte v29, v[20:21] offset:512 glc slc
	flat_load_ubyte v30, v[20:21] offset:576 glc slc
	flat_load_ubyte v31, v[20:21] offset:640 glc slc
	flat_load_ubyte v32, v[20:21] offset:704 glc slc
	flat_load_ubyte v33, v[20:21] offset:768 glc slc
	flat_load_ubyte v34, v[20:21] offset:832 glc slc
	flat_load_ubyte v35, v[20:21] offset:896 glc slc
	flat_load_ubyte v36, v[20:21] offset:960 glc slc
	v_add_co_u32_e32 v20, vcc, v11, v3
	v_addc_co_u32_e32 v21, vcc, v12, v4, vcc
	s_waitcnt vmcnt(0)
	v_add_co_u32_e32 v0, vcc, v0, v38
	v_addc_co_u32_e32 v1, vcc, 0, v1, vcc
	v_add_co_u32_e32 v3, vcc, v3, v38
	v_sub_u32_e32 v9, v9, v37
	v_addc_co_u32_e32 v4, vcc, 0, v4, vcc
	v_cmp_gt_i32_e32 vcc, 1, v9
	s_or_b64 s[40:41], vcc, s[40:41]
	s_waitcnt lgkmcnt(0)
	flat_store_byte v[20:21], v13 glc slc
	flat_store_byte v[20:21], v22 offset:64 glc slc
	flat_store_byte v[20:21], v23 offset:128 glc slc
	;; [unrolled: 1-line block ×15, first 2 shown]
	s_andn2_b64 exec, exec, s[40:41]
	s_cbranch_execnz .LBB4_16559
; %bb.16560:                            ;   in Loop: Header=BB4_16434 Depth=3
	s_or_b64 exec, exec, s[40:41]
.LBB4_16561:                            ;   in Loop: Header=BB4_16434 Depth=3
	s_or_b64 exec, exec, s[28:29]
	v_lshlrev_b32_e32 v0, 10, v10
	buffer_load_dword v10, off, s[0:3], s33 offset:108 ; 4-byte Folded Reload
	v_cmp_ne_u32_e32 vcc, v6, v0
	s_and_b64 s[28:29], exec, vcc
	s_mov_b64 exec, s[28:29]
	s_cbranch_execz .LBB4_16565
; %bb.16562:                            ;   in Loop: Header=BB4_16434 Depth=3
	v_lshlrev_b32_e32 v1, 6, v8
	v_sub_u32_e32 v1, v7, v1
	v_lshlrev_b32_e32 v3, 6, v9
	v_sub_u32_e32 v1, v1, v3
	v_add_u32_e32 v0, v0, v1
	v_sub_u32_e32 v3, v6, v0
	v_cmp_lt_i32_e32 vcc, 0, v3
	s_and_b64 exec, exec, vcc
	s_cbranch_execz .LBB4_16565
; %bb.16563:                            ;   in Loop: Header=BB4_16434 Depth=3
	v_add_u32_e32 v4, v0, v5
	s_trap 2
	ds_read_b64 v[0:1], v0
	v_ashrrev_i32_e32 v5, 31, v4
	s_mov_b64 s[28:29], 0
.LBB4_16564:                            ;   Parent Loop BB4_47 Depth=1
                                        ;     Parent Loop BB4_16431 Depth=2
                                        ;       Parent Loop BB4_16434 Depth=3
                                        ; =>      This Inner Loop Header: Depth=4
	s_waitcnt lgkmcnt(0)
	v_add_co_u32_e32 v6, vcc, v0, v4
	v_addc_co_u32_e32 v7, vcc, v1, v5, vcc
	flat_load_ubyte v8, v[6:7] glc slc
	s_waitcnt vmcnt(0)
	v_add_co_u32_e32 v4, vcc, v4, v10
	v_sub_u32_e32 v3, v3, v10
	v_addc_co_u32_e32 v5, vcc, 0, v5, vcc
	v_cmp_gt_i32_e32 vcc, 1, v3
	s_or_b64 s[28:29], vcc, s[28:29]
	s_waitcnt lgkmcnt(0)
	flat_store_byte v[6:7], v8 glc slc
	s_andn2_b64 exec, exec, s[28:29]
	s_cbranch_execnz .LBB4_16564
.LBB4_16565:                            ;   in Loop: Header=BB4_16434 Depth=3
	s_or_b64 exec, exec, s[26:27]
	v_cmp_lt_i32_e64 s[26:27], 0, v19
	s_and_saveexec_b64 s[28:29], s[12:13]
	s_cbranch_execz .LBB4_16510
.LBB4_16566:                            ;   in Loop: Header=BB4_16434 Depth=3
	s_and_saveexec_b64 s[40:41], s[58:59]
	s_xor_b64 s[40:41], exec, s[40:41]
	s_cbranch_execz .LBB4_16581
; %bb.16567:                            ;   in Loop: Header=BB4_16434 Depth=3
	s_and_saveexec_b64 s[94:95], s[6:7]
	s_cbranch_execz .LBB4_16580
; %bb.16568:                            ;   in Loop: Header=BB4_16434 Depth=3
	s_mov_b64 s[34:35], exec
	v_mbcnt_lo_u32_b32 v0, s34, 0
	v_mbcnt_hi_u32_b32 v0, s35, v0
	v_cmp_eq_u32_e32 vcc, 0, v0
	s_waitcnt vmcnt(0) lgkmcnt(0)
	buffer_wbinvl1_vol
	s_and_saveexec_b64 s[30:31], vcc
	s_cbranch_execz .LBB4_16570
; %bb.16569:                            ;   in Loop: Header=BB4_16434 Depth=3
	s_bcnt1_i32_b64 vcc_lo, s[34:35]
	v_mov_b32_e32 v0, vcc_lo
	v_mov_b32_e32 v1, v17
	ds_add_u64 v0, v[0:1]
	s_trap 2
.LBB4_16570:                            ;   in Loop: Header=BB4_16434 Depth=3
	s_or_b64 exec, exec, s[30:31]
	s_trap 2
	ds_read_b64 v[0:1], v0
	s_waitcnt lgkmcnt(0)
	buffer_load_dword v3, off, s[0:3], s33 offset:76 ; 4-byte Folded Reload
	buffer_load_dword v4, off, s[0:3], s33 offset:80 ; 4-byte Folded Reload
	;; [unrolled: 1-line block ×3, first 2 shown]
	s_waitcnt vmcnt(0)
	v_add_co_u32_e32 v3, vcc, v3, v5
	v_addc_co_u32_e32 v4, vcc, 0, v4, vcc
	buffer_store_dword v3, off, s[0:3], s33 offset:76 ; 4-byte Folded Spill
	s_nop 0
	buffer_store_dword v4, off, s[0:3], s33 offset:80 ; 4-byte Folded Spill
	v_cmp_lt_u64_e32 vcc, v[0:1], v[3:4]
	s_and_saveexec_b64 s[30:31], vcc
	s_cbranch_execz .LBB4_16579
; %bb.16571:                            ;   in Loop: Header=BB4_16434 Depth=3
	s_mov_b32 s52, 0
	s_mov_b64 s[34:35], 0
                                        ; implicit-def: $sgpr36_sgpr37
                                        ; implicit-def: $sgpr38_sgpr39
	s_branch .LBB4_16573
.LBB4_16572:                            ;   in Loop: Header=BB4_16573 Depth=4
	s_or_b64 exec, exec, s[50:51]
	s_and_b64 vcc, exec, vcc
	s_or_b64 s[34:35], vcc, s[34:35]
	s_andn2_b64 vcc, s[36:37], exec
	s_and_b64 s[36:37], s[38:39], exec
	s_or_b64 s[36:37], vcc, s[36:37]
	s_andn2_b64 exec, exec, s[34:35]
	s_cbranch_execz .LBB4_16577
.LBB4_16573:                            ;   Parent Loop BB4_47 Depth=1
                                        ;     Parent Loop BB4_16431 Depth=2
                                        ;       Parent Loop BB4_16434 Depth=3
                                        ; =>      This Inner Loop Header: Depth=4
	s_add_i32 s52, s52, 1
	s_cmpk_lg_i32 s52, 0x2710
	s_cselect_b64 s[48:49], -1, 0
	s_and_b64 vcc, exec, s[48:49]
	s_cbranch_vccz .LBB4_16575
; %bb.16574:                            ;   in Loop: Header=BB4_16573 Depth=4
	s_mov_b64 vcc, -1
	s_or_b64 s[38:39], s[38:39], exec
	s_and_saveexec_b64 s[50:51], s[48:49]
	s_cbranch_execz .LBB4_16572
	s_branch .LBB4_16576
.LBB4_16575:                            ;   in Loop: Header=BB4_16573 Depth=4
	s_trap 2
	ds_read_b64 v[0:1], v0
	s_andn2_b64 s[48:49], s[48:49], exec
	s_mov_b32 s52, 0
	s_waitcnt vmcnt(0) lgkmcnt(0)
	flat_load_dword v0, v[0:1] glc
	s_waitcnt vmcnt(0) lgkmcnt(0)
	buffer_wbinvl1_vol
	v_cmp_eq_u32_e32 vcc, 0, v0
	s_and_b64 vcc, vcc, exec
	s_or_b64 s[48:49], s[48:49], vcc
	s_mov_b64 vcc, -1
	s_or_b64 s[38:39], s[38:39], exec
	s_and_saveexec_b64 s[50:51], s[48:49]
	s_cbranch_execz .LBB4_16572
.LBB4_16576:                            ;   in Loop: Header=BB4_16573 Depth=4
	s_sleep 1
	s_trap 2
	ds_read_b64 v[0:1], v0
	s_waitcnt lgkmcnt(0)
	buffer_load_dword v3, off, s[0:3], s33 offset:76 ; 4-byte Folded Reload
	buffer_load_dword v4, off, s[0:3], s33 offset:80 ; 4-byte Folded Reload
	s_andn2_b64 s[38:39], s[38:39], exec
	s_waitcnt vmcnt(0)
	v_cmp_ge_u64_e32 vcc, v[0:1], v[3:4]
	s_orn2_b64 vcc, vcc, exec
	s_branch .LBB4_16572
.LBB4_16577:                            ;   in Loop: Header=BB4_16434 Depth=3
	s_or_b64 exec, exec, s[34:35]
	s_and_saveexec_b64 vcc, s[36:37]
	s_xor_b64 vcc, exec, vcc
	s_cbranch_execz .LBB4_16579
; %bb.16578:                            ;   in Loop: Header=BB4_16434 Depth=3
	v_mov_b32_e32 v0, 1
	ds_write_b32 v0, v0
	s_trap 2
.LBB4_16579:                            ;   in Loop: Header=BB4_16434 Depth=3
	s_or_b64 exec, exec, s[30:31]
	;;#ASMSTART
	s_wakeup
	;;#ASMEND
.LBB4_16580:                            ;   in Loop: Header=BB4_16434 Depth=3
	s_or_b64 exec, exec, s[94:95]
.LBB4_16581:                            ;   in Loop: Header=BB4_16434 Depth=3
	s_andn2_saveexec_b64 s[40:41], s[40:41]
	s_cbranch_execz .LBB4_16583
; %bb.16582:                            ;   in Loop: Header=BB4_16434 Depth=3
	s_waitcnt vmcnt(0) lgkmcnt(0)
	buffer_wbinvl1_vol
	s_barrier
.LBB4_16583:                            ;   in Loop: Header=BB4_16434 Depth=3
	s_or_b64 exec, exec, s[40:41]
	s_or_b64 exec, exec, s[28:29]
                                        ; implicit-def: $vgpr0
	s_and_saveexec_b64 s[28:29], s[18:19]
	s_xor_b64 s[28:29], exec, s[28:29]
	s_cbranch_execnz .LBB4_16511
.LBB4_16584:                            ;   in Loop: Header=BB4_16434 Depth=3
	s_andn2_saveexec_b64 s[26:27], s[28:29]
	s_cbranch_execz .LBB4_16603
.LBB4_16585:                            ;   in Loop: Header=BB4_16434 Depth=3
	s_and_saveexec_b64 s[28:29], s[58:59]
	s_xor_b64 s[28:29], exec, s[28:29]
	s_cbranch_execz .LBB4_16600
; %bb.16586:                            ;   in Loop: Header=BB4_16434 Depth=3
	s_and_saveexec_b64 s[40:41], s[6:7]
	s_cbranch_execz .LBB4_16599
; %bb.16587:                            ;   in Loop: Header=BB4_16434 Depth=3
	s_mov_b64 s[30:31], exec
	v_mbcnt_lo_u32_b32 v0, s30, 0
	v_mbcnt_hi_u32_b32 v0, s31, v0
	v_cmp_eq_u32_e32 vcc, 0, v0
	;;#ASMSTART
	s_waitcnt lgkmcnt(0) vmcnt(0)
	;;#ASMEND
	s_and_saveexec_b64 s[94:95], vcc
	s_cbranch_execz .LBB4_16589
; %bb.16588:                            ;   in Loop: Header=BB4_16434 Depth=3
	s_bcnt1_i32_b64 vcc_lo, s[30:31]
	v_mov_b32_e32 v0, vcc_lo
	v_mov_b32_e32 v1, v17
	s_waitcnt lgkmcnt(0)
	ds_add_u64 v0, v[0:1]
	s_trap 2
.LBB4_16589:                            ;   in Loop: Header=BB4_16434 Depth=3
	s_or_b64 exec, exec, s[94:95]
	s_trap 2
	ds_read_b64 v[0:1], v0
	s_waitcnt lgkmcnt(0)
	buffer_load_dword v3, off, s[0:3], s33 offset:76 ; 4-byte Folded Reload
	buffer_load_dword v4, off, s[0:3], s33 offset:80 ; 4-byte Folded Reload
	;; [unrolled: 1-line block ×3, first 2 shown]
	s_waitcnt vmcnt(0)
	v_add_co_u32_e32 v3, vcc, v3, v5
	v_addc_co_u32_e32 v4, vcc, 0, v4, vcc
	buffer_store_dword v3, off, s[0:3], s33 offset:76 ; 4-byte Folded Spill
	s_nop 0
	buffer_store_dword v4, off, s[0:3], s33 offset:80 ; 4-byte Folded Spill
	v_cmp_lt_u64_e32 vcc, v[0:1], v[3:4]
	s_and_saveexec_b64 s[94:95], vcc
	s_cbranch_execz .LBB4_16598
; %bb.16590:                            ;   in Loop: Header=BB4_16434 Depth=3
	s_mov_b32 s50, 0
	s_mov_b64 s[30:31], 0
                                        ; implicit-def: $sgpr34_sgpr35
                                        ; implicit-def: $sgpr36_sgpr37
	s_branch .LBB4_16592
.LBB4_16591:                            ;   in Loop: Header=BB4_16592 Depth=4
	s_or_b64 exec, exec, s[48:49]
	s_and_b64 vcc, exec, vcc
	s_or_b64 s[30:31], vcc, s[30:31]
	s_andn2_b64 vcc, s[34:35], exec
	s_and_b64 s[34:35], s[36:37], exec
	s_or_b64 s[34:35], vcc, s[34:35]
	s_andn2_b64 exec, exec, s[30:31]
	s_cbranch_execz .LBB4_16596
.LBB4_16592:                            ;   Parent Loop BB4_47 Depth=1
                                        ;     Parent Loop BB4_16431 Depth=2
                                        ;       Parent Loop BB4_16434 Depth=3
                                        ; =>      This Inner Loop Header: Depth=4
	s_add_i32 s50, s50, 1
	s_cmpk_lg_i32 s50, 0x2710
	s_cselect_b64 s[38:39], -1, 0
	s_and_b64 vcc, exec, s[38:39]
	s_cbranch_vccz .LBB4_16594
; %bb.16593:                            ;   in Loop: Header=BB4_16592 Depth=4
	s_mov_b64 vcc, -1
	s_or_b64 s[36:37], s[36:37], exec
	s_and_saveexec_b64 s[48:49], s[38:39]
	s_cbranch_execz .LBB4_16591
	s_branch .LBB4_16595
.LBB4_16594:                            ;   in Loop: Header=BB4_16592 Depth=4
	s_trap 2
	ds_read_b64 v[0:1], v0
	s_andn2_b64 s[38:39], s[38:39], exec
	s_mov_b32 s50, 0
	s_waitcnt vmcnt(0) lgkmcnt(0)
	flat_load_dword v0, v[0:1] glc
	s_waitcnt vmcnt(0) lgkmcnt(0)
	buffer_wbinvl1_vol
	v_cmp_eq_u32_e32 vcc, 0, v0
	s_and_b64 vcc, vcc, exec
	s_or_b64 s[38:39], s[38:39], vcc
	s_mov_b64 vcc, -1
	s_or_b64 s[36:37], s[36:37], exec
	s_and_saveexec_b64 s[48:49], s[38:39]
	s_cbranch_execz .LBB4_16591
.LBB4_16595:                            ;   in Loop: Header=BB4_16592 Depth=4
	s_sleep 1
	s_trap 2
	ds_read_b64 v[0:1], v0
	s_waitcnt lgkmcnt(0)
	buffer_load_dword v3, off, s[0:3], s33 offset:76 ; 4-byte Folded Reload
	buffer_load_dword v4, off, s[0:3], s33 offset:80 ; 4-byte Folded Reload
	s_andn2_b64 s[36:37], s[36:37], exec
	s_waitcnt vmcnt(0)
	v_cmp_ge_u64_e32 vcc, v[0:1], v[3:4]
	s_orn2_b64 vcc, vcc, exec
	s_branch .LBB4_16591
.LBB4_16596:                            ;   in Loop: Header=BB4_16434 Depth=3
	s_or_b64 exec, exec, s[30:31]
	s_and_saveexec_b64 vcc, s[34:35]
	s_xor_b64 vcc, exec, vcc
	s_cbranch_execz .LBB4_16598
; %bb.16597:                            ;   in Loop: Header=BB4_16434 Depth=3
	v_mov_b32_e32 v0, 1
	ds_write_b32 v0, v0
	s_trap 2
.LBB4_16598:                            ;   in Loop: Header=BB4_16434 Depth=3
	s_or_b64 exec, exec, s[94:95]
	;;#ASMSTART
	s_wakeup
	;;#ASMEND
.LBB4_16599:                            ;   in Loop: Header=BB4_16434 Depth=3
	s_or_b64 exec, exec, s[40:41]
.LBB4_16600:                            ;   in Loop: Header=BB4_16434 Depth=3
	s_andn2_saveexec_b64 s[28:29], s[28:29]
	s_cbranch_execz .LBB4_16602
; %bb.16601:                            ;   in Loop: Header=BB4_16434 Depth=3
	;;#ASMSTART
	s_waitcnt lgkmcnt(0) vmcnt(0)
	;;#ASMEND
	s_waitcnt vmcnt(0) lgkmcnt(0)
	s_barrier
.LBB4_16602:                            ;   in Loop: Header=BB4_16434 Depth=3
	s_or_b64 exec, exec, s[28:29]
	buffer_load_dword v0, off, s[0:3], s33 offset:72 ; 4-byte Folded Reload
	s_waitcnt vmcnt(0)
	v_and_b32_e32 v0, 16, v0
.LBB4_16603:                            ;   in Loop: Header=BB4_16434 Depth=3
	s_or_b64 exec, exec, s[26:27]
	v_cmp_ne_u32_e32 vcc, 0, v0
	s_xor_b64 s[26:27], s[20:21], -1
	s_and_b64 s[28:29], vcc, s[26:27]
	s_and_saveexec_b64 s[26:27], s[28:29]
	s_cbranch_execz .LBB4_16605
; %bb.16604:                            ;   in Loop: Header=BB4_16434 Depth=3
	buffer_load_dword v0, off, s[0:3], s33 offset:140 ; 4-byte Folded Reload
	buffer_load_dword v1, off, s[0:3], s33 offset:144 ; 4-byte Folded Reload
	v_mov_b32_e32 v3, 1
	s_waitcnt vmcnt(0)
	flat_store_dword v[0:1], v3
.LBB4_16605:                            ;   in Loop: Header=BB4_16434 Depth=3
	s_or_b64 exec, exec, s[26:27]
	buffer_load_dword v0, off, s[0:3], s33 offset:72 ; 4-byte Folded Reload
	s_waitcnt vmcnt(0)
	v_and_b32_e32 v0, 48, v0
	v_cmp_ne_u32_e32 vcc, 0, v0
	s_and_saveexec_b64 s[26:27], vcc
	s_cbranch_execz .LBB4_16433
; %bb.16606:                            ;   in Loop: Header=BB4_16434 Depth=3
	buffer_load_dword v3, off, s[0:3], s33 offset:84 ; 4-byte Folded Reload
	buffer_load_dword v4, off, s[0:3], s33 offset:88 ; 4-byte Folded Reload
	;; [unrolled: 1-line block ×4, first 2 shown]
	s_waitcnt vmcnt(0)
	v_add_co_u32_e32 v3, vcc, 2, v3
	v_addc_co_u32_e32 v4, vcc, 0, v4, vcc
	buffer_store_dword v3, off, s[0:3], s33 offset:84 ; 4-byte Folded Spill
	s_nop 0
	buffer_store_dword v4, off, s[0:3], s33 offset:88 ; 4-byte Folded Spill
	flat_store_dwordx2 v[0:1], v[3:4]
	s_branch .LBB4_16433
.LBB4_16607:                            ;   in Loop: Header=BB4_16431 Depth=2
	s_or_b64 exec, exec, s[42:43]
	v_cmp_gt_i32_e32 vcc, 2, v3
	s_and_saveexec_b64 s[28:29], vcc
	s_cbranch_execz .LBB4_16683
.LBB4_16608:                            ;   in Loop: Header=BB4_16431 Depth=2
	v_cmp_eq_u32_e64 s[42:43], 0, v3
	s_mov_b64 s[40:41], 0
	s_branch .LBB4_16610
.LBB4_16609:                            ;   in Loop: Header=BB4_16610 Depth=3
	s_or_b64 exec, exec, s[26:27]
	v_add_u32_e32 v15, v2, v15
	s_mov_b64 s[42:43], 0
	s_andn2_b64 exec, exec, s[40:41]
	s_cbranch_execz .LBB4_16684
.LBB4_16610:                            ;   Parent Loop BB4_47 Depth=1
                                        ;     Parent Loop BB4_16431 Depth=2
                                        ; =>    This Loop Header: Depth=3
                                        ;         Child Loop BB4_16616 Depth 4
                                        ;         Child Loop BB4_16644 Depth 4
	;; [unrolled: 1-line block ×3, first 2 shown]
	v_sub_u32_e32 v0, v14, v15
	v_min_i32_e32 v2, v2, v0
	buffer_load_dword v0, off, s[0:3], s33 offset:72 ; 4-byte Folded Reload
	s_waitcnt vmcnt(0)
	v_and_b32_e32 v0, 12, v0
	v_cmp_ne_u32_e32 vcc, 0, v0
	s_and_saveexec_b64 s[90:91], vcc
	s_cbranch_execz .LBB4_16636
; %bb.16611:                            ;   in Loop: Header=BB4_16610 Depth=3
	buffer_load_dword v0, off, s[0:3], s33 offset:72 ; 4-byte Folded Reload
	s_waitcnt vmcnt(0)
	v_and_b32_e32 v10, 8, v0
	buffer_load_dword v0, off, s[0:3], s33 offset:56 ; 4-byte Folded Reload
	buffer_load_dword v1, off, s[0:3], s33 offset:60 ; 4-byte Folded Reload
	s_waitcnt vmcnt(0)
	v_add_co_u32_e32 v3, vcc, v0, v10
	v_addc_co_u32_e32 v4, vcc, 0, v1, vcc
	buffer_load_dword v0, off, s[0:3], s33 offset:84 ; 4-byte Folded Reload
	buffer_load_dword v1, off, s[0:3], s33 offset:88 ; 4-byte Folded Reload
	s_waitcnt vmcnt(0)
	v_add_co_u32_e32 v0, vcc, 2, v0
	v_addc_co_u32_e32 v1, vcc, 0, v1, vcc
	v_cmp_lt_u64_e32 vcc, v[3:4], v[0:1]
	s_and_saveexec_b64 s[92:93], vcc
	s_cbranch_execz .LBB4_16623
; %bb.16612:                            ;   in Loop: Header=BB4_16610 Depth=3
	buffer_load_dword v3, off, s[0:3], s33 offset:72 ; 4-byte Folded Reload
	s_mov_b32 s64, 0
	s_mov_b64 s[94:95], 0
                                        ; implicit-def: $sgpr30_sgpr31
                                        ; implicit-def: $sgpr34_sgpr35
                                        ; implicit-def: $sgpr36_sgpr37
	s_waitcnt vmcnt(0)
	v_and_b32_e32 v3, 64, v3
	v_cmp_eq_u32_e32 vcc, 0, v3
	s_branch .LBB4_16616
.LBB4_16613:                            ;   in Loop: Header=BB4_16616 Depth=4
	buffer_load_dword v4, off, s[0:3], s33 offset:56 ; 4-byte Folded Reload
	buffer_load_dword v5, off, s[0:3], s33 offset:60 ; 4-byte Folded Reload
	s_or_b64 s[50:51], s[50:51], exec
	s_waitcnt vmcnt(1)
	v_add_co_u32_e64 v4, s[26:27], v4, v10
	s_waitcnt vmcnt(0)
	v_addc_co_u32_e64 v5, s[26:27], 0, v5, s[26:27]
	v_cmp_ge_u64_e64 s[26:27], v[4:5], v[0:1]
	s_orn2_b64 s[48:49], s[26:27], exec
.LBB4_16614:                            ;   in Loop: Header=BB4_16616 Depth=4
	s_or_b64 exec, exec, s[54:55]
	s_andn2_b64 s[26:27], s[36:37], exec
	s_and_b64 s[36:37], s[50:51], exec
	s_or_b64 s[36:37], s[26:27], s[36:37]
	s_andn2_b64 s[26:27], s[34:35], exec
	s_and_b64 s[34:35], s[48:49], exec
	s_or_b64 s[34:35], s[26:27], s[34:35]
.LBB4_16615:                            ;   in Loop: Header=BB4_16616 Depth=4
	s_or_b64 exec, exec, s[38:39]
	s_and_b64 s[26:27], exec, s[34:35]
	s_or_b64 s[94:95], s[26:27], s[94:95]
	s_andn2_b64 s[26:27], s[30:31], exec
	s_and_b64 s[30:31], s[36:37], exec
	s_or_b64 s[30:31], s[26:27], s[30:31]
	s_andn2_b64 exec, exec, s[94:95]
	s_cbranch_execz .LBB4_16620
.LBB4_16616:                            ;   Parent Loop BB4_47 Depth=1
                                        ;     Parent Loop BB4_16431 Depth=2
                                        ;       Parent Loop BB4_16610 Depth=3
                                        ; =>      This Inner Loop Header: Depth=4
	s_sleep 1
	buffer_load_dword v3, off, s[0:3], s33 offset:64 ; 4-byte Folded Reload
	buffer_load_dword v4, off, s[0:3], s33 offset:68 ; 4-byte Folded Reload
	s_or_b64 s[36:37], s[36:37], exec
	s_or_b64 s[34:35], s[34:35], exec
	s_waitcnt vmcnt(0)
	flat_load_dwordx2 v[3:4], v[3:4] glc
	s_waitcnt vmcnt(0) lgkmcnt(0)
	buffer_store_dword v3, off, s[0:3], s33 offset:56 ; 4-byte Folded Spill
	s_nop 0
	buffer_store_dword v4, off, s[0:3], s33 offset:60 ; 4-byte Folded Spill
                                        ; implicit-def: $vgpr3
	s_and_saveexec_b64 s[38:39], vcc
	s_cbranch_execz .LBB4_16615
; %bb.16617:                            ;   in Loop: Header=BB4_16616 Depth=4
	s_cmpk_lt_i32 s64, 0x270f
	s_cselect_b64 s[52:53], -1, 0
	s_cmpk_gt_i32 s64, 0x270e
	s_mov_b64 s[48:49], -1
	s_cbranch_scc0 .LBB4_16619
; %bb.16618:                            ;   in Loop: Header=BB4_16616 Depth=4
	s_trap 2
	ds_read_b64 v[3:4], v0
	s_andn2_b64 s[52:53], s[52:53], exec
	s_mov_b32 s64, 0
	s_mov_b64 s[50:51], 0
	s_waitcnt vmcnt(0) lgkmcnt(0)
	flat_load_dword v3, v[3:4] glc
	s_waitcnt vmcnt(0) lgkmcnt(0)
	buffer_wbinvl1_vol
	v_cmp_eq_u32_e64 s[26:27], 0, v3
	s_and_b64 s[26:27], s[26:27], exec
	s_or_b64 s[52:53], s[52:53], s[26:27]
	s_and_saveexec_b64 s[54:55], s[52:53]
	s_cbranch_execz .LBB4_16614
	s_branch .LBB4_16613
.LBB4_16619:                            ;   in Loop: Header=BB4_16616 Depth=4
	s_add_i32 s64, s64, 1
	s_mov_b64 s[50:51], -1
                                        ; implicit-def: $vgpr3
	s_and_saveexec_b64 s[54:55], s[52:53]
	s_cbranch_execz .LBB4_16614
	s_branch .LBB4_16613
.LBB4_16620:                            ;   in Loop: Header=BB4_16610 Depth=3
	s_or_b64 exec, exec, s[94:95]
	s_xor_b64 s[26:27], s[30:31], -1
	s_and_saveexec_b64 s[94:95], s[26:27]
	s_xor_b64 s[26:27], exec, s[94:95]
	s_cbranch_execz .LBB4_16622
; %bb.16621:                            ;   in Loop: Header=BB4_16610 Depth=3
	ds_write_b32 v0, v3
	s_trap 2
	buffer_load_dword v3, off, s[0:3], s33 offset:72 ; 4-byte Folded Reload
	s_waitcnt vmcnt(0)
	v_or_b32_e32 v3, 64, v3
	buffer_store_dword v3, off, s[0:3], s33 offset:72 ; 4-byte Folded Spill
.LBB4_16622:                            ;   in Loop: Header=BB4_16610 Depth=3
	s_or_b64 exec, exec, s[26:27]
.LBB4_16623:                            ;   in Loop: Header=BB4_16610 Depth=3
	s_or_b64 exec, exec, s[92:93]
	;;#ASMSTART
	s_wakeup
	;;#ASMEND
	buffer_load_dword v3, off, s[0:3], s33 offset:72 ; 4-byte Folded Reload
                                        ; implicit-def: $vgpr4_vgpr5
	s_waitcnt vmcnt(0)
	v_and_b32_e32 v3, 0x108, v3
	v_cmp_ne_u32_e32 vcc, s9, v3
	s_and_saveexec_b64 s[26:27], vcc
	s_xor_b64 s[26:27], exec, s[26:27]
	s_cbranch_execz .LBB4_16625
; %bb.16624:                            ;   in Loop: Header=BB4_16610 Depth=3
	buffer_load_dword v3, off, s[0:3], s33 offset:84 ; 4-byte Folded Reload
	buffer_load_dword v4, off, s[0:3], s33 offset:88 ; 4-byte Folded Reload
	v_mov_b32_e32 v5, v17
                                        ; implicit-def: $vgpr6_vgpr7
                                        ; kill: killed $vgpr6_vgpr7
	s_waitcnt vmcnt(0)
	v_and_b32_e32 v4, 7, v3
.LBB4_16625:                            ;   in Loop: Header=BB4_16610 Depth=3
	s_andn2_saveexec_b64 s[26:27], s[26:27]
	s_cbranch_execz .LBB4_16627
; %bb.16626:                            ;   in Loop: Header=BB4_16610 Depth=3
	buffer_load_dword v3, off, s[0:3], s33 offset:84 ; 4-byte Folded Reload
	buffer_load_dword v4, off, s[0:3], s33 offset:88 ; 4-byte Folded Reload
	;; [unrolled: 1-line block ×6, first 2 shown]
	s_waitcnt vmcnt(0)
	v_and_b32_e32 v4, 7, v3
	v_mad_u64_u32 v[6:7], s[92:93], v4, 24, v[5:6]
	v_mov_b32_e32 v5, v17
	v_ashrrev_i32_e32 v3, 31, v2
	flat_store_dwordx2 v[6:7], v[2:3] offset:8
.LBB4_16627:                            ;   in Loop: Header=BB4_16610 Depth=3
	s_or_b64 exec, exec, s[26:27]
	buffer_load_dword v3, off, s[0:3], s33 offset:72 ; 4-byte Folded Reload
	s_mov_b64 s[26:27], -1
                                        ; implicit-def: $vgpr6_vgpr7
	s_waitcnt vmcnt(0)
	v_and_b32_e32 v3, 0x100, v3
	v_cmp_ne_u32_e32 vcc, 0, v3
	s_and_saveexec_b64 s[92:93], vcc
	s_cbranch_execz .LBB4_16631
; %bb.16628:                            ;   in Loop: Header=BB4_16610 Depth=3
	buffer_load_dword v6, off, s[0:3], s33 offset:124 ; 4-byte Folded Reload
	buffer_load_dword v7, off, s[0:3], s33 offset:128 ; 4-byte Folded Reload
	;; [unrolled: 1-line block ×4, first 2 shown]
	s_waitcnt vmcnt(0)
	v_mad_u64_u32 v[8:9], s[26:27], v4, 24, v[6:7]
	v_mov_b32_e32 v3, v9
	v_mad_u64_u32 v[6:7], s[26:27], v5, 24, v[3:4]
	v_mov_b32_e32 v9, v6
	flat_load_dword v3, v[8:9]
                                        ; implicit-def: $vgpr6_vgpr7
	s_waitcnt vmcnt(0) lgkmcnt(0)
	v_cmp_ne_u32_e32 vcc, 1, v3
	v_cmp_eq_u32_e64 s[26:27], 1, v3
	s_and_saveexec_b64 s[94:95], s[26:27]
	s_cbranch_execz .LBB4_16630
; %bb.16629:                            ;   in Loop: Header=BB4_16610 Depth=3
	flat_load_dword v6, v[8:9] offset:4 glc
	s_waitcnt vmcnt(0) lgkmcnt(0)
	v_ashrrev_i32_e32 v7, 31, v6
.LBB4_16630:                            ;   in Loop: Header=BB4_16610 Depth=3
	s_or_b64 exec, exec, s[94:95]
	s_orn2_b64 s[26:27], vcc, exec
.LBB4_16631:                            ;   in Loop: Header=BB4_16610 Depth=3
	s_or_b64 exec, exec, s[92:93]
	s_and_saveexec_b64 s[92:93], s[26:27]
	s_cbranch_execz .LBB4_16633
; %bb.16632:                            ;   in Loop: Header=BB4_16610 Depth=3
	buffer_load_dword v6, off, s[0:3], s33 offset:152 ; 4-byte Folded Reload
	s_waitcnt vmcnt(0)
	v_mul_lo_u32 v3, v5, v6
	buffer_load_dword v5, off, s[0:3], s33 offset:172 ; 4-byte Folded Reload
	v_mad_u64_u32 v[6:7], s[26:27], v4, v6, 0
	s_waitcnt vmcnt(0)
	v_mul_lo_u32 v5, v4, v5
	v_add3_u32 v7, v7, v5, v3
.LBB4_16633:                            ;   in Loop: Header=BB4_16610 Depth=3
	s_or_b64 exec, exec, s[92:93]
	v_cmp_eq_u32_e32 vcc, 0, v10
	v_mov_b32_e32 v3, 0xd0
	v_mov_b32_e32 v4, 0x88
	v_cndmask_b32_e32 v5, v3, v4, vcc
	buffer_load_dword v3, off, s[0:3], s33 offset:116 ; 4-byte Folded Reload
	buffer_load_dword v4, off, s[0:3], s33 offset:120 ; 4-byte Folded Reload
	v_add_u32_e32 v5, v0, v5
	s_waitcnt vmcnt(0)
	v_add_co_u32_e32 v3, vcc, v3, v6
	v_addc_co_u32_e32 v4, vcc, v4, v7, vcc
	ds_write_b64 v5, v[3:4] offset:584
	buffer_load_dword v3, off, s[0:3], s33 offset:72 ; 4-byte Folded Reload
	s_waitcnt vmcnt(0)
	v_and_b32_e32 v3, 0x2000, v3
	v_cmp_ne_u32_e32 vcc, 0, v3
	s_and_saveexec_b64 s[26:27], vcc
	s_cbranch_execz .LBB4_16635
; %bb.16634:                            ;   in Loop: Header=BB4_16610 Depth=3
	ds_read_b64 v[3:4], v0 offset:872
	s_waitcnt lgkmcnt(0)
	v_add_co_u32_e32 v3, vcc, 1, v3
	v_addc_co_u32_e32 v4, vcc, 0, v4, vcc
	ds_write_b64 v0, v[3:4] offset:872
.LBB4_16635:                            ;   in Loop: Header=BB4_16610 Depth=3
	s_or_b64 exec, exec, s[26:27]
	buffer_store_dword v0, off, s[0:3], s33 offset:84 ; 4-byte Folded Spill
	s_nop 0
	buffer_store_dword v1, off, s[0:3], s33 offset:88 ; 4-byte Folded Spill
.LBB4_16636:                            ;   in Loop: Header=BB4_16610 Depth=3
	s_or_b64 exec, exec, s[90:91]
	s_xor_b64 s[26:27], s[42:43], -1
	s_and_b64 s[26:27], exec, s[26:27]
	s_or_b64 s[40:41], s[26:27], s[40:41]
	s_and_saveexec_b64 s[26:27], s[12:13]
	s_cbranch_execz .LBB4_16655
; %bb.16637:                            ;   in Loop: Header=BB4_16610 Depth=3
	s_and_saveexec_b64 s[42:43], s[58:59]
	s_xor_b64 s[42:43], exec, s[42:43]
	s_cbranch_execz .LBB4_16652
; %bb.16638:                            ;   in Loop: Header=BB4_16610 Depth=3
	s_and_saveexec_b64 s[90:91], s[6:7]
	s_cbranch_execz .LBB4_16651
; %bb.16639:                            ;   in Loop: Header=BB4_16610 Depth=3
	s_mov_b64 s[94:95], exec
	v_mbcnt_lo_u32_b32 v0, s94, 0
	v_mbcnt_hi_u32_b32 v0, s95, v0
	v_cmp_eq_u32_e32 vcc, 0, v0
	s_waitcnt vmcnt(0) lgkmcnt(0)
	buffer_wbinvl1_vol
	s_and_saveexec_b64 s[92:93], vcc
	s_cbranch_execz .LBB4_16641
; %bb.16640:                            ;   in Loop: Header=BB4_16610 Depth=3
	s_bcnt1_i32_b64 s94, s[94:95]
	v_mov_b32_e32 v0, s94
	v_mov_b32_e32 v1, v17
	ds_add_u64 v0, v[0:1]
	s_trap 2
.LBB4_16641:                            ;   in Loop: Header=BB4_16610 Depth=3
	s_or_b64 exec, exec, s[92:93]
	s_trap 2
	ds_read_b64 v[0:1], v0
	s_waitcnt lgkmcnt(0)
	buffer_load_dword v3, off, s[0:3], s33 offset:76 ; 4-byte Folded Reload
	buffer_load_dword v4, off, s[0:3], s33 offset:80 ; 4-byte Folded Reload
	;; [unrolled: 1-line block ×3, first 2 shown]
	s_waitcnt vmcnt(0)
	v_add_co_u32_e32 v3, vcc, v3, v5
	v_addc_co_u32_e32 v4, vcc, 0, v4, vcc
	buffer_store_dword v3, off, s[0:3], s33 offset:76 ; 4-byte Folded Spill
	s_nop 0
	buffer_store_dword v4, off, s[0:3], s33 offset:80 ; 4-byte Folded Spill
	v_cmp_lt_u64_e32 vcc, v[0:1], v[3:4]
	s_and_saveexec_b64 s[92:93], vcc
	s_cbranch_execz .LBB4_16650
; %bb.16642:                            ;   in Loop: Header=BB4_16610 Depth=3
	s_mov_b32 s48, 0
	s_mov_b64 s[94:95], 0
                                        ; implicit-def: $sgpr30_sgpr31
                                        ; implicit-def: $sgpr34_sgpr35
	s_branch .LBB4_16644
.LBB4_16643:                            ;   in Loop: Header=BB4_16644 Depth=4
	s_or_b64 exec, exec, s[38:39]
	s_and_b64 vcc, exec, vcc
	s_or_b64 s[94:95], vcc, s[94:95]
	s_andn2_b64 vcc, s[30:31], exec
	s_and_b64 s[30:31], s[34:35], exec
	s_or_b64 s[30:31], vcc, s[30:31]
	s_andn2_b64 exec, exec, s[94:95]
	s_cbranch_execz .LBB4_16648
.LBB4_16644:                            ;   Parent Loop BB4_47 Depth=1
                                        ;     Parent Loop BB4_16431 Depth=2
                                        ;       Parent Loop BB4_16610 Depth=3
                                        ; =>      This Inner Loop Header: Depth=4
	s_add_i32 s48, s48, 1
	s_cmpk_lg_i32 s48, 0x2710
	s_cselect_b64 s[36:37], -1, 0
	s_and_b64 vcc, exec, s[36:37]
	s_cbranch_vccz .LBB4_16646
; %bb.16645:                            ;   in Loop: Header=BB4_16644 Depth=4
	s_mov_b64 vcc, -1
	s_or_b64 s[34:35], s[34:35], exec
	s_and_saveexec_b64 s[38:39], s[36:37]
	s_cbranch_execz .LBB4_16643
	s_branch .LBB4_16647
.LBB4_16646:                            ;   in Loop: Header=BB4_16644 Depth=4
	s_trap 2
	ds_read_b64 v[0:1], v0
	s_andn2_b64 s[36:37], s[36:37], exec
	s_mov_b32 s48, 0
	s_waitcnt vmcnt(0) lgkmcnt(0)
	flat_load_dword v0, v[0:1] glc
	s_waitcnt vmcnt(0) lgkmcnt(0)
	buffer_wbinvl1_vol
	v_cmp_eq_u32_e32 vcc, 0, v0
	s_and_b64 vcc, vcc, exec
	s_or_b64 s[36:37], s[36:37], vcc
	s_mov_b64 vcc, -1
	s_or_b64 s[34:35], s[34:35], exec
	s_and_saveexec_b64 s[38:39], s[36:37]
	s_cbranch_execz .LBB4_16643
.LBB4_16647:                            ;   in Loop: Header=BB4_16644 Depth=4
	s_sleep 1
	s_trap 2
	ds_read_b64 v[0:1], v0
	s_waitcnt lgkmcnt(0)
	buffer_load_dword v3, off, s[0:3], s33 offset:76 ; 4-byte Folded Reload
	buffer_load_dword v4, off, s[0:3], s33 offset:80 ; 4-byte Folded Reload
	s_andn2_b64 s[34:35], s[34:35], exec
	s_waitcnt vmcnt(0)
	v_cmp_ge_u64_e32 vcc, v[0:1], v[3:4]
	s_orn2_b64 vcc, vcc, exec
	s_branch .LBB4_16643
.LBB4_16648:                            ;   in Loop: Header=BB4_16610 Depth=3
	s_or_b64 exec, exec, s[94:95]
	s_and_saveexec_b64 s[94:95], s[30:31]
	s_xor_b64 s[94:95], exec, s[94:95]
	s_cbranch_execz .LBB4_16650
; %bb.16649:                            ;   in Loop: Header=BB4_16610 Depth=3
	v_mov_b32_e32 v0, 1
	ds_write_b32 v0, v0
	s_trap 2
.LBB4_16650:                            ;   in Loop: Header=BB4_16610 Depth=3
	s_or_b64 exec, exec, s[92:93]
	;;#ASMSTART
	s_wakeup
	;;#ASMEND
.LBB4_16651:                            ;   in Loop: Header=BB4_16610 Depth=3
	s_or_b64 exec, exec, s[90:91]
.LBB4_16652:                            ;   in Loop: Header=BB4_16610 Depth=3
	s_andn2_saveexec_b64 s[42:43], s[42:43]
	s_cbranch_execz .LBB4_16654
; %bb.16653:                            ;   in Loop: Header=BB4_16610 Depth=3
	s_waitcnt vmcnt(0) lgkmcnt(0)
	buffer_wbinvl1_vol
	s_barrier
.LBB4_16654:                            ;   in Loop: Header=BB4_16610 Depth=3
	s_or_b64 exec, exec, s[42:43]
.LBB4_16655:                            ;   in Loop: Header=BB4_16610 Depth=3
	s_or_b64 exec, exec, s[26:27]
                                        ; implicit-def: $vgpr0
	s_and_saveexec_b64 s[26:27], s[18:19]
	s_xor_b64 s[26:27], exec, s[26:27]
	s_cbranch_execz .LBB4_16659
; %bb.16656:                            ;   in Loop: Header=BB4_16610 Depth=3
	s_trap 2
	buffer_load_dword v1, off, s[0:3], s33 offset:72 ; 4-byte Folded Reload
	ds_read_b32 v0, v0
	v_cmp_lt_i32_e32 vcc, 0, v2
	s_waitcnt lgkmcnt(0)
	v_readfirstlane_b32 s42, v0
	s_cmp_eq_u32 s42, 0
	s_cselect_b64 s[42:43], -1, 0
	s_and_b64 s[42:43], vcc, s[42:43]
	s_waitcnt vmcnt(0)
	v_and_b32_e32 v0, 16, v1
	v_and_b32_e32 v1, 16, v1
	v_cmp_ne_u32_e32 vcc, 0, v1
	s_and_b64 s[90:91], vcc, s[42:43]
	s_and_saveexec_b64 s[42:43], s[90:91]
	s_cbranch_execz .LBB4_16658
; %bb.16657:                            ;   in Loop: Header=BB4_16610 Depth=3
	v_mov_b32_e32 v0, 1
	buffer_wbinvl1_vol
.LBB4_16658:                            ;   in Loop: Header=BB4_16610 Depth=3
	s_or_b64 exec, exec, s[42:43]
	s_andn2_saveexec_b64 s[26:27], s[26:27]
	s_cbranch_execz .LBB4_16678
	s_branch .LBB4_16660
.LBB4_16659:                            ;   in Loop: Header=BB4_16610 Depth=3
	s_andn2_saveexec_b64 s[26:27], s[26:27]
	s_cbranch_execz .LBB4_16678
.LBB4_16660:                            ;   in Loop: Header=BB4_16610 Depth=3
	s_and_saveexec_b64 s[42:43], s[58:59]
	s_xor_b64 s[42:43], exec, s[42:43]
	s_cbranch_execz .LBB4_16675
; %bb.16661:                            ;   in Loop: Header=BB4_16610 Depth=3
	s_and_saveexec_b64 s[90:91], s[6:7]
	s_cbranch_execz .LBB4_16674
; %bb.16662:                            ;   in Loop: Header=BB4_16610 Depth=3
	s_mov_b64 s[94:95], exec
	v_mbcnt_lo_u32_b32 v0, s94, 0
	v_mbcnt_hi_u32_b32 v0, s95, v0
	v_cmp_eq_u32_e32 vcc, 0, v0
	;;#ASMSTART
	s_waitcnt lgkmcnt(0) vmcnt(0)
	;;#ASMEND
	s_and_saveexec_b64 s[92:93], vcc
	s_cbranch_execz .LBB4_16664
; %bb.16663:                            ;   in Loop: Header=BB4_16610 Depth=3
	s_bcnt1_i32_b64 s94, s[94:95]
	v_mov_b32_e32 v0, s94
	v_mov_b32_e32 v1, v17
	s_waitcnt lgkmcnt(0)
	ds_add_u64 v0, v[0:1]
	s_trap 2
.LBB4_16664:                            ;   in Loop: Header=BB4_16610 Depth=3
	s_or_b64 exec, exec, s[92:93]
	s_trap 2
	ds_read_b64 v[0:1], v0
	s_waitcnt lgkmcnt(0)
	buffer_load_dword v3, off, s[0:3], s33 offset:76 ; 4-byte Folded Reload
	buffer_load_dword v4, off, s[0:3], s33 offset:80 ; 4-byte Folded Reload
	;; [unrolled: 1-line block ×3, first 2 shown]
	s_waitcnt vmcnt(0)
	v_add_co_u32_e32 v3, vcc, v3, v5
	v_addc_co_u32_e32 v4, vcc, 0, v4, vcc
	buffer_store_dword v3, off, s[0:3], s33 offset:76 ; 4-byte Folded Spill
	s_nop 0
	buffer_store_dword v4, off, s[0:3], s33 offset:80 ; 4-byte Folded Spill
	v_cmp_lt_u64_e32 vcc, v[0:1], v[3:4]
	s_and_saveexec_b64 s[92:93], vcc
	s_cbranch_execz .LBB4_16673
; %bb.16665:                            ;   in Loop: Header=BB4_16610 Depth=3
	s_mov_b32 s48, 0
	s_mov_b64 s[94:95], 0
                                        ; implicit-def: $sgpr30_sgpr31
                                        ; implicit-def: $sgpr34_sgpr35
	s_branch .LBB4_16667
.LBB4_16666:                            ;   in Loop: Header=BB4_16667 Depth=4
	s_or_b64 exec, exec, s[38:39]
	s_and_b64 vcc, exec, vcc
	s_or_b64 s[94:95], vcc, s[94:95]
	s_andn2_b64 vcc, s[30:31], exec
	s_and_b64 s[30:31], s[34:35], exec
	s_or_b64 s[30:31], vcc, s[30:31]
	s_andn2_b64 exec, exec, s[94:95]
	s_cbranch_execz .LBB4_16671
.LBB4_16667:                            ;   Parent Loop BB4_47 Depth=1
                                        ;     Parent Loop BB4_16431 Depth=2
                                        ;       Parent Loop BB4_16610 Depth=3
                                        ; =>      This Inner Loop Header: Depth=4
	s_add_i32 s48, s48, 1
	s_cmpk_lg_i32 s48, 0x2710
	s_cselect_b64 s[36:37], -1, 0
	s_and_b64 vcc, exec, s[36:37]
	s_cbranch_vccz .LBB4_16669
; %bb.16668:                            ;   in Loop: Header=BB4_16667 Depth=4
	s_mov_b64 vcc, -1
	s_or_b64 s[34:35], s[34:35], exec
	s_and_saveexec_b64 s[38:39], s[36:37]
	s_cbranch_execz .LBB4_16666
	s_branch .LBB4_16670
.LBB4_16669:                            ;   in Loop: Header=BB4_16667 Depth=4
	s_trap 2
	ds_read_b64 v[0:1], v0
	s_andn2_b64 s[36:37], s[36:37], exec
	s_mov_b32 s48, 0
	s_waitcnt vmcnt(0) lgkmcnt(0)
	flat_load_dword v0, v[0:1] glc
	s_waitcnt vmcnt(0) lgkmcnt(0)
	buffer_wbinvl1_vol
	v_cmp_eq_u32_e32 vcc, 0, v0
	s_and_b64 vcc, vcc, exec
	s_or_b64 s[36:37], s[36:37], vcc
	s_mov_b64 vcc, -1
	s_or_b64 s[34:35], s[34:35], exec
	s_and_saveexec_b64 s[38:39], s[36:37]
	s_cbranch_execz .LBB4_16666
.LBB4_16670:                            ;   in Loop: Header=BB4_16667 Depth=4
	s_sleep 1
	s_trap 2
	ds_read_b64 v[0:1], v0
	s_waitcnt lgkmcnt(0)
	buffer_load_dword v3, off, s[0:3], s33 offset:76 ; 4-byte Folded Reload
	buffer_load_dword v4, off, s[0:3], s33 offset:80 ; 4-byte Folded Reload
	s_andn2_b64 s[34:35], s[34:35], exec
	s_waitcnt vmcnt(0)
	v_cmp_ge_u64_e32 vcc, v[0:1], v[3:4]
	s_orn2_b64 vcc, vcc, exec
	s_branch .LBB4_16666
.LBB4_16671:                            ;   in Loop: Header=BB4_16610 Depth=3
	s_or_b64 exec, exec, s[94:95]
	s_and_saveexec_b64 s[94:95], s[30:31]
	s_xor_b64 s[94:95], exec, s[94:95]
	s_cbranch_execz .LBB4_16673
; %bb.16672:                            ;   in Loop: Header=BB4_16610 Depth=3
	v_mov_b32_e32 v0, 1
	ds_write_b32 v0, v0
	s_trap 2
.LBB4_16673:                            ;   in Loop: Header=BB4_16610 Depth=3
	s_or_b64 exec, exec, s[92:93]
	;;#ASMSTART
	s_wakeup
	;;#ASMEND
.LBB4_16674:                            ;   in Loop: Header=BB4_16610 Depth=3
	s_or_b64 exec, exec, s[90:91]
.LBB4_16675:                            ;   in Loop: Header=BB4_16610 Depth=3
	s_andn2_saveexec_b64 s[42:43], s[42:43]
	s_cbranch_execz .LBB4_16677
; %bb.16676:                            ;   in Loop: Header=BB4_16610 Depth=3
	;;#ASMSTART
	s_waitcnt lgkmcnt(0) vmcnt(0)
	;;#ASMEND
	s_waitcnt vmcnt(0) lgkmcnt(0)
	s_barrier
.LBB4_16677:                            ;   in Loop: Header=BB4_16610 Depth=3
	s_or_b64 exec, exec, s[42:43]
	buffer_load_dword v0, off, s[0:3], s33 offset:72 ; 4-byte Folded Reload
	s_waitcnt vmcnt(0)
	v_and_b32_e32 v0, 16, v0
.LBB4_16678:                            ;   in Loop: Header=BB4_16610 Depth=3
	s_or_b64 exec, exec, s[26:27]
	v_cmp_ne_u32_e32 vcc, 0, v0
	s_xor_b64 s[26:27], s[20:21], -1
	s_and_b64 s[42:43], vcc, s[26:27]
	s_and_saveexec_b64 s[26:27], s[42:43]
	s_cbranch_execz .LBB4_16680
; %bb.16679:                            ;   in Loop: Header=BB4_16610 Depth=3
	buffer_load_dword v0, off, s[0:3], s33 offset:140 ; 4-byte Folded Reload
	buffer_load_dword v1, off, s[0:3], s33 offset:144 ; 4-byte Folded Reload
	v_mov_b32_e32 v3, 1
	s_waitcnt vmcnt(0)
	flat_store_dword v[0:1], v3
.LBB4_16680:                            ;   in Loop: Header=BB4_16610 Depth=3
	s_or_b64 exec, exec, s[26:27]
	buffer_load_dword v0, off, s[0:3], s33 offset:72 ; 4-byte Folded Reload
	s_waitcnt vmcnt(0)
	v_and_b32_e32 v0, 48, v0
	v_cmp_ne_u32_e32 vcc, 0, v0
	s_and_saveexec_b64 s[26:27], vcc
	s_cbranch_execz .LBB4_16609
; %bb.16681:                            ;   in Loop: Header=BB4_16610 Depth=3
	buffer_load_dword v3, off, s[0:3], s33 offset:84 ; 4-byte Folded Reload
	buffer_load_dword v4, off, s[0:3], s33 offset:88 ; 4-byte Folded Reload
	;; [unrolled: 1-line block ×4, first 2 shown]
	s_waitcnt vmcnt(0)
	v_add_co_u32_e32 v3, vcc, 2, v3
	v_addc_co_u32_e32 v4, vcc, 0, v4, vcc
	buffer_store_dword v3, off, s[0:3], s33 offset:84 ; 4-byte Folded Spill
	s_nop 0
	buffer_store_dword v4, off, s[0:3], s33 offset:88 ; 4-byte Folded Spill
	flat_store_dwordx2 v[0:1], v[3:4]
	s_branch .LBB4_16609
.LBB4_16682:                            ;   in Loop: Header=BB4_16431 Depth=2
	s_or_b64 exec, exec, s[90:91]
	s_or_b64 exec, exec, s[42:43]
	v_cmp_gt_i32_e32 vcc, 2, v3
	s_and_saveexec_b64 s[28:29], vcc
	s_cbranch_execnz .LBB4_16608
.LBB4_16683:                            ;   in Loop: Header=BB4_16431 Depth=2
	s_or_b64 exec, exec, s[28:29]
	s_add_i32 s26, s8, 1
	s_cmp_eq_u32 s8, s84
	s_cbranch_scc0 .LBB4_16685
	s_branch .LBB4_16686
.LBB4_16684:                            ;   in Loop: Header=BB4_16431 Depth=2
	s_or_b64 exec, exec, s[40:41]
	s_or_b64 exec, exec, s[28:29]
	s_add_i32 s26, s8, 1
	s_cmp_eq_u32 s8, s84
	s_cbranch_scc1 .LBB4_16686
.LBB4_16685:                            ;   in Loop: Header=BB4_16431 Depth=2
	s_mov_b32 s8, s26
	s_branch .LBB4_16431
.LBB4_16686:                            ;   in Loop: Header=BB4_47 Depth=1
	buffer_load_dword v4, off, s[0:3], s33 offset:352 ; 4-byte Folded Reload
	buffer_load_dword v5, off, s[0:3], s33 offset:356 ; 4-byte Folded Reload
	v_mov_b32_e32 v10, 0
	s_waitcnt vmcnt(0)
	v_mul_lo_u32 v3, v4, s83
	v_mul_lo_u32 v2, v5, s82
	v_mad_u64_u32 v[0:1], s[26:27], v4, s82, 0
	v_add3_u32 v1, v1, v3, v2
	buffer_load_dword v2, off, s[0:3], s33 offset:344 ; 4-byte Folded Reload
	buffer_load_dword v3, off, s[0:3], s33 offset:348 ; 4-byte Folded Reload
	s_waitcnt vmcnt(0)
	v_sub_co_u32_e32 v2, vcc, v2, v0
	v_subb_co_u32_e32 v3, vcc, v3, v1, vcc
	v_cmp_lt_i64_e32 vcc, v[4:5], v[2:3]
	v_cndmask_b32_e32 v3, v2, v4, vcc
	v_max_i32_e32 v8, 0, v3
	v_add_u32_e32 v4, 31, v8
	v_lshrrev_b32_e32 v4, 1, v4
	v_and_b32_e32 v4, 0x3ffffff0, v4
	v_cmp_lt_i32_e32 vcc, 0, v3
	v_mov_b32_e32 v2, 0
	v_max_i32_e32 v9, s81, v4
	s_and_b64 s[26:27], s[74:75], vcc
	s_and_saveexec_b64 s[28:29], s[26:27]
	s_cbranch_execz .LBB4_16824
; %bb.16687:                            ;   in Loop: Header=BB4_47 Depth=1
	buffer_load_dword v2, off, s[0:3], s33 offset:196 ; 4-byte Folded Reload
	s_mov_b32 s8, 1
	s_mov_b64 s[42:43], -1
	v_mov_b32_e32 v10, 0
	s_mov_b64 s[40:41], 0
	s_waitcnt vmcnt(0)
	v_add_co_u32_e32 v11, vcc, v0, v2
	buffer_load_dword v0, off, s[0:3], s33 offset:200 ; 4-byte Folded Reload
	s_waitcnt vmcnt(0)
	v_addc_co_u32_e32 v12, vcc, v1, v0, vcc
	s_branch .LBB4_16689
.LBB4_16688:                            ;   in Loop: Header=BB4_16689 Depth=2
	s_or_b64 exec, exec, s[26:27]
	v_add_u32_e32 v10, v9, v10
	v_cmp_ge_i32_e32 vcc, v10, v8
	s_xor_b64 s[26:27], s[42:43], -1
	s_or_b64 s[26:27], s[26:27], vcc
	s_and_b64 s[26:27], exec, s[26:27]
	s_or_b64 s[40:41], s[26:27], s[40:41]
	s_mov_b64 s[42:43], 0
	v_mov_b32_e32 v2, s8
	s_mov_b32 s8, 2
	s_andn2_b64 exec, exec, s[40:41]
	s_cbranch_execz .LBB4_16823
.LBB4_16689:                            ;   Parent Loop BB4_47 Depth=1
                                        ; =>  This Loop Header: Depth=2
                                        ;       Child Loop BB4_16697 Depth 3
                                        ;       Child Loop BB4_16721 Depth 3
	;; [unrolled: 1-line block ×9, first 2 shown]
	s_and_saveexec_b64 s[26:27], s[4:5]
	s_cbranch_execz .LBB4_16691
; %bb.16690:                            ;   in Loop: Header=BB4_16689 Depth=2
	s_trap 2
	ds_read_b128 v[0:3], v0
	v_ashrrev_i32_e32 v4, 31, v10
	s_waitcnt lgkmcnt(0)
	v_add_co_u32_e32 v0, vcc, v0, v11
	v_addc_co_u32_e32 v1, vcc, v1, v12, vcc
	v_add_co_u32_e32 v0, vcc, v0, v10
	v_addc_co_u32_e32 v1, vcc, v1, v4, vcc
	ds_write_b64 v0, v[0:1]
	v_add_co_u32_e32 v0, vcc, v2, v11
	v_addc_co_u32_e32 v1, vcc, v3, v12, vcc
	v_add_co_u32_e32 v0, vcc, v0, v10
	v_addc_co_u32_e32 v1, vcc, v1, v4, vcc
	v_cmp_ne_u64_e32 vcc, 0, v[2:3]
	v_cndmask_b32_e32 v1, 0, v1, vcc
	v_cndmask_b32_e32 v0, 0, v0, vcc
	ds_write_b64 v0, v[0:1]
.LBB4_16691:                            ;   in Loop: Header=BB4_16689 Depth=2
	s_or_b64 exec, exec, s[26:27]
	buffer_load_dword v0, off, s[0:3], s33 offset:72 ; 4-byte Folded Reload
	s_waitcnt vmcnt(0)
	v_and_b32_e32 v0, 4, v0
	v_cmp_ne_u32_e32 vcc, 0, v0
	s_and_saveexec_b64 s[90:91], vcc
	s_cbranch_execz .LBB4_16713
; %bb.16692:                            ;   in Loop: Header=BB4_16689 Depth=2
	buffer_load_dword v0, off, s[0:3], s33 offset:84 ; 4-byte Folded Reload
	buffer_load_dword v1, off, s[0:3], s33 offset:88 ; 4-byte Folded Reload
	;; [unrolled: 1-line block ×4, first 2 shown]
	s_waitcnt vmcnt(0)
	v_add_co_u32_e32 v0, vcc, 2, v0
	v_addc_co_u32_e32 v1, vcc, 0, v1, vcc
	v_cmp_lt_u64_e32 vcc, v[2:3], v[0:1]
	s_and_saveexec_b64 s[92:93], vcc
	s_cbranch_execz .LBB4_16704
; %bb.16693:                            ;   in Loop: Header=BB4_16689 Depth=2
	buffer_load_dword v2, off, s[0:3], s33 offset:72 ; 4-byte Folded Reload
	s_mov_b32 s64, 0
	s_mov_b64 s[94:95], 0
                                        ; implicit-def: $sgpr30_sgpr31
                                        ; implicit-def: $sgpr34_sgpr35
                                        ; implicit-def: $sgpr36_sgpr37
	s_waitcnt vmcnt(0)
	v_and_b32_e32 v2, 64, v2
	v_cmp_eq_u32_e32 vcc, 0, v2
	s_branch .LBB4_16697
.LBB4_16694:                            ;   in Loop: Header=BB4_16697 Depth=3
	buffer_load_dword v3, off, s[0:3], s33 offset:56 ; 4-byte Folded Reload
	buffer_load_dword v4, off, s[0:3], s33 offset:60 ; 4-byte Folded Reload
	s_or_b64 s[50:51], s[50:51], exec
	s_waitcnt vmcnt(0)
	v_cmp_ge_u64_e64 s[26:27], v[3:4], v[0:1]
	s_orn2_b64 s[48:49], s[26:27], exec
.LBB4_16695:                            ;   in Loop: Header=BB4_16697 Depth=3
	s_or_b64 exec, exec, s[54:55]
	s_andn2_b64 s[26:27], s[36:37], exec
	s_and_b64 s[36:37], s[50:51], exec
	s_or_b64 s[36:37], s[26:27], s[36:37]
	s_andn2_b64 s[26:27], s[34:35], exec
	s_and_b64 s[34:35], s[48:49], exec
	s_or_b64 s[34:35], s[26:27], s[34:35]
.LBB4_16696:                            ;   in Loop: Header=BB4_16697 Depth=3
	s_or_b64 exec, exec, s[38:39]
	s_and_b64 s[26:27], exec, s[34:35]
	s_or_b64 s[94:95], s[26:27], s[94:95]
	s_andn2_b64 s[26:27], s[30:31], exec
	s_and_b64 s[30:31], s[36:37], exec
	s_or_b64 s[30:31], s[26:27], s[30:31]
	s_andn2_b64 exec, exec, s[94:95]
	s_cbranch_execz .LBB4_16701
.LBB4_16697:                            ;   Parent Loop BB4_47 Depth=1
                                        ;     Parent Loop BB4_16689 Depth=2
                                        ; =>    This Inner Loop Header: Depth=3
	s_sleep 1
	buffer_load_dword v2, off, s[0:3], s33 offset:64 ; 4-byte Folded Reload
	buffer_load_dword v3, off, s[0:3], s33 offset:68 ; 4-byte Folded Reload
	s_or_b64 s[36:37], s[36:37], exec
	s_or_b64 s[34:35], s[34:35], exec
	s_waitcnt vmcnt(0)
	flat_load_dwordx2 v[2:3], v[2:3] glc
	s_waitcnt vmcnt(0) lgkmcnt(0)
	buffer_store_dword v2, off, s[0:3], s33 offset:56 ; 4-byte Folded Spill
	s_nop 0
	buffer_store_dword v3, off, s[0:3], s33 offset:60 ; 4-byte Folded Spill
                                        ; implicit-def: $vgpr2
	s_and_saveexec_b64 s[38:39], vcc
	s_cbranch_execz .LBB4_16696
; %bb.16698:                            ;   in Loop: Header=BB4_16697 Depth=3
	s_cmpk_lt_i32 s64, 0x270f
	s_cselect_b64 s[52:53], -1, 0
	s_cmpk_gt_i32 s64, 0x270e
	s_mov_b64 s[48:49], -1
	s_cbranch_scc0 .LBB4_16700
; %bb.16699:                            ;   in Loop: Header=BB4_16697 Depth=3
	s_trap 2
	ds_read_b64 v[2:3], v0
	s_andn2_b64 s[52:53], s[52:53], exec
	s_mov_b32 s64, 0
	s_mov_b64 s[50:51], 0
	s_waitcnt vmcnt(0) lgkmcnt(0)
	flat_load_dword v2, v[2:3] glc
	s_waitcnt vmcnt(0) lgkmcnt(0)
	buffer_wbinvl1_vol
	v_cmp_eq_u32_e64 s[26:27], 0, v2
	s_and_b64 s[26:27], s[26:27], exec
	s_or_b64 s[52:53], s[52:53], s[26:27]
	s_and_saveexec_b64 s[54:55], s[52:53]
	s_cbranch_execz .LBB4_16695
	s_branch .LBB4_16694
.LBB4_16700:                            ;   in Loop: Header=BB4_16697 Depth=3
	s_add_i32 s64, s64, 1
	s_mov_b64 s[50:51], -1
                                        ; implicit-def: $vgpr2
	s_and_saveexec_b64 s[54:55], s[52:53]
	s_cbranch_execz .LBB4_16695
	s_branch .LBB4_16694
.LBB4_16701:                            ;   in Loop: Header=BB4_16689 Depth=2
	s_or_b64 exec, exec, s[94:95]
	s_xor_b64 s[26:27], s[30:31], -1
	s_and_saveexec_b64 s[94:95], s[26:27]
	s_xor_b64 s[26:27], exec, s[94:95]
	s_cbranch_execz .LBB4_16703
; %bb.16702:                            ;   in Loop: Header=BB4_16689 Depth=2
	ds_write_b32 v0, v2
	s_trap 2
	buffer_load_dword v2, off, s[0:3], s33 offset:72 ; 4-byte Folded Reload
	s_waitcnt vmcnt(0)
	v_or_b32_e32 v2, 64, v2
	buffer_store_dword v2, off, s[0:3], s33 offset:72 ; 4-byte Folded Spill
.LBB4_16703:                            ;   in Loop: Header=BB4_16689 Depth=2
	s_or_b64 exec, exec, s[26:27]
.LBB4_16704:                            ;   in Loop: Header=BB4_16689 Depth=2
	s_or_b64 exec, exec, s[92:93]
	;;#ASMSTART
	s_wakeup
	;;#ASMEND
	buffer_load_dword v2, off, s[0:3], s33 offset:72 ; 4-byte Folded Reload
	s_mov_b64 s[26:27], -1
	s_waitcnt vmcnt(0)
	v_and_b32_e32 v2, 0x100, v2
	v_cmp_ne_u32_e32 vcc, 0, v2
	buffer_load_dword v2, off, s[0:3], s33 offset:84 ; 4-byte Folded Reload
	buffer_load_dword v3, off, s[0:3], s33 offset:88 ; 4-byte Folded Reload
	s_waitcnt vmcnt(0)
	v_and_b32_e32 v6, 7, v2
                                        ; implicit-def: $vgpr2_vgpr3
	s_and_saveexec_b64 s[92:93], vcc
	s_cbranch_execz .LBB4_16708
; %bb.16705:                            ;   in Loop: Header=BB4_16689 Depth=2
	buffer_load_dword v2, off, s[0:3], s33 offset:124 ; 4-byte Folded Reload
	buffer_load_dword v3, off, s[0:3], s33 offset:128 ; 4-byte Folded Reload
	;; [unrolled: 1-line block ×4, first 2 shown]
	s_waitcnt vmcnt(0)
	v_mad_u64_u32 v[4:5], s[26:27], v6, 24, v[2:3]
	flat_load_dword v2, v[4:5]
	s_waitcnt vmcnt(0) lgkmcnt(0)
	v_cmp_ne_u32_e32 vcc, 1, v2
	v_cmp_eq_u32_e64 s[26:27], 1, v2
                                        ; implicit-def: $vgpr2_vgpr3
	s_and_saveexec_b64 s[94:95], s[26:27]
	s_cbranch_execz .LBB4_16707
; %bb.16706:                            ;   in Loop: Header=BB4_16689 Depth=2
	flat_load_dword v2, v[4:5] offset:4 glc
	s_waitcnt vmcnt(0) lgkmcnt(0)
	v_ashrrev_i32_e32 v3, 31, v2
.LBB4_16707:                            ;   in Loop: Header=BB4_16689 Depth=2
	s_or_b64 exec, exec, s[94:95]
	s_orn2_b64 s[26:27], vcc, exec
.LBB4_16708:                            ;   in Loop: Header=BB4_16689 Depth=2
	s_or_b64 exec, exec, s[92:93]
	s_and_saveexec_b64 s[92:93], s[26:27]
	s_cbranch_execz .LBB4_16710
; %bb.16709:                            ;   in Loop: Header=BB4_16689 Depth=2
	buffer_load_dword v2, off, s[0:3], s33 offset:152 ; 4-byte Folded Reload
	s_waitcnt vmcnt(0)
	v_mad_i64_i32 v[2:3], s[26:27], v6, v2, 0
.LBB4_16710:                            ;   in Loop: Header=BB4_16689 Depth=2
	s_or_b64 exec, exec, s[92:93]
	buffer_load_dword v4, off, s[0:3], s33 offset:116 ; 4-byte Folded Reload
	buffer_load_dword v5, off, s[0:3], s33 offset:120 ; 4-byte Folded Reload
	s_waitcnt vmcnt(0)
	v_add_co_u32_e32 v2, vcc, v4, v2
	v_addc_co_u32_e32 v3, vcc, v5, v3, vcc
	ds_write_b64 v0, v[2:3] offset:720
	buffer_load_dword v2, off, s[0:3], s33 offset:72 ; 4-byte Folded Reload
	s_waitcnt vmcnt(0)
	v_and_b32_e32 v2, 0x2000, v2
	v_cmp_ne_u32_e32 vcc, 0, v2
	s_and_saveexec_b64 s[26:27], vcc
	s_cbranch_execz .LBB4_16712
; %bb.16711:                            ;   in Loop: Header=BB4_16689 Depth=2
	ds_read_b64 v[2:3], v0 offset:872
	s_waitcnt lgkmcnt(0)
	v_add_co_u32_e32 v2, vcc, 1, v2
	v_addc_co_u32_e32 v3, vcc, 0, v3, vcc
	ds_write_b64 v0, v[2:3] offset:872
.LBB4_16712:                            ;   in Loop: Header=BB4_16689 Depth=2
	s_or_b64 exec, exec, s[26:27]
	buffer_store_dword v0, off, s[0:3], s33 offset:84 ; 4-byte Folded Spill
	s_nop 0
	buffer_store_dword v1, off, s[0:3], s33 offset:88 ; 4-byte Folded Spill
.LBB4_16713:                            ;   in Loop: Header=BB4_16689 Depth=2
	s_or_b64 exec, exec, s[90:91]
	s_and_saveexec_b64 s[26:27], s[12:13]
	s_cbranch_execz .LBB4_16732
; %bb.16714:                            ;   in Loop: Header=BB4_16689 Depth=2
	s_and_saveexec_b64 s[90:91], s[58:59]
	s_xor_b64 s[90:91], exec, s[90:91]
	s_cbranch_execz .LBB4_16729
; %bb.16715:                            ;   in Loop: Header=BB4_16689 Depth=2
	s_and_saveexec_b64 s[92:93], s[6:7]
	s_cbranch_execz .LBB4_16728
; %bb.16716:                            ;   in Loop: Header=BB4_16689 Depth=2
	s_mov_b64 s[30:31], exec
	v_mbcnt_lo_u32_b32 v0, s30, 0
	v_mbcnt_hi_u32_b32 v0, s31, v0
	v_cmp_eq_u32_e32 vcc, 0, v0
	s_waitcnt vmcnt(0) lgkmcnt(0)
	buffer_wbinvl1_vol
	s_and_saveexec_b64 s[94:95], vcc
	s_cbranch_execz .LBB4_16718
; %bb.16717:                            ;   in Loop: Header=BB4_16689 Depth=2
	s_bcnt1_i32_b64 vcc_lo, s[30:31]
	v_mov_b32_e32 v0, vcc_lo
	v_mov_b32_e32 v1, v17
	ds_add_u64 v0, v[0:1]
	s_trap 2
.LBB4_16718:                            ;   in Loop: Header=BB4_16689 Depth=2
	s_or_b64 exec, exec, s[94:95]
	s_trap 2
	ds_read_b64 v[0:1], v0
	s_waitcnt lgkmcnt(0)
	buffer_load_dword v2, off, s[0:3], s33 offset:76 ; 4-byte Folded Reload
	buffer_load_dword v3, off, s[0:3], s33 offset:80 ; 4-byte Folded Reload
	;; [unrolled: 1-line block ×3, first 2 shown]
	s_waitcnt vmcnt(0)
	v_add_co_u32_e32 v2, vcc, v2, v4
	v_addc_co_u32_e32 v3, vcc, 0, v3, vcc
	buffer_store_dword v2, off, s[0:3], s33 offset:76 ; 4-byte Folded Spill
	s_nop 0
	buffer_store_dword v3, off, s[0:3], s33 offset:80 ; 4-byte Folded Spill
	v_cmp_lt_u64_e32 vcc, v[0:1], v[2:3]
	s_and_saveexec_b64 s[94:95], vcc
	s_cbranch_execz .LBB4_16727
; %bb.16719:                            ;   in Loop: Header=BB4_16689 Depth=2
	s_mov_b32 s50, 0
	s_mov_b64 s[30:31], 0
                                        ; implicit-def: $sgpr34_sgpr35
                                        ; implicit-def: $sgpr36_sgpr37
	s_branch .LBB4_16721
.LBB4_16720:                            ;   in Loop: Header=BB4_16721 Depth=3
	s_or_b64 exec, exec, s[48:49]
	s_and_b64 vcc, exec, vcc
	s_or_b64 s[30:31], vcc, s[30:31]
	s_andn2_b64 vcc, s[34:35], exec
	s_and_b64 s[34:35], s[36:37], exec
	s_or_b64 s[34:35], vcc, s[34:35]
	s_andn2_b64 exec, exec, s[30:31]
	s_cbranch_execz .LBB4_16725
.LBB4_16721:                            ;   Parent Loop BB4_47 Depth=1
                                        ;     Parent Loop BB4_16689 Depth=2
                                        ; =>    This Inner Loop Header: Depth=3
	s_add_i32 s50, s50, 1
	s_cmpk_lg_i32 s50, 0x2710
	s_cselect_b64 s[38:39], -1, 0
	s_and_b64 vcc, exec, s[38:39]
	s_cbranch_vccz .LBB4_16723
; %bb.16722:                            ;   in Loop: Header=BB4_16721 Depth=3
	s_mov_b64 vcc, -1
	s_or_b64 s[36:37], s[36:37], exec
	s_and_saveexec_b64 s[48:49], s[38:39]
	s_cbranch_execz .LBB4_16720
	s_branch .LBB4_16724
.LBB4_16723:                            ;   in Loop: Header=BB4_16721 Depth=3
	s_trap 2
	ds_read_b64 v[0:1], v0
	s_andn2_b64 s[38:39], s[38:39], exec
	s_mov_b32 s50, 0
	s_waitcnt vmcnt(0) lgkmcnt(0)
	flat_load_dword v0, v[0:1] glc
	s_waitcnt vmcnt(0) lgkmcnt(0)
	buffer_wbinvl1_vol
	v_cmp_eq_u32_e32 vcc, 0, v0
	s_and_b64 vcc, vcc, exec
	s_or_b64 s[38:39], s[38:39], vcc
	s_mov_b64 vcc, -1
	s_or_b64 s[36:37], s[36:37], exec
	s_and_saveexec_b64 s[48:49], s[38:39]
	s_cbranch_execz .LBB4_16720
.LBB4_16724:                            ;   in Loop: Header=BB4_16721 Depth=3
	s_sleep 1
	s_trap 2
	ds_read_b64 v[0:1], v0
	s_waitcnt lgkmcnt(0)
	buffer_load_dword v2, off, s[0:3], s33 offset:76 ; 4-byte Folded Reload
	buffer_load_dword v3, off, s[0:3], s33 offset:80 ; 4-byte Folded Reload
	s_andn2_b64 s[36:37], s[36:37], exec
	s_waitcnt vmcnt(0)
	v_cmp_ge_u64_e32 vcc, v[0:1], v[2:3]
	s_orn2_b64 vcc, vcc, exec
	s_branch .LBB4_16720
.LBB4_16725:                            ;   in Loop: Header=BB4_16689 Depth=2
	s_or_b64 exec, exec, s[30:31]
	s_and_saveexec_b64 vcc, s[34:35]
	s_xor_b64 vcc, exec, vcc
	s_cbranch_execz .LBB4_16727
; %bb.16726:                            ;   in Loop: Header=BB4_16689 Depth=2
	v_mov_b32_e32 v0, 1
	ds_write_b32 v0, v0
	s_trap 2
.LBB4_16727:                            ;   in Loop: Header=BB4_16689 Depth=2
	s_or_b64 exec, exec, s[94:95]
	;;#ASMSTART
	s_wakeup
	;;#ASMEND
.LBB4_16728:                            ;   in Loop: Header=BB4_16689 Depth=2
	s_or_b64 exec, exec, s[92:93]
.LBB4_16729:                            ;   in Loop: Header=BB4_16689 Depth=2
	s_andn2_saveexec_b64 s[90:91], s[90:91]
	s_cbranch_execz .LBB4_16731
; %bb.16730:                            ;   in Loop: Header=BB4_16689 Depth=2
	s_waitcnt vmcnt(0) lgkmcnt(0)
	buffer_wbinvl1_vol
	s_barrier
.LBB4_16731:                            ;   in Loop: Header=BB4_16689 Depth=2
	s_or_b64 exec, exec, s[90:91]
.LBB4_16732:                            ;   in Loop: Header=BB4_16689 Depth=2
	s_or_b64 exec, exec, s[26:27]
	s_trap 2
	ds_read_b32 v4, v0
	buffer_load_dword v0, off, s[0:3], s33 offset:72 ; 4-byte Folded Reload
	s_xor_b64 s[26:27], s[10:11], -1
	s_waitcnt vmcnt(0)
	v_and_b32_e32 v0, 0x4000, v0
	v_cmp_ne_u32_e32 vcc, 0, v0
	s_and_b64 s[90:91], s[26:27], vcc
	s_and_saveexec_b64 s[26:27], s[90:91]
	s_cbranch_execz .LBB4_16751
; %bb.16733:                            ;   in Loop: Header=BB4_16689 Depth=2
	s_and_saveexec_b64 s[90:91], s[58:59]
	s_xor_b64 s[90:91], exec, s[90:91]
	s_cbranch_execz .LBB4_16748
; %bb.16734:                            ;   in Loop: Header=BB4_16689 Depth=2
	s_and_saveexec_b64 s[92:93], s[6:7]
	s_cbranch_execz .LBB4_16747
; %bb.16735:                            ;   in Loop: Header=BB4_16689 Depth=2
	s_mov_b64 s[30:31], exec
	v_mbcnt_lo_u32_b32 v0, s30, 0
	v_mbcnt_hi_u32_b32 v0, s31, v0
	v_cmp_eq_u32_e32 vcc, 0, v0
	s_waitcnt lgkmcnt(0)
	buffer_wbinvl1_vol
	s_and_saveexec_b64 s[94:95], vcc
	s_cbranch_execz .LBB4_16737
; %bb.16736:                            ;   in Loop: Header=BB4_16689 Depth=2
	s_bcnt1_i32_b64 vcc_lo, s[30:31]
	v_mov_b32_e32 v0, vcc_lo
	v_mov_b32_e32 v1, v17
	ds_add_u64 v0, v[0:1]
	s_trap 2
.LBB4_16737:                            ;   in Loop: Header=BB4_16689 Depth=2
	s_or_b64 exec, exec, s[94:95]
	s_trap 2
	ds_read_b64 v[0:1], v0
	s_waitcnt lgkmcnt(0)
	buffer_load_dword v2, off, s[0:3], s33 offset:76 ; 4-byte Folded Reload
	buffer_load_dword v3, off, s[0:3], s33 offset:80 ; 4-byte Folded Reload
	;; [unrolled: 1-line block ×3, first 2 shown]
	s_waitcnt vmcnt(0)
	v_add_co_u32_e32 v2, vcc, v2, v5
	v_addc_co_u32_e32 v3, vcc, 0, v3, vcc
	buffer_store_dword v2, off, s[0:3], s33 offset:76 ; 4-byte Folded Spill
	s_nop 0
	buffer_store_dword v3, off, s[0:3], s33 offset:80 ; 4-byte Folded Spill
	v_cmp_lt_u64_e32 vcc, v[0:1], v[2:3]
	s_and_saveexec_b64 s[94:95], vcc
	s_cbranch_execz .LBB4_16746
; %bb.16738:                            ;   in Loop: Header=BB4_16689 Depth=2
	s_mov_b32 s50, 0
	s_mov_b64 s[30:31], 0
                                        ; implicit-def: $sgpr34_sgpr35
                                        ; implicit-def: $sgpr36_sgpr37
	s_branch .LBB4_16740
.LBB4_16739:                            ;   in Loop: Header=BB4_16740 Depth=3
	s_or_b64 exec, exec, s[48:49]
	s_and_b64 vcc, exec, vcc
	s_or_b64 s[30:31], vcc, s[30:31]
	s_andn2_b64 vcc, s[34:35], exec
	s_and_b64 s[34:35], s[36:37], exec
	s_or_b64 s[34:35], vcc, s[34:35]
	s_andn2_b64 exec, exec, s[30:31]
	s_cbranch_execz .LBB4_16744
.LBB4_16740:                            ;   Parent Loop BB4_47 Depth=1
                                        ;     Parent Loop BB4_16689 Depth=2
                                        ; =>    This Inner Loop Header: Depth=3
	s_add_i32 s50, s50, 1
	s_cmpk_lg_i32 s50, 0x2710
	s_cselect_b64 s[38:39], -1, 0
	s_and_b64 vcc, exec, s[38:39]
	s_cbranch_vccz .LBB4_16742
; %bb.16741:                            ;   in Loop: Header=BB4_16740 Depth=3
	s_mov_b64 vcc, -1
	s_or_b64 s[36:37], s[36:37], exec
	s_and_saveexec_b64 s[48:49], s[38:39]
	s_cbranch_execz .LBB4_16739
	s_branch .LBB4_16743
.LBB4_16742:                            ;   in Loop: Header=BB4_16740 Depth=3
	s_trap 2
	ds_read_b64 v[0:1], v0
	s_andn2_b64 s[38:39], s[38:39], exec
	s_mov_b32 s50, 0
	s_waitcnt vmcnt(0) lgkmcnt(0)
	flat_load_dword v0, v[0:1] glc
	s_waitcnt vmcnt(0) lgkmcnt(0)
	buffer_wbinvl1_vol
	v_cmp_eq_u32_e32 vcc, 0, v0
	s_and_b64 vcc, vcc, exec
	s_or_b64 s[38:39], s[38:39], vcc
	s_mov_b64 vcc, -1
	s_or_b64 s[36:37], s[36:37], exec
	s_and_saveexec_b64 s[48:49], s[38:39]
	s_cbranch_execz .LBB4_16739
.LBB4_16743:                            ;   in Loop: Header=BB4_16740 Depth=3
	s_sleep 1
	s_trap 2
	ds_read_b64 v[0:1], v0
	s_waitcnt lgkmcnt(0)
	buffer_load_dword v2, off, s[0:3], s33 offset:76 ; 4-byte Folded Reload
	buffer_load_dword v3, off, s[0:3], s33 offset:80 ; 4-byte Folded Reload
	s_andn2_b64 s[36:37], s[36:37], exec
	s_waitcnt vmcnt(0)
	v_cmp_ge_u64_e32 vcc, v[0:1], v[2:3]
	s_orn2_b64 vcc, vcc, exec
	s_branch .LBB4_16739
.LBB4_16744:                            ;   in Loop: Header=BB4_16689 Depth=2
	s_or_b64 exec, exec, s[30:31]
	s_and_saveexec_b64 vcc, s[34:35]
	s_xor_b64 vcc, exec, vcc
	s_cbranch_execz .LBB4_16746
; %bb.16745:                            ;   in Loop: Header=BB4_16689 Depth=2
	v_mov_b32_e32 v0, 1
	ds_write_b32 v0, v0
	s_trap 2
.LBB4_16746:                            ;   in Loop: Header=BB4_16689 Depth=2
	s_or_b64 exec, exec, s[94:95]
	;;#ASMSTART
	s_wakeup
	;;#ASMEND
.LBB4_16747:                            ;   in Loop: Header=BB4_16689 Depth=2
	s_or_b64 exec, exec, s[92:93]
.LBB4_16748:                            ;   in Loop: Header=BB4_16689 Depth=2
	s_andn2_saveexec_b64 s[90:91], s[90:91]
	s_cbranch_execz .LBB4_16750
; %bb.16749:                            ;   in Loop: Header=BB4_16689 Depth=2
	s_waitcnt vmcnt(0) lgkmcnt(0)
	buffer_wbinvl1_vol
	s_barrier
.LBB4_16750:                            ;   in Loop: Header=BB4_16689 Depth=2
	s_or_b64 exec, exec, s[90:91]
.LBB4_16751:                            ;   in Loop: Header=BB4_16689 Depth=2
	s_or_b64 exec, exec, s[26:27]
	v_sub_u32_e32 v0, v8, v10
	v_min_i32_e32 v9, v9, v0
	s_trap 2
	ds_read_b64 v[0:1], v0
	s_waitcnt lgkmcnt(0)
	v_cmp_eq_u64_e32 vcc, 0, v[0:1]
	s_cbranch_vccnz .LBB4_16759
; %bb.16752:                            ;   in Loop: Header=BB4_16689 Depth=2
	s_trap 2
	ds_read_b64 v[2:3], v0
	s_waitcnt lgkmcnt(0)
	v_cmp_eq_u64_e32 vcc, 0, v[2:3]
	s_cbranch_vccnz .LBB4_16759
; %bb.16753:                            ;   in Loop: Header=BB4_16689 Depth=2
	s_mov_b64 s[26:27], -1
	s_and_saveexec_b64 s[90:91], s[16:17]
	s_cbranch_execz .LBB4_16755
; %bb.16754:                            ;   in Loop: Header=BB4_16689 Depth=2
	ds_read_b32 v5, v0 offset:720
	s_waitcnt lgkmcnt(0)
	v_and_b32_e32 v5, 15, v5
	v_cmp_eq_u32_e32 vcc, 0, v5
	s_orn2_b64 s[26:27], vcc, exec
.LBB4_16755:                            ;   in Loop: Header=BB4_16689 Depth=2
	s_or_b64 exec, exec, s[90:91]
	s_and_saveexec_b64 s[90:91], s[14:15]
	s_cbranch_execz .LBB4_16757
; %bb.16756:                            ;   in Loop: Header=BB4_16689 Depth=2
	ds_read_b32 v5, v0 offset:784
	s_waitcnt lgkmcnt(0)
	v_and_b32_e32 v5, 15, v5
	v_cmp_eq_u32_e32 vcc, 0, v5
	s_and_b64 s[92:93], s[26:27], vcc
	s_andn2_b64 s[26:27], s[26:27], exec
	s_and_b64 s[92:93], s[92:93], exec
	s_or_b64 s[26:27], s[26:27], s[92:93]
.LBB4_16757:                            ;   in Loop: Header=BB4_16689 Depth=2
	s_or_b64 exec, exec, s[90:91]
	buffer_load_dword v6, off, s[0:3], s33 offset:176 ; 4-byte Folded Reload
	v_cmp_eq_u32_e32 vcc, 0, v4
	s_xor_b64 s[26:27], s[26:27], -1
	v_cndmask_b32_e32 v13, 0, v9, vcc
	v_cndmask_b32_e64 v4, 0, 1, s[26:27]
	s_mov_b64 s[92:93], -1
	v_cmp_ne_u32_e32 vcc, 0, v4
	v_mov_b32_e32 v4, 0
	v_mov_b32_e32 v5, v13
	s_cbranch_vccz .LBB4_16764
; %bb.16758:                            ;   in Loop: Header=BB4_16689 Depth=2
	s_and_saveexec_b64 s[26:27], s[92:93]
	s_cbranch_execnz .LBB4_16775
	s_branch .LBB4_16783
.LBB4_16759:                            ;   in Loop: Header=BB4_16689 Depth=2
	s_mov_b64 s[26:27], 0
	s_and_saveexec_b64 s[90:91], s[12:13]
	s_cbranch_execnz .LBB4_16784
.LBB4_16760:                            ;   in Loop: Header=BB4_16689 Depth=2
	s_or_b64 exec, exec, s[90:91]
	s_and_saveexec_b64 s[90:91], s[18:19]
	s_xor_b64 s[90:91], exec, s[90:91]
	s_cbranch_execz .LBB4_16802
.LBB4_16761:                            ;   in Loop: Header=BB4_16689 Depth=2
	buffer_load_dword v0, off, s[0:3], s33 offset:72 ; 4-byte Folded Reload
	s_waitcnt vmcnt(0)
	v_and_b32_e32 v0, 16, v0
	v_cmp_ne_u32_e32 vcc, 0, v0
	s_and_b64 s[92:93], vcc, s[26:27]
	s_and_saveexec_b64 s[26:27], s[92:93]
	s_cbranch_execz .LBB4_16763
; %bb.16762:                            ;   in Loop: Header=BB4_16689 Depth=2
	s_waitcnt lgkmcnt(0)
	buffer_wbinvl1_vol
.LBB4_16763:                            ;   in Loop: Header=BB4_16689 Depth=2
	s_or_b64 exec, exec, s[26:27]
	s_andn2_saveexec_b64 s[26:27], s[90:91]
	s_cbranch_execz .LBB4_16821
	s_branch .LBB4_16803
.LBB4_16764:                            ;   in Loop: Header=BB4_16689 Depth=2
	v_ashrrev_i32_e32 v4, 31, v13
	v_lshrrev_b32_e32 v4, 20, v4
	v_add_u32_e32 v4, v13, v4
	v_ashrrev_i32_e32 v15, 12, v4
	buffer_load_dword v4, off, s[0:3], s33 offset:220 ; 4-byte Folded Reload
	s_waitcnt vmcnt(0)
	v_sub_u32_e32 v14, v15, v4
	v_cmp_lt_i32_e32 vcc, 0, v14
	s_and_saveexec_b64 s[26:27], vcc
	s_cbranch_execz .LBB4_16768
; %bb.16765:                            ;   in Loop: Header=BB4_16689 Depth=2
	buffer_load_dword v16, off, s[0:3], s33 offset:92 ; 4-byte Folded Reload
	buffer_load_dword v28, off, s[0:3], s33 offset:336 ; 4-byte Folded Reload
	;; [unrolled: 1-line block ×3, first 2 shown]
	v_mov_b32_e32 v5, v3
	v_mov_b32_e32 v7, v1
	s_mov_b64 s[90:91], 0
	v_mov_b32_e32 v4, v2
	v_mov_b32_e32 v6, v0
.LBB4_16766:                            ;   Parent Loop BB4_47 Depth=1
                                        ;     Parent Loop BB4_16689 Depth=2
                                        ; =>    This Inner Loop Header: Depth=3
	s_waitcnt vmcnt(0)
	v_add_co_u32_e32 v26, vcc, v29, v6
	v_addc_co_u32_e32 v27, vcc, 0, v7, vcc
	global_load_dwordx4 v[18:21], v[26:27], off glc slc
	global_load_dwordx4 v[22:25], v[26:27], off offset:1024 glc slc
	global_load_dwordx4 v[30:33], v[26:27], off offset:2048 glc slc
	;; [unrolled: 1-line block ×3, first 2 shown]
	v_add_co_u32_e32 v26, vcc, v29, v4
	v_addc_co_u32_e32 v27, vcc, 0, v5, vcc
	v_add_co_u32_e32 v6, vcc, v6, v28
	v_addc_co_u32_e32 v7, vcc, 0, v7, vcc
	v_add_co_u32_e32 v4, vcc, v4, v28
	v_sub_u32_e32 v14, v14, v16
	v_addc_co_u32_e32 v5, vcc, 0, v5, vcc
	v_cmp_gt_i32_e32 vcc, 1, v14
	s_or_b64 s[90:91], vcc, s[90:91]
	s_waitcnt vmcnt(3)
	global_store_dwordx4 v[26:27], v[18:21], off glc slc
	s_waitcnt vmcnt(3)
	global_store_dwordx4 v[26:27], v[22:25], off offset:1024 glc slc
	s_waitcnt vmcnt(3)
	global_store_dwordx4 v[26:27], v[30:33], off offset:2048 glc slc
	;; [unrolled: 2-line block ×3, first 2 shown]
	s_andn2_b64 exec, exec, s[90:91]
	s_cbranch_execnz .LBB4_16766
; %bb.16767:                            ;   in Loop: Header=BB4_16689 Depth=2
	s_or_b64 exec, exec, s[90:91]
.LBB4_16768:                            ;   in Loop: Header=BB4_16689 Depth=2
	s_or_b64 exec, exec, s[26:27]
	v_lshlrev_b32_e32 v7, 12, v15
	v_cmp_ne_u32_e32 vcc, v13, v7
	s_mov_b64 s[92:93], 0
	v_mov_b32_e32 v4, 0
                                        ; implicit-def: $vgpr5
                                        ; implicit-def: $vgpr6
	s_and_saveexec_b64 s[90:91], vcc
	s_cbranch_execz .LBB4_16774
; %bb.16769:                            ;   in Loop: Header=BB4_16689 Depth=2
	buffer_load_dword v6, off, s[0:3], s33 offset:340 ; 4-byte Folded Reload
	v_lshlrev_b32_e32 v4, 6, v14
	v_sub_u32_e32 v5, v13, v7
	s_waitcnt vmcnt(0)
	v_sub_u32_e32 v4, v6, v4
	v_ashrrev_i32_e32 v6, 31, v4
	v_lshrrev_b32_e32 v6, 26, v6
	v_add_u32_e32 v6, v4, v6
	v_ashrrev_i32_e32 v14, 6, v6
	v_and_b32_e32 v6, 0xffffffc0, v6
	v_sub_u32_e32 v6, v4, v6
	v_lshlrev_b32_e32 v4, 4, v6
	v_lshl_add_u32 v16, v14, 10, v4
	v_ashrrev_i32_e32 v4, 31, v5
	v_lshrrev_b32_e32 v4, 22, v4
	v_add_u32_e32 v4, v5, v4
	v_ashrrev_i32_e32 v18, 10, v4
	v_and_b32_e32 v4, 0xfffffc00, v4
	v_sub_u32_e32 v15, v5, v16
	v_sub_u32_e32 v5, v5, v4
	v_cmp_lt_i32_e32 vcc, 15, v5
	v_addc_co_u32_e64 v18, s[26:27], 0, v18, vcc
	v_sub_u32_e32 v14, v18, v14
	v_cmp_lt_i32_e64 s[26:27], 15, v15
	s_and_saveexec_b64 s[92:93], s[26:27]
	s_cbranch_execz .LBB4_16773
; %bb.16770:                            ;   in Loop: Header=BB4_16689 Depth=2
	buffer_load_dword v25, off, s[0:3], s33 offset:92 ; 4-byte Folded Reload
	buffer_load_dword v26, off, s[0:3], s33 offset:96 ; 4-byte Folded Reload
	v_add_u32_e32 v16, v16, v7
	v_ashrrev_i32_e32 v18, 31, v16
	s_mov_b64 s[94:95], 0
.LBB4_16771:                            ;   Parent Loop BB4_47 Depth=1
                                        ;     Parent Loop BB4_16689 Depth=2
                                        ; =>    This Inner Loop Header: Depth=3
	v_add_co_u32_e64 v19, s[26:27], v0, v16
	v_addc_co_u32_e64 v20, s[26:27], v1, v18, s[26:27]
	global_load_dwordx4 v[19:22], v[19:20], off glc slc
	v_add_co_u32_e64 v23, s[26:27], v2, v16
	v_addc_co_u32_e64 v24, s[26:27], v3, v18, s[26:27]
	s_waitcnt vmcnt(1)
	v_add_co_u32_e64 v16, s[26:27], v16, v26
	v_sub_u32_e32 v15, v15, v26
	v_addc_co_u32_e64 v18, s[26:27], 0, v18, s[26:27]
	v_cmp_gt_i32_e64 s[26:27], 16, v15
	v_sub_u32_e32 v14, v14, v25
	s_or_b64 s[94:95], s[26:27], s[94:95]
	s_waitcnt vmcnt(0)
	global_store_dwordx4 v[23:24], v[19:22], off glc slc
	s_andn2_b64 exec, exec, s[94:95]
	s_cbranch_execnz .LBB4_16771
; %bb.16772:                            ;   in Loop: Header=BB4_16689 Depth=2
	s_or_b64 exec, exec, s[94:95]
.LBB4_16773:                            ;   in Loop: Header=BB4_16689 Depth=2
	s_or_b64 exec, exec, s[92:93]
	v_and_b32_e32 v15, 15, v13
	v_sub_u32_e32 v16, v5, v15
	v_cndmask_b32_e32 v16, 0, v16, vcc
	v_add3_u32 v4, v4, v7, v16
	buffer_load_dword v7, off, s[0:3], s33 offset:92 ; 4-byte Folded Reload
	v_cndmask_b32_e32 v5, v5, v15, vcc
	v_cmp_lt_i32_e32 vcc, 0, v14
	s_waitcnt vmcnt(0)
	v_cndmask_b32_e32 v7, 0, v7, vcc
	v_sub_u32_e32 v7, v7, v14
	v_cmp_ne_u32_e32 vcc, 0, v5
	v_lshl_add_u32 v6, v7, 6, v6
	s_and_b64 s[92:93], vcc, exec
.LBB4_16774:                            ;   in Loop: Header=BB4_16689 Depth=2
	s_or_b64 exec, exec, s[90:91]
	s_and_saveexec_b64 s[26:27], s[92:93]
	s_cbranch_execz .LBB4_16783
.LBB4_16775:                            ;   in Loop: Header=BB4_16689 Depth=2
	s_waitcnt vmcnt(0)
	v_ashrrev_i32_e32 v7, 31, v6
	v_ashrrev_i32_e32 v14, 31, v5
	v_lshrrev_b32_e32 v7, 26, v7
	v_lshrrev_b32_e32 v14, 22, v14
	v_add_u32_e32 v16, v6, v7
	v_add_u32_e32 v14, v5, v14
	v_ashrrev_i32_e32 v7, 6, v16
	v_ashrrev_i32_e32 v15, 10, v14
	v_sub_u32_e32 v14, v15, v7
	v_cmp_lt_i32_e32 vcc, 0, v14
	s_and_saveexec_b64 s[90:91], vcc
	s_cbranch_execz .LBB4_16779
; %bb.16776:                            ;   in Loop: Header=BB4_16689 Depth=2
	buffer_load_dword v37, off, s[0:3], s33 offset:92 ; 4-byte Folded Reload
	buffer_load_dword v38, off, s[0:3], s33 offset:96 ; 4-byte Folded Reload
	v_and_b32_e32 v16, 0xffffffc0, v16
	v_sub_u32_e32 v16, v6, v16
	v_lshlrev_b32_e32 v18, 10, v7
	v_add3_u32 v16, v4, v16, v18
	v_ashrrev_i32_e32 v18, 31, v16
	s_mov_b64 s[92:93], 0
.LBB4_16777:                            ;   Parent Loop BB4_47 Depth=1
                                        ;     Parent Loop BB4_16689 Depth=2
                                        ; =>    This Inner Loop Header: Depth=3
	v_add_co_u32_e32 v19, vcc, v16, v0
	v_addc_co_u32_e32 v20, vcc, v18, v1, vcc
	flat_load_ubyte v21, v[19:20] glc slc
	flat_load_ubyte v22, v[19:20] offset:64 glc slc
	flat_load_ubyte v23, v[19:20] offset:128 glc slc
	;; [unrolled: 1-line block ×15, first 2 shown]
	v_add_co_u32_e32 v19, vcc, v16, v2
	v_addc_co_u32_e32 v20, vcc, v18, v3, vcc
	s_waitcnt vmcnt(0)
	v_add_co_u32_e32 v0, vcc, v0, v38
	v_addc_co_u32_e32 v1, vcc, 0, v1, vcc
	v_add_co_u32_e32 v2, vcc, v2, v38
	v_sub_u32_e32 v14, v14, v37
	v_addc_co_u32_e32 v3, vcc, 0, v3, vcc
	v_cmp_gt_i32_e32 vcc, 1, v14
	s_or_b64 s[92:93], vcc, s[92:93]
	s_waitcnt lgkmcnt(0)
	flat_store_byte v[19:20], v21 glc slc
	flat_store_byte v[19:20], v22 offset:64 glc slc
	flat_store_byte v[19:20], v23 offset:128 glc slc
	;; [unrolled: 1-line block ×15, first 2 shown]
	s_andn2_b64 exec, exec, s[92:93]
	s_cbranch_execnz .LBB4_16777
; %bb.16778:                            ;   in Loop: Header=BB4_16689 Depth=2
	s_or_b64 exec, exec, s[92:93]
.LBB4_16779:                            ;   in Loop: Header=BB4_16689 Depth=2
	s_or_b64 exec, exec, s[90:91]
	v_lshlrev_b32_e32 v0, 10, v15
	buffer_load_dword v15, off, s[0:3], s33 offset:108 ; 4-byte Folded Reload
	v_cmp_ne_u32_e32 vcc, v5, v0
	s_and_b64 s[90:91], exec, vcc
	s_mov_b64 exec, s[90:91]
	s_cbranch_execz .LBB4_16783
; %bb.16780:                            ;   in Loop: Header=BB4_16689 Depth=2
	v_lshlrev_b32_e32 v1, 6, v7
	v_sub_u32_e32 v1, v6, v1
	v_lshlrev_b32_e32 v2, 6, v14
	v_sub_u32_e32 v1, v1, v2
	v_add_u32_e32 v0, v0, v1
	v_sub_u32_e32 v2, v5, v0
	v_cmp_lt_i32_e32 vcc, 0, v2
	s_and_b64 exec, exec, vcc
	s_cbranch_execz .LBB4_16783
; %bb.16781:                            ;   in Loop: Header=BB4_16689 Depth=2
	v_add_u32_e32 v3, v0, v4
	s_trap 2
	ds_read_b64 v[0:1], v0
	v_ashrrev_i32_e32 v4, 31, v3
	s_mov_b64 s[90:91], 0
.LBB4_16782:                            ;   Parent Loop BB4_47 Depth=1
                                        ;     Parent Loop BB4_16689 Depth=2
                                        ; =>    This Inner Loop Header: Depth=3
	s_waitcnt lgkmcnt(0)
	v_add_co_u32_e32 v5, vcc, v0, v3
	v_addc_co_u32_e32 v6, vcc, v1, v4, vcc
	flat_load_ubyte v7, v[5:6] glc slc
	s_waitcnt vmcnt(0)
	v_add_co_u32_e32 v3, vcc, v3, v15
	v_sub_u32_e32 v2, v2, v15
	v_addc_co_u32_e32 v4, vcc, 0, v4, vcc
	v_cmp_gt_i32_e32 vcc, 1, v2
	s_or_b64 s[90:91], vcc, s[90:91]
	s_waitcnt lgkmcnt(0)
	flat_store_byte v[5:6], v7 glc slc
	s_andn2_b64 exec, exec, s[90:91]
	s_cbranch_execnz .LBB4_16782
.LBB4_16783:                            ;   in Loop: Header=BB4_16689 Depth=2
	s_or_b64 exec, exec, s[26:27]
	v_cmp_lt_i32_e64 s[26:27], 0, v13
	s_and_saveexec_b64 s[90:91], s[12:13]
	s_cbranch_execz .LBB4_16760
.LBB4_16784:                            ;   in Loop: Header=BB4_16689 Depth=2
	s_and_saveexec_b64 s[92:93], s[58:59]
	s_xor_b64 s[92:93], exec, s[92:93]
	s_cbranch_execz .LBB4_16799
; %bb.16785:                            ;   in Loop: Header=BB4_16689 Depth=2
	s_and_saveexec_b64 s[94:95], s[6:7]
	s_cbranch_execz .LBB4_16798
; %bb.16786:                            ;   in Loop: Header=BB4_16689 Depth=2
	s_mov_b64 s[34:35], exec
	v_mbcnt_lo_u32_b32 v0, s34, 0
	v_mbcnt_hi_u32_b32 v0, s35, v0
	v_cmp_eq_u32_e32 vcc, 0, v0
	s_waitcnt vmcnt(0) lgkmcnt(0)
	buffer_wbinvl1_vol
	s_and_saveexec_b64 s[30:31], vcc
	s_cbranch_execz .LBB4_16788
; %bb.16787:                            ;   in Loop: Header=BB4_16689 Depth=2
	s_bcnt1_i32_b64 vcc_lo, s[34:35]
	v_mov_b32_e32 v0, vcc_lo
	v_mov_b32_e32 v1, v17
	ds_add_u64 v0, v[0:1]
	s_trap 2
.LBB4_16788:                            ;   in Loop: Header=BB4_16689 Depth=2
	s_or_b64 exec, exec, s[30:31]
	s_trap 2
	ds_read_b64 v[0:1], v0
	s_waitcnt lgkmcnt(0)
	buffer_load_dword v2, off, s[0:3], s33 offset:76 ; 4-byte Folded Reload
	buffer_load_dword v3, off, s[0:3], s33 offset:80 ; 4-byte Folded Reload
	;; [unrolled: 1-line block ×3, first 2 shown]
	s_waitcnt vmcnt(0)
	v_add_co_u32_e32 v2, vcc, v2, v4
	v_addc_co_u32_e32 v3, vcc, 0, v3, vcc
	buffer_store_dword v2, off, s[0:3], s33 offset:76 ; 4-byte Folded Spill
	s_nop 0
	buffer_store_dword v3, off, s[0:3], s33 offset:80 ; 4-byte Folded Spill
	v_cmp_lt_u64_e32 vcc, v[0:1], v[2:3]
	s_and_saveexec_b64 s[30:31], vcc
	s_cbranch_execz .LBB4_16797
; %bb.16789:                            ;   in Loop: Header=BB4_16689 Depth=2
	s_mov_b32 s52, 0
	s_mov_b64 s[34:35], 0
                                        ; implicit-def: $sgpr36_sgpr37
                                        ; implicit-def: $sgpr38_sgpr39
	s_branch .LBB4_16791
.LBB4_16790:                            ;   in Loop: Header=BB4_16791 Depth=3
	s_or_b64 exec, exec, s[50:51]
	s_and_b64 vcc, exec, vcc
	s_or_b64 s[34:35], vcc, s[34:35]
	s_andn2_b64 vcc, s[36:37], exec
	s_and_b64 s[36:37], s[38:39], exec
	s_or_b64 s[36:37], vcc, s[36:37]
	s_andn2_b64 exec, exec, s[34:35]
	s_cbranch_execz .LBB4_16795
.LBB4_16791:                            ;   Parent Loop BB4_47 Depth=1
                                        ;     Parent Loop BB4_16689 Depth=2
                                        ; =>    This Inner Loop Header: Depth=3
	s_add_i32 s52, s52, 1
	s_cmpk_lg_i32 s52, 0x2710
	s_cselect_b64 s[48:49], -1, 0
	s_and_b64 vcc, exec, s[48:49]
	s_cbranch_vccz .LBB4_16793
; %bb.16792:                            ;   in Loop: Header=BB4_16791 Depth=3
	s_mov_b64 vcc, -1
	s_or_b64 s[38:39], s[38:39], exec
	s_and_saveexec_b64 s[50:51], s[48:49]
	s_cbranch_execz .LBB4_16790
	s_branch .LBB4_16794
.LBB4_16793:                            ;   in Loop: Header=BB4_16791 Depth=3
	s_trap 2
	ds_read_b64 v[0:1], v0
	s_andn2_b64 s[48:49], s[48:49], exec
	s_mov_b32 s52, 0
	s_waitcnt vmcnt(0) lgkmcnt(0)
	flat_load_dword v0, v[0:1] glc
	s_waitcnt vmcnt(0) lgkmcnt(0)
	buffer_wbinvl1_vol
	v_cmp_eq_u32_e32 vcc, 0, v0
	s_and_b64 vcc, vcc, exec
	s_or_b64 s[48:49], s[48:49], vcc
	s_mov_b64 vcc, -1
	s_or_b64 s[38:39], s[38:39], exec
	s_and_saveexec_b64 s[50:51], s[48:49]
	s_cbranch_execz .LBB4_16790
.LBB4_16794:                            ;   in Loop: Header=BB4_16791 Depth=3
	s_sleep 1
	s_trap 2
	ds_read_b64 v[0:1], v0
	s_waitcnt lgkmcnt(0)
	buffer_load_dword v2, off, s[0:3], s33 offset:76 ; 4-byte Folded Reload
	buffer_load_dword v3, off, s[0:3], s33 offset:80 ; 4-byte Folded Reload
	s_andn2_b64 s[38:39], s[38:39], exec
	s_waitcnt vmcnt(0)
	v_cmp_ge_u64_e32 vcc, v[0:1], v[2:3]
	s_orn2_b64 vcc, vcc, exec
	s_branch .LBB4_16790
.LBB4_16795:                            ;   in Loop: Header=BB4_16689 Depth=2
	s_or_b64 exec, exec, s[34:35]
	s_and_saveexec_b64 vcc, s[36:37]
	s_xor_b64 vcc, exec, vcc
	s_cbranch_execz .LBB4_16797
; %bb.16796:                            ;   in Loop: Header=BB4_16689 Depth=2
	v_mov_b32_e32 v0, 1
	ds_write_b32 v0, v0
	s_trap 2
.LBB4_16797:                            ;   in Loop: Header=BB4_16689 Depth=2
	s_or_b64 exec, exec, s[30:31]
	;;#ASMSTART
	s_wakeup
	;;#ASMEND
.LBB4_16798:                            ;   in Loop: Header=BB4_16689 Depth=2
	s_or_b64 exec, exec, s[94:95]
.LBB4_16799:                            ;   in Loop: Header=BB4_16689 Depth=2
	s_andn2_saveexec_b64 s[92:93], s[92:93]
	s_cbranch_execz .LBB4_16801
; %bb.16800:                            ;   in Loop: Header=BB4_16689 Depth=2
	s_waitcnt vmcnt(0) lgkmcnt(0)
	buffer_wbinvl1_vol
	s_barrier
.LBB4_16801:                            ;   in Loop: Header=BB4_16689 Depth=2
	s_or_b64 exec, exec, s[92:93]
	s_or_b64 exec, exec, s[90:91]
	s_and_saveexec_b64 s[90:91], s[18:19]
	s_xor_b64 s[90:91], exec, s[90:91]
	s_cbranch_execnz .LBB4_16761
.LBB4_16802:                            ;   in Loop: Header=BB4_16689 Depth=2
	s_andn2_saveexec_b64 s[26:27], s[90:91]
	s_cbranch_execz .LBB4_16821
.LBB4_16803:                            ;   in Loop: Header=BB4_16689 Depth=2
	s_and_saveexec_b64 s[90:91], s[58:59]
	s_xor_b64 s[90:91], exec, s[90:91]
	s_cbranch_execz .LBB4_16818
; %bb.16804:                            ;   in Loop: Header=BB4_16689 Depth=2
	s_and_saveexec_b64 s[92:93], s[6:7]
	s_cbranch_execz .LBB4_16817
; %bb.16805:                            ;   in Loop: Header=BB4_16689 Depth=2
	s_mov_b64 s[30:31], exec
	v_mbcnt_lo_u32_b32 v0, s30, 0
	v_mbcnt_hi_u32_b32 v0, s31, v0
	v_cmp_eq_u32_e32 vcc, 0, v0
	;;#ASMSTART
	s_waitcnt lgkmcnt(0) vmcnt(0)
	;;#ASMEND
	s_and_saveexec_b64 s[94:95], vcc
	s_cbranch_execz .LBB4_16807
; %bb.16806:                            ;   in Loop: Header=BB4_16689 Depth=2
	s_bcnt1_i32_b64 vcc_lo, s[30:31]
	v_mov_b32_e32 v0, vcc_lo
	v_mov_b32_e32 v1, v17
	s_waitcnt lgkmcnt(0)
	ds_add_u64 v0, v[0:1]
	s_trap 2
.LBB4_16807:                            ;   in Loop: Header=BB4_16689 Depth=2
	s_or_b64 exec, exec, s[94:95]
	s_trap 2
	ds_read_b64 v[0:1], v0
	s_waitcnt lgkmcnt(0)
	buffer_load_dword v2, off, s[0:3], s33 offset:76 ; 4-byte Folded Reload
	buffer_load_dword v3, off, s[0:3], s33 offset:80 ; 4-byte Folded Reload
	;; [unrolled: 1-line block ×3, first 2 shown]
	s_waitcnt vmcnt(0)
	v_add_co_u32_e32 v2, vcc, v2, v4
	v_addc_co_u32_e32 v3, vcc, 0, v3, vcc
	buffer_store_dword v2, off, s[0:3], s33 offset:76 ; 4-byte Folded Spill
	s_nop 0
	buffer_store_dword v3, off, s[0:3], s33 offset:80 ; 4-byte Folded Spill
	v_cmp_lt_u64_e32 vcc, v[0:1], v[2:3]
	s_and_saveexec_b64 s[94:95], vcc
	s_cbranch_execz .LBB4_16816
; %bb.16808:                            ;   in Loop: Header=BB4_16689 Depth=2
	s_mov_b32 s50, 0
	s_mov_b64 s[30:31], 0
                                        ; implicit-def: $sgpr34_sgpr35
                                        ; implicit-def: $sgpr36_sgpr37
	s_branch .LBB4_16810
.LBB4_16809:                            ;   in Loop: Header=BB4_16810 Depth=3
	s_or_b64 exec, exec, s[48:49]
	s_and_b64 vcc, exec, vcc
	s_or_b64 s[30:31], vcc, s[30:31]
	s_andn2_b64 vcc, s[34:35], exec
	s_and_b64 s[34:35], s[36:37], exec
	s_or_b64 s[34:35], vcc, s[34:35]
	s_andn2_b64 exec, exec, s[30:31]
	s_cbranch_execz .LBB4_16814
.LBB4_16810:                            ;   Parent Loop BB4_47 Depth=1
                                        ;     Parent Loop BB4_16689 Depth=2
                                        ; =>    This Inner Loop Header: Depth=3
	s_add_i32 s50, s50, 1
	s_cmpk_lg_i32 s50, 0x2710
	s_cselect_b64 s[38:39], -1, 0
	s_and_b64 vcc, exec, s[38:39]
	s_cbranch_vccz .LBB4_16812
; %bb.16811:                            ;   in Loop: Header=BB4_16810 Depth=3
	s_mov_b64 vcc, -1
	s_or_b64 s[36:37], s[36:37], exec
	s_and_saveexec_b64 s[48:49], s[38:39]
	s_cbranch_execz .LBB4_16809
	s_branch .LBB4_16813
.LBB4_16812:                            ;   in Loop: Header=BB4_16810 Depth=3
	s_trap 2
	ds_read_b64 v[0:1], v0
	s_andn2_b64 s[38:39], s[38:39], exec
	s_mov_b32 s50, 0
	s_waitcnt vmcnt(0) lgkmcnt(0)
	flat_load_dword v0, v[0:1] glc
	s_waitcnt vmcnt(0) lgkmcnt(0)
	buffer_wbinvl1_vol
	v_cmp_eq_u32_e32 vcc, 0, v0
	s_and_b64 vcc, vcc, exec
	s_or_b64 s[38:39], s[38:39], vcc
	s_mov_b64 vcc, -1
	s_or_b64 s[36:37], s[36:37], exec
	s_and_saveexec_b64 s[48:49], s[38:39]
	s_cbranch_execz .LBB4_16809
.LBB4_16813:                            ;   in Loop: Header=BB4_16810 Depth=3
	s_sleep 1
	s_trap 2
	ds_read_b64 v[0:1], v0
	s_waitcnt lgkmcnt(0)
	buffer_load_dword v2, off, s[0:3], s33 offset:76 ; 4-byte Folded Reload
	buffer_load_dword v3, off, s[0:3], s33 offset:80 ; 4-byte Folded Reload
	s_andn2_b64 s[36:37], s[36:37], exec
	s_waitcnt vmcnt(0)
	v_cmp_ge_u64_e32 vcc, v[0:1], v[2:3]
	s_orn2_b64 vcc, vcc, exec
	s_branch .LBB4_16809
.LBB4_16814:                            ;   in Loop: Header=BB4_16689 Depth=2
	s_or_b64 exec, exec, s[30:31]
	s_and_saveexec_b64 vcc, s[34:35]
	s_xor_b64 vcc, exec, vcc
	s_cbranch_execz .LBB4_16816
; %bb.16815:                            ;   in Loop: Header=BB4_16689 Depth=2
	v_mov_b32_e32 v0, 1
	ds_write_b32 v0, v0
	s_trap 2
.LBB4_16816:                            ;   in Loop: Header=BB4_16689 Depth=2
	s_or_b64 exec, exec, s[94:95]
	;;#ASMSTART
	s_wakeup
	;;#ASMEND
.LBB4_16817:                            ;   in Loop: Header=BB4_16689 Depth=2
	s_or_b64 exec, exec, s[92:93]
.LBB4_16818:                            ;   in Loop: Header=BB4_16689 Depth=2
	s_andn2_saveexec_b64 s[90:91], s[90:91]
	s_cbranch_execz .LBB4_16820
; %bb.16819:                            ;   in Loop: Header=BB4_16689 Depth=2
	;;#ASMSTART
	s_waitcnt lgkmcnt(0) vmcnt(0)
	;;#ASMEND
	s_waitcnt vmcnt(0) lgkmcnt(0)
	s_barrier
.LBB4_16820:                            ;   in Loop: Header=BB4_16689 Depth=2
	s_or_b64 exec, exec, s[90:91]
.LBB4_16821:                            ;   in Loop: Header=BB4_16689 Depth=2
	s_or_b64 exec, exec, s[26:27]
	buffer_load_dword v0, off, s[0:3], s33 offset:72 ; 4-byte Folded Reload
	s_waitcnt vmcnt(0)
	v_and_b32_e32 v0, 32, v0
	v_cmp_ne_u32_e32 vcc, 0, v0
	s_and_saveexec_b64 s[26:27], vcc
	s_cbranch_execz .LBB4_16688
; %bb.16822:                            ;   in Loop: Header=BB4_16689 Depth=2
	buffer_load_dword v2, off, s[0:3], s33 offset:84 ; 4-byte Folded Reload
	buffer_load_dword v3, off, s[0:3], s33 offset:88 ; 4-byte Folded Reload
	;; [unrolled: 1-line block ×4, first 2 shown]
	s_waitcnt vmcnt(0)
	v_add_co_u32_e32 v2, vcc, 2, v2
	v_addc_co_u32_e32 v3, vcc, 0, v3, vcc
	buffer_store_dword v2, off, s[0:3], s33 offset:84 ; 4-byte Folded Spill
	s_nop 0
	buffer_store_dword v3, off, s[0:3], s33 offset:88 ; 4-byte Folded Spill
	flat_store_dwordx2 v[0:1], v[2:3]
	s_branch .LBB4_16688
.LBB4_16823:                            ;   in Loop: Header=BB4_47 Depth=1
	s_or_b64 exec, exec, s[40:41]
.LBB4_16824:                            ;   in Loop: Header=BB4_47 Depth=1
	s_or_b64 exec, exec, s[28:29]
	v_cmp_gt_i32_e32 vcc, 2, v2
	s_and_saveexec_b64 s[28:29], vcc
	s_cbranch_execnz .LBB4_16825
; %bb.16959:                            ;   in Loop: Header=BB4_47 Depth=1
	s_getpc_b64 s[98:99]
.Lpost_getpc25:
	s_add_u32 s98, s98, (.LBB4_46-.Lpost_getpc25)&4294967295
	s_addc_u32 s99, s99, (.LBB4_46-.Lpost_getpc25)>>32
	s_setpc_b64 s[98:99]
.LBB4_16825:                            ;   in Loop: Header=BB4_47 Depth=1
	v_cmp_eq_u32_e64 s[42:43], 0, v2
	s_mov_b64 s[40:41], 0
	s_branch .LBB4_16827
.LBB4_16826:                            ;   in Loop: Header=BB4_16827 Depth=2
	s_or_b64 exec, exec, s[26:27]
	v_add_u32_e32 v10, v9, v10
	s_mov_b64 s[42:43], 0
	s_andn2_b64 exec, exec, s[40:41]
	s_cbranch_execnz .LBB4_16827
; %bb.16961:                            ;   in Loop: Header=BB4_47 Depth=1
	s_getpc_b64 s[98:99]
.Lpost_getpc26:
	s_add_u32 s98, s98, (.LBB4_45-.Lpost_getpc26)&4294967295
	s_addc_u32 s99, s99, (.LBB4_45-.Lpost_getpc26)>>32
	s_setpc_b64 s[98:99]
.LBB4_16827:                            ;   Parent Loop BB4_47 Depth=1
                                        ; =>  This Loop Header: Depth=2
                                        ;       Child Loop BB4_16833 Depth 3
                                        ;       Child Loop BB4_16857 Depth 3
	;; [unrolled: 1-line block ×3, first 2 shown]
	buffer_load_dword v0, off, s[0:3], s33 offset:72 ; 4-byte Folded Reload
	s_waitcnt vmcnt(0)
	v_and_b32_e32 v0, 4, v0
	v_cmp_ne_u32_e32 vcc, 0, v0
	s_and_saveexec_b64 s[90:91], vcc
	s_cbranch_execz .LBB4_16849
; %bb.16828:                            ;   in Loop: Header=BB4_16827 Depth=2
	buffer_load_dword v0, off, s[0:3], s33 offset:84 ; 4-byte Folded Reload
	buffer_load_dword v1, off, s[0:3], s33 offset:88 ; 4-byte Folded Reload
	;; [unrolled: 1-line block ×4, first 2 shown]
	s_waitcnt vmcnt(0)
	v_add_co_u32_e32 v0, vcc, 2, v0
	v_addc_co_u32_e32 v1, vcc, 0, v1, vcc
	v_cmp_lt_u64_e32 vcc, v[2:3], v[0:1]
	s_and_saveexec_b64 s[92:93], vcc
	s_cbranch_execz .LBB4_16840
; %bb.16829:                            ;   in Loop: Header=BB4_16827 Depth=2
	buffer_load_dword v2, off, s[0:3], s33 offset:72 ; 4-byte Folded Reload
	s_mov_b32 s8, 0
	s_mov_b64 s[94:95], 0
                                        ; implicit-def: $sgpr30_sgpr31
                                        ; implicit-def: $sgpr34_sgpr35
                                        ; implicit-def: $sgpr36_sgpr37
	s_waitcnt vmcnt(0)
	v_and_b32_e32 v2, 64, v2
	v_cmp_eq_u32_e32 vcc, 0, v2
	s_branch .LBB4_16833
.LBB4_16830:                            ;   in Loop: Header=BB4_16833 Depth=3
	buffer_load_dword v3, off, s[0:3], s33 offset:56 ; 4-byte Folded Reload
	buffer_load_dword v4, off, s[0:3], s33 offset:60 ; 4-byte Folded Reload
	s_or_b64 s[50:51], s[50:51], exec
	s_waitcnt vmcnt(0)
	v_cmp_ge_u64_e64 s[26:27], v[3:4], v[0:1]
	s_orn2_b64 s[48:49], s[26:27], exec
.LBB4_16831:                            ;   in Loop: Header=BB4_16833 Depth=3
	s_or_b64 exec, exec, s[54:55]
	s_andn2_b64 s[26:27], s[36:37], exec
	s_and_b64 s[36:37], s[50:51], exec
	s_or_b64 s[36:37], s[26:27], s[36:37]
	s_andn2_b64 s[26:27], s[34:35], exec
	s_and_b64 s[34:35], s[48:49], exec
	s_or_b64 s[34:35], s[26:27], s[34:35]
.LBB4_16832:                            ;   in Loop: Header=BB4_16833 Depth=3
	s_or_b64 exec, exec, s[38:39]
	s_and_b64 s[26:27], exec, s[34:35]
	s_or_b64 s[94:95], s[26:27], s[94:95]
	s_andn2_b64 s[26:27], s[30:31], exec
	s_and_b64 s[30:31], s[36:37], exec
	s_or_b64 s[30:31], s[26:27], s[30:31]
	s_andn2_b64 exec, exec, s[94:95]
	s_cbranch_execz .LBB4_16837
.LBB4_16833:                            ;   Parent Loop BB4_47 Depth=1
                                        ;     Parent Loop BB4_16827 Depth=2
                                        ; =>    This Inner Loop Header: Depth=3
	s_sleep 1
	buffer_load_dword v2, off, s[0:3], s33 offset:64 ; 4-byte Folded Reload
	buffer_load_dword v3, off, s[0:3], s33 offset:68 ; 4-byte Folded Reload
	s_or_b64 s[36:37], s[36:37], exec
	s_or_b64 s[34:35], s[34:35], exec
	s_waitcnt vmcnt(0)
	flat_load_dwordx2 v[2:3], v[2:3] glc
	s_waitcnt vmcnt(0) lgkmcnt(0)
	buffer_store_dword v2, off, s[0:3], s33 offset:56 ; 4-byte Folded Spill
	s_nop 0
	buffer_store_dword v3, off, s[0:3], s33 offset:60 ; 4-byte Folded Spill
                                        ; implicit-def: $vgpr2
	s_and_saveexec_b64 s[38:39], vcc
	s_cbranch_execz .LBB4_16832
; %bb.16834:                            ;   in Loop: Header=BB4_16833 Depth=3
	s_cmpk_lt_i32 s8, 0x270f
	s_cselect_b64 s[52:53], -1, 0
	s_cmpk_gt_i32 s8, 0x270e
	s_mov_b64 s[48:49], -1
	s_cbranch_scc0 .LBB4_16836
; %bb.16835:                            ;   in Loop: Header=BB4_16833 Depth=3
	s_trap 2
	ds_read_b64 v[2:3], v0
	s_andn2_b64 s[52:53], s[52:53], exec
	s_mov_b32 s8, 0
	s_mov_b64 s[50:51], 0
	s_waitcnt vmcnt(0) lgkmcnt(0)
	flat_load_dword v2, v[2:3] glc
	s_waitcnt vmcnt(0) lgkmcnt(0)
	buffer_wbinvl1_vol
	v_cmp_eq_u32_e64 s[26:27], 0, v2
	s_and_b64 s[26:27], s[26:27], exec
	s_or_b64 s[52:53], s[52:53], s[26:27]
	s_and_saveexec_b64 s[54:55], s[52:53]
	s_cbranch_execz .LBB4_16831
	s_branch .LBB4_16830
.LBB4_16836:                            ;   in Loop: Header=BB4_16833 Depth=3
	s_add_i32 s8, s8, 1
	s_mov_b64 s[50:51], -1
                                        ; implicit-def: $vgpr2
	s_and_saveexec_b64 s[54:55], s[52:53]
	s_cbranch_execz .LBB4_16831
	s_branch .LBB4_16830
.LBB4_16837:                            ;   in Loop: Header=BB4_16827 Depth=2
	s_or_b64 exec, exec, s[94:95]
	s_xor_b64 s[26:27], s[30:31], -1
	s_and_saveexec_b64 s[94:95], s[26:27]
	s_xor_b64 s[26:27], exec, s[94:95]
	s_cbranch_execz .LBB4_16839
; %bb.16838:                            ;   in Loop: Header=BB4_16827 Depth=2
	ds_write_b32 v0, v2
	s_trap 2
	buffer_load_dword v2, off, s[0:3], s33 offset:72 ; 4-byte Folded Reload
	s_waitcnt vmcnt(0)
	v_or_b32_e32 v2, 64, v2
	buffer_store_dword v2, off, s[0:3], s33 offset:72 ; 4-byte Folded Spill
.LBB4_16839:                            ;   in Loop: Header=BB4_16827 Depth=2
	s_or_b64 exec, exec, s[26:27]
.LBB4_16840:                            ;   in Loop: Header=BB4_16827 Depth=2
	s_or_b64 exec, exec, s[92:93]
	;;#ASMSTART
	s_wakeup
	;;#ASMEND
	buffer_load_dword v2, off, s[0:3], s33 offset:72 ; 4-byte Folded Reload
	s_mov_b64 s[26:27], -1
	s_waitcnt vmcnt(0)
	v_and_b32_e32 v2, 0x100, v2
	v_cmp_ne_u32_e32 vcc, 0, v2
	buffer_load_dword v2, off, s[0:3], s33 offset:84 ; 4-byte Folded Reload
	buffer_load_dword v3, off, s[0:3], s33 offset:88 ; 4-byte Folded Reload
	s_waitcnt vmcnt(0)
	v_and_b32_e32 v6, 7, v2
                                        ; implicit-def: $vgpr2_vgpr3
	s_and_saveexec_b64 s[92:93], vcc
	s_cbranch_execz .LBB4_16844
; %bb.16841:                            ;   in Loop: Header=BB4_16827 Depth=2
	buffer_load_dword v2, off, s[0:3], s33 offset:124 ; 4-byte Folded Reload
	buffer_load_dword v3, off, s[0:3], s33 offset:128 ; 4-byte Folded Reload
	;; [unrolled: 1-line block ×4, first 2 shown]
	s_waitcnt vmcnt(0)
	v_mad_u64_u32 v[4:5], s[26:27], v6, 24, v[2:3]
	flat_load_dword v2, v[4:5]
	s_waitcnt vmcnt(0) lgkmcnt(0)
	v_cmp_ne_u32_e32 vcc, 1, v2
	v_cmp_eq_u32_e64 s[26:27], 1, v2
                                        ; implicit-def: $vgpr2_vgpr3
	s_and_saveexec_b64 s[94:95], s[26:27]
	s_cbranch_execz .LBB4_16843
; %bb.16842:                            ;   in Loop: Header=BB4_16827 Depth=2
	flat_load_dword v2, v[4:5] offset:4 glc
	s_waitcnt vmcnt(0) lgkmcnt(0)
	v_ashrrev_i32_e32 v3, 31, v2
.LBB4_16843:                            ;   in Loop: Header=BB4_16827 Depth=2
	s_or_b64 exec, exec, s[94:95]
	s_orn2_b64 s[26:27], vcc, exec
.LBB4_16844:                            ;   in Loop: Header=BB4_16827 Depth=2
	s_or_b64 exec, exec, s[92:93]
	s_and_saveexec_b64 s[92:93], s[26:27]
	s_cbranch_execz .LBB4_16846
; %bb.16845:                            ;   in Loop: Header=BB4_16827 Depth=2
	buffer_load_dword v2, off, s[0:3], s33 offset:152 ; 4-byte Folded Reload
	s_waitcnt vmcnt(0)
	v_mad_i64_i32 v[2:3], s[26:27], v6, v2, 0
.LBB4_16846:                            ;   in Loop: Header=BB4_16827 Depth=2
	s_or_b64 exec, exec, s[92:93]
	buffer_load_dword v4, off, s[0:3], s33 offset:116 ; 4-byte Folded Reload
	buffer_load_dword v5, off, s[0:3], s33 offset:120 ; 4-byte Folded Reload
	s_waitcnt vmcnt(0)
	v_add_co_u32_e32 v2, vcc, v4, v2
	v_addc_co_u32_e32 v3, vcc, v5, v3, vcc
	ds_write_b64 v0, v[2:3] offset:720
	buffer_load_dword v2, off, s[0:3], s33 offset:72 ; 4-byte Folded Reload
	s_waitcnt vmcnt(0)
	v_and_b32_e32 v2, 0x2000, v2
	v_cmp_ne_u32_e32 vcc, 0, v2
	s_and_saveexec_b64 s[26:27], vcc
	s_cbranch_execz .LBB4_16848
; %bb.16847:                            ;   in Loop: Header=BB4_16827 Depth=2
	ds_read_b64 v[2:3], v0 offset:872
	s_waitcnt lgkmcnt(0)
	v_add_co_u32_e32 v2, vcc, 1, v2
	v_addc_co_u32_e32 v3, vcc, 0, v3, vcc
	ds_write_b64 v0, v[2:3] offset:872
.LBB4_16848:                            ;   in Loop: Header=BB4_16827 Depth=2
	s_or_b64 exec, exec, s[26:27]
	buffer_store_dword v0, off, s[0:3], s33 offset:84 ; 4-byte Folded Spill
	s_nop 0
	buffer_store_dword v1, off, s[0:3], s33 offset:88 ; 4-byte Folded Spill
.LBB4_16849:                            ;   in Loop: Header=BB4_16827 Depth=2
	s_or_b64 exec, exec, s[90:91]
	s_xor_b64 s[26:27], s[42:43], -1
	s_and_b64 s[26:27], exec, s[26:27]
	s_or_b64 s[40:41], s[26:27], s[40:41]
	s_and_saveexec_b64 s[26:27], s[12:13]
	s_cbranch_execz .LBB4_16868
; %bb.16850:                            ;   in Loop: Header=BB4_16827 Depth=2
	s_and_saveexec_b64 s[42:43], s[58:59]
	s_xor_b64 s[42:43], exec, s[42:43]
	s_cbranch_execz .LBB4_16865
; %bb.16851:                            ;   in Loop: Header=BB4_16827 Depth=2
	s_and_saveexec_b64 s[90:91], s[6:7]
	s_cbranch_execz .LBB4_16864
; %bb.16852:                            ;   in Loop: Header=BB4_16827 Depth=2
	s_mov_b64 s[94:95], exec
	v_mbcnt_lo_u32_b32 v0, s94, 0
	v_mbcnt_hi_u32_b32 v0, s95, v0
	v_cmp_eq_u32_e32 vcc, 0, v0
	s_waitcnt vmcnt(0) lgkmcnt(0)
	buffer_wbinvl1_vol
	s_and_saveexec_b64 s[92:93], vcc
	s_cbranch_execz .LBB4_16854
; %bb.16853:                            ;   in Loop: Header=BB4_16827 Depth=2
	s_bcnt1_i32_b64 s8, s[94:95]
	v_mov_b32_e32 v0, s8
	v_mov_b32_e32 v1, v17
	ds_add_u64 v0, v[0:1]
	s_trap 2
.LBB4_16854:                            ;   in Loop: Header=BB4_16827 Depth=2
	s_or_b64 exec, exec, s[92:93]
	s_trap 2
	ds_read_b64 v[0:1], v0
	s_waitcnt lgkmcnt(0)
	buffer_load_dword v2, off, s[0:3], s33 offset:76 ; 4-byte Folded Reload
	buffer_load_dword v3, off, s[0:3], s33 offset:80 ; 4-byte Folded Reload
	buffer_load_dword v4, off, s[0:3], s33 offset:92 ; 4-byte Folded Reload
	s_waitcnt vmcnt(0)
	v_add_co_u32_e32 v2, vcc, v2, v4
	v_addc_co_u32_e32 v3, vcc, 0, v3, vcc
	buffer_store_dword v2, off, s[0:3], s33 offset:76 ; 4-byte Folded Spill
	s_nop 0
	buffer_store_dword v3, off, s[0:3], s33 offset:80 ; 4-byte Folded Spill
	v_cmp_lt_u64_e32 vcc, v[0:1], v[2:3]
	s_and_saveexec_b64 s[92:93], vcc
	s_cbranch_execz .LBB4_16863
; %bb.16855:                            ;   in Loop: Header=BB4_16827 Depth=2
	s_mov_b32 s8, 0
	s_mov_b64 s[94:95], 0
                                        ; implicit-def: $sgpr30_sgpr31
                                        ; implicit-def: $sgpr34_sgpr35
	s_branch .LBB4_16857
.LBB4_16856:                            ;   in Loop: Header=BB4_16857 Depth=3
	s_or_b64 exec, exec, s[38:39]
	s_and_b64 vcc, exec, vcc
	s_or_b64 s[94:95], vcc, s[94:95]
	s_andn2_b64 vcc, s[30:31], exec
	s_and_b64 s[30:31], s[34:35], exec
	s_or_b64 s[30:31], vcc, s[30:31]
	s_andn2_b64 exec, exec, s[94:95]
	s_cbranch_execz .LBB4_16861
.LBB4_16857:                            ;   Parent Loop BB4_47 Depth=1
                                        ;     Parent Loop BB4_16827 Depth=2
                                        ; =>    This Inner Loop Header: Depth=3
	s_add_i32 s8, s8, 1
	s_cmpk_lg_i32 s8, 0x2710
	s_cselect_b64 s[36:37], -1, 0
	s_and_b64 vcc, exec, s[36:37]
	s_cbranch_vccz .LBB4_16859
; %bb.16858:                            ;   in Loop: Header=BB4_16857 Depth=3
	s_mov_b64 vcc, -1
	s_or_b64 s[34:35], s[34:35], exec
	s_and_saveexec_b64 s[38:39], s[36:37]
	s_cbranch_execz .LBB4_16856
	s_branch .LBB4_16860
.LBB4_16859:                            ;   in Loop: Header=BB4_16857 Depth=3
	s_trap 2
	ds_read_b64 v[0:1], v0
	s_andn2_b64 s[36:37], s[36:37], exec
	s_mov_b32 s8, 0
	s_waitcnt vmcnt(0) lgkmcnt(0)
	flat_load_dword v0, v[0:1] glc
	s_waitcnt vmcnt(0) lgkmcnt(0)
	buffer_wbinvl1_vol
	v_cmp_eq_u32_e32 vcc, 0, v0
	s_and_b64 vcc, vcc, exec
	s_or_b64 s[36:37], s[36:37], vcc
	s_mov_b64 vcc, -1
	s_or_b64 s[34:35], s[34:35], exec
	s_and_saveexec_b64 s[38:39], s[36:37]
	s_cbranch_execz .LBB4_16856
.LBB4_16860:                            ;   in Loop: Header=BB4_16857 Depth=3
	s_sleep 1
	s_trap 2
	ds_read_b64 v[0:1], v0
	s_waitcnt lgkmcnt(0)
	buffer_load_dword v2, off, s[0:3], s33 offset:76 ; 4-byte Folded Reload
	buffer_load_dword v3, off, s[0:3], s33 offset:80 ; 4-byte Folded Reload
	s_andn2_b64 s[34:35], s[34:35], exec
	s_waitcnt vmcnt(0)
	v_cmp_ge_u64_e32 vcc, v[0:1], v[2:3]
	s_orn2_b64 vcc, vcc, exec
	s_branch .LBB4_16856
.LBB4_16861:                            ;   in Loop: Header=BB4_16827 Depth=2
	s_or_b64 exec, exec, s[94:95]
	s_and_saveexec_b64 s[94:95], s[30:31]
	s_xor_b64 s[94:95], exec, s[94:95]
	s_cbranch_execz .LBB4_16863
; %bb.16862:                            ;   in Loop: Header=BB4_16827 Depth=2
	v_mov_b32_e32 v0, 1
	ds_write_b32 v0, v0
	s_trap 2
.LBB4_16863:                            ;   in Loop: Header=BB4_16827 Depth=2
	s_or_b64 exec, exec, s[92:93]
	;;#ASMSTART
	s_wakeup
	;;#ASMEND
.LBB4_16864:                            ;   in Loop: Header=BB4_16827 Depth=2
	s_or_b64 exec, exec, s[90:91]
.LBB4_16865:                            ;   in Loop: Header=BB4_16827 Depth=2
	s_andn2_saveexec_b64 s[42:43], s[42:43]
	s_cbranch_execz .LBB4_16867
; %bb.16866:                            ;   in Loop: Header=BB4_16827 Depth=2
	s_waitcnt vmcnt(0) lgkmcnt(0)
	buffer_wbinvl1_vol
	s_barrier
.LBB4_16867:                            ;   in Loop: Header=BB4_16827 Depth=2
	s_or_b64 exec, exec, s[42:43]
.LBB4_16868:                            ;   in Loop: Header=BB4_16827 Depth=2
	s_or_b64 exec, exec, s[26:27]
	v_sub_u32_e32 v0, v8, v10
	v_min_i32_e32 v9, v9, v0
	s_and_saveexec_b64 s[26:27], s[18:19]
	s_xor_b64 s[26:27], exec, s[26:27]
	s_cbranch_execz .LBB4_16872
; %bb.16869:                            ;   in Loop: Header=BB4_16827 Depth=2
	s_trap 2
	ds_read_b32 v0, v0
	v_cmp_lt_i32_e32 vcc, 0, v9
	s_waitcnt lgkmcnt(0)
	v_readfirstlane_b32 s8, v0
	buffer_load_dword v0, off, s[0:3], s33 offset:72 ; 4-byte Folded Reload
	s_cmp_eq_u32 s8, 0
	s_cselect_b64 s[42:43], -1, 0
	s_and_b64 s[42:43], vcc, s[42:43]
	s_waitcnt vmcnt(0)
	v_and_b32_e32 v0, 16, v0
	v_cmp_ne_u32_e32 vcc, 0, v0
	s_and_b64 s[90:91], vcc, s[42:43]
	s_and_saveexec_b64 s[42:43], s[90:91]
	s_cbranch_execz .LBB4_16871
; %bb.16870:                            ;   in Loop: Header=BB4_16827 Depth=2
	buffer_wbinvl1_vol
.LBB4_16871:                            ;   in Loop: Header=BB4_16827 Depth=2
	s_or_b64 exec, exec, s[42:43]
.LBB4_16872:                            ;   in Loop: Header=BB4_16827 Depth=2
	s_andn2_saveexec_b64 s[26:27], s[26:27]
	s_cbranch_execz .LBB4_16891
; %bb.16873:                            ;   in Loop: Header=BB4_16827 Depth=2
	s_and_saveexec_b64 s[42:43], s[58:59]
	s_xor_b64 s[42:43], exec, s[42:43]
	s_cbranch_execz .LBB4_16888
; %bb.16874:                            ;   in Loop: Header=BB4_16827 Depth=2
	s_and_saveexec_b64 s[90:91], s[6:7]
	s_cbranch_execz .LBB4_16887
; %bb.16875:                            ;   in Loop: Header=BB4_16827 Depth=2
	s_mov_b64 s[94:95], exec
	v_mbcnt_lo_u32_b32 v0, s94, 0
	v_mbcnt_hi_u32_b32 v0, s95, v0
	v_cmp_eq_u32_e32 vcc, 0, v0
	;;#ASMSTART
	s_waitcnt lgkmcnt(0) vmcnt(0)
	;;#ASMEND
	s_and_saveexec_b64 s[92:93], vcc
	s_cbranch_execz .LBB4_16877
; %bb.16876:                            ;   in Loop: Header=BB4_16827 Depth=2
	s_bcnt1_i32_b64 s8, s[94:95]
	v_mov_b32_e32 v0, s8
	v_mov_b32_e32 v1, v17
	s_waitcnt lgkmcnt(0)
	ds_add_u64 v0, v[0:1]
	s_trap 2
.LBB4_16877:                            ;   in Loop: Header=BB4_16827 Depth=2
	s_or_b64 exec, exec, s[92:93]
	s_trap 2
	ds_read_b64 v[0:1], v0
	s_waitcnt lgkmcnt(0)
	buffer_load_dword v2, off, s[0:3], s33 offset:76 ; 4-byte Folded Reload
	buffer_load_dword v3, off, s[0:3], s33 offset:80 ; 4-byte Folded Reload
	;; [unrolled: 1-line block ×3, first 2 shown]
	s_waitcnt vmcnt(0)
	v_add_co_u32_e32 v2, vcc, v2, v4
	v_addc_co_u32_e32 v3, vcc, 0, v3, vcc
	buffer_store_dword v2, off, s[0:3], s33 offset:76 ; 4-byte Folded Spill
	s_nop 0
	buffer_store_dword v3, off, s[0:3], s33 offset:80 ; 4-byte Folded Spill
	v_cmp_lt_u64_e32 vcc, v[0:1], v[2:3]
	s_and_saveexec_b64 s[92:93], vcc
	s_cbranch_execz .LBB4_16886
; %bb.16878:                            ;   in Loop: Header=BB4_16827 Depth=2
	s_mov_b32 s8, 0
	s_mov_b64 s[94:95], 0
                                        ; implicit-def: $sgpr30_sgpr31
                                        ; implicit-def: $sgpr34_sgpr35
	s_branch .LBB4_16880
.LBB4_16879:                            ;   in Loop: Header=BB4_16880 Depth=3
	s_or_b64 exec, exec, s[38:39]
	s_and_b64 vcc, exec, vcc
	s_or_b64 s[94:95], vcc, s[94:95]
	s_andn2_b64 vcc, s[30:31], exec
	s_and_b64 s[30:31], s[34:35], exec
	s_or_b64 s[30:31], vcc, s[30:31]
	s_andn2_b64 exec, exec, s[94:95]
	s_cbranch_execz .LBB4_16884
.LBB4_16880:                            ;   Parent Loop BB4_47 Depth=1
                                        ;     Parent Loop BB4_16827 Depth=2
                                        ; =>    This Inner Loop Header: Depth=3
	s_add_i32 s8, s8, 1
	s_cmpk_lg_i32 s8, 0x2710
	s_cselect_b64 s[36:37], -1, 0
	s_and_b64 vcc, exec, s[36:37]
	s_cbranch_vccz .LBB4_16882
; %bb.16881:                            ;   in Loop: Header=BB4_16880 Depth=3
	s_mov_b64 vcc, -1
	s_or_b64 s[34:35], s[34:35], exec
	s_and_saveexec_b64 s[38:39], s[36:37]
	s_cbranch_execz .LBB4_16879
	s_branch .LBB4_16883
.LBB4_16882:                            ;   in Loop: Header=BB4_16880 Depth=3
	s_trap 2
	ds_read_b64 v[0:1], v0
	s_andn2_b64 s[36:37], s[36:37], exec
	s_mov_b32 s8, 0
	s_waitcnt vmcnt(0) lgkmcnt(0)
	flat_load_dword v0, v[0:1] glc
	s_waitcnt vmcnt(0) lgkmcnt(0)
	buffer_wbinvl1_vol
	v_cmp_eq_u32_e32 vcc, 0, v0
	s_and_b64 vcc, vcc, exec
	s_or_b64 s[36:37], s[36:37], vcc
	s_mov_b64 vcc, -1
	s_or_b64 s[34:35], s[34:35], exec
	s_and_saveexec_b64 s[38:39], s[36:37]
	s_cbranch_execz .LBB4_16879
.LBB4_16883:                            ;   in Loop: Header=BB4_16880 Depth=3
	s_sleep 1
	s_trap 2
	ds_read_b64 v[0:1], v0
	s_waitcnt lgkmcnt(0)
	buffer_load_dword v2, off, s[0:3], s33 offset:76 ; 4-byte Folded Reload
	buffer_load_dword v3, off, s[0:3], s33 offset:80 ; 4-byte Folded Reload
	s_andn2_b64 s[34:35], s[34:35], exec
	s_waitcnt vmcnt(0)
	v_cmp_ge_u64_e32 vcc, v[0:1], v[2:3]
	s_orn2_b64 vcc, vcc, exec
	s_branch .LBB4_16879
.LBB4_16884:                            ;   in Loop: Header=BB4_16827 Depth=2
	s_or_b64 exec, exec, s[94:95]
	s_and_saveexec_b64 s[94:95], s[30:31]
	s_xor_b64 s[94:95], exec, s[94:95]
	s_cbranch_execz .LBB4_16886
; %bb.16885:                            ;   in Loop: Header=BB4_16827 Depth=2
	v_mov_b32_e32 v0, 1
	ds_write_b32 v0, v0
	s_trap 2
.LBB4_16886:                            ;   in Loop: Header=BB4_16827 Depth=2
	s_or_b64 exec, exec, s[92:93]
	;;#ASMSTART
	s_wakeup
	;;#ASMEND
.LBB4_16887:                            ;   in Loop: Header=BB4_16827 Depth=2
	s_or_b64 exec, exec, s[90:91]
.LBB4_16888:                            ;   in Loop: Header=BB4_16827 Depth=2
	s_andn2_saveexec_b64 s[42:43], s[42:43]
	s_cbranch_execz .LBB4_16890
; %bb.16889:                            ;   in Loop: Header=BB4_16827 Depth=2
	;;#ASMSTART
	s_waitcnt lgkmcnt(0) vmcnt(0)
	;;#ASMEND
	s_waitcnt vmcnt(0) lgkmcnt(0)
	s_barrier
.LBB4_16890:                            ;   in Loop: Header=BB4_16827 Depth=2
	s_or_b64 exec, exec, s[42:43]
.LBB4_16891:                            ;   in Loop: Header=BB4_16827 Depth=2
	s_or_b64 exec, exec, s[26:27]
	buffer_load_dword v0, off, s[0:3], s33 offset:72 ; 4-byte Folded Reload
	s_waitcnt vmcnt(0)
	v_and_b32_e32 v0, 32, v0
	v_cmp_ne_u32_e32 vcc, 0, v0
	s_and_saveexec_b64 s[26:27], vcc
	s_cbranch_execz .LBB4_16826
; %bb.16892:                            ;   in Loop: Header=BB4_16827 Depth=2
	buffer_load_dword v2, off, s[0:3], s33 offset:84 ; 4-byte Folded Reload
	buffer_load_dword v3, off, s[0:3], s33 offset:88 ; 4-byte Folded Reload
	;; [unrolled: 1-line block ×4, first 2 shown]
	s_waitcnt vmcnt(0)
	v_add_co_u32_e32 v2, vcc, 2, v2
	v_addc_co_u32_e32 v3, vcc, 0, v3, vcc
	buffer_store_dword v2, off, s[0:3], s33 offset:84 ; 4-byte Folded Spill
	s_nop 0
	buffer_store_dword v3, off, s[0:3], s33 offset:88 ; 4-byte Folded Spill
	flat_store_dwordx2 v[0:1], v[2:3]
	s_branch .LBB4_16826
.LBB4_16893:
	s_or_b64 exec, exec, s[60:61]
	buffer_load_dword v1, off, s[0:3], s33 offset:440 ; 4-byte Folded Reload
	buffer_load_dword v31, off, s[0:3], s33 offset:444 ; 4-byte Folded Reload
	;; [unrolled: 1-line block ×3, first 2 shown]
	v_readlane_b32 s28, v62, 4
	v_readlane_b32 s29, v62, 5
.LBB4_16894:
	v_readlane_b32 s4, v62, 2
	v_readlane_b32 s5, v62, 3
	s_or_b64 exec, exec, s[4:5]
	buffer_load_dword v2, off, s[0:3], s33 offset:72 ; 4-byte Folded Reload
	s_waitcnt vmcnt(0)
	v_and_b32_e32 v0, 0x800, v2
	v_cmp_eq_u32_e32 vcc, 0, v0
	s_and_saveexec_b64 s[6:7], vcc
	s_cbranch_execz .LBB4_16927
; %bb.16895:
	v_and_b32_e32 v0, 48, v2
	v_cmp_ne_u32_e32 vcc, 0, v0
	s_and_saveexec_b64 s[4:5], vcc
	s_cbranch_execz .LBB4_16897
; %bb.16896:
	buffer_load_dword v2, off, s[0:3], s33 offset:432 ; 4-byte Folded Reload
	buffer_load_dword v3, off, s[0:3], s33 offset:436 ; 4-byte Folded Reload
	;; [unrolled: 1-line block ×4, first 2 shown]
	s_waitcnt vmcnt(0)
	flat_store_dwordx2 v[2:3], v[4:5] offset:104
.LBB4_16897:
	s_or_b64 exec, exec, s[4:5]
	buffer_load_dword v7, off, s[0:3], s33 offset:72 ; 4-byte Folded Reload
	s_movk_i32 s4, 0x88
	s_waitcnt vmcnt(0)
	v_and_b32_e32 v0, 0x88, v7
	v_cmp_eq_u32_e32 vcc, s4, v0
	s_and_saveexec_b64 s[10:11], vcc
	s_cbranch_execz .LBB4_16907
; %bb.16898:
	buffer_load_dword v2, off, s[0:3], s33 offset:84 ; 4-byte Folded Reload
	buffer_load_dword v3, off, s[0:3], s33 offset:88 ; 4-byte Folded Reload
	s_mov_b32 s8, 0
	s_waitcnt vmcnt(0)
	v_add_u32_e32 v0, 6, v2
	buffer_load_dword v2, off, s[0:3], s33 offset:124 ; 4-byte Folded Reload
	buffer_load_dword v3, off, s[0:3], s33 offset:128 ; 4-byte Folded Reload
	;; [unrolled: 1-line block ×4, first 2 shown]
	v_and_b32_e32 v0, 7, v0
	s_waitcnt vmcnt(0)
	v_and_b32_e32 v4, 64, v7
	v_mad_u64_u32 v[5:6], s[4:5], v0, 24, v[2:3]
	v_cmp_eq_u32_e64 s[4:5], 0, v4
	flat_load_dwordx2 v[2:3], v[5:6] offset:8 glc
	s_waitcnt vmcnt(0) lgkmcnt(0)
	v_cmp_ne_u64_e32 vcc, -1, v[2:3]
	s_and_b64 s[4:5], vcc, s[4:5]
	s_and_b64 exec, exec, s[4:5]
	s_cbranch_execz .LBB4_16907
; %bb.16899:
	s_mov_b64 s[4:5], 0
                                        ; implicit-def: $sgpr12_sgpr13
                                        ; implicit-def: $sgpr14_sgpr15
	s_branch .LBB4_16902
.LBB4_16900:                            ;   in Loop: Header=BB4_16902 Depth=1
	flat_load_dwordx2 v[3:4], v[5:6] offset:8 glc
	s_waitcnt vmcnt(0)
	s_andn2_b64 s[14:15], s[14:15], exec
	s_waitcnt lgkmcnt(0)
	v_cmp_eq_u64_e32 vcc, -1, v[3:4]
	s_orn2_b64 s[18:19], vcc, exec
.LBB4_16901:                            ;   in Loop: Header=BB4_16902 Depth=1
	s_or_b64 exec, exec, s[20:21]
	s_and_b64 s[16:17], exec, s[18:19]
	s_or_b64 s[4:5], s[16:17], s[4:5]
	s_andn2_b64 s[12:13], s[12:13], exec
	s_and_b64 s[16:17], s[14:15], exec
	s_or_b64 s[12:13], s[12:13], s[16:17]
	s_andn2_b64 exec, exec, s[4:5]
	s_cbranch_execz .LBB4_16905
.LBB4_16902:                            ; =>This Inner Loop Header: Depth=1
	s_cmpk_lt_i32 s8, 0x270f
	s_cselect_b64 s[16:17], -1, 0
	s_and_b64 vcc, exec, s[16:17]
	s_cbranch_vccnz .LBB4_16904
; %bb.16903:                            ;   in Loop: Header=BB4_16902 Depth=1
	s_trap 2
	ds_read_b64 v[2:3], v0
	s_andn2_b64 s[16:17], s[16:17], exec
	s_mov_b32 s8, 0
	s_waitcnt lgkmcnt(0)
	flat_load_dword v2, v[2:3] glc
	s_waitcnt vmcnt(0) lgkmcnt(0)
	buffer_wbinvl1_vol
	v_cmp_eq_u32_e32 vcc, 0, v2
	s_and_b64 s[18:19], vcc, exec
	s_or_b64 s[16:17], s[16:17], s[18:19]
	s_mov_b64 s[18:19], -1
	s_or_b64 s[14:15], s[14:15], exec
	s_and_saveexec_b64 s[20:21], s[16:17]
	s_cbranch_execz .LBB4_16901
	s_branch .LBB4_16900
.LBB4_16904:                            ;   in Loop: Header=BB4_16902 Depth=1
	s_add_i32 s8, s8, 1
                                        ; implicit-def: $vgpr2
	s_mov_b64 s[18:19], -1
	s_or_b64 s[14:15], s[14:15], exec
	s_and_saveexec_b64 s[20:21], s[16:17]
	s_cbranch_execz .LBB4_16901
	s_branch .LBB4_16900
.LBB4_16905:
	s_or_b64 exec, exec, s[4:5]
	s_mov_b64 s[4:5], exec
	buffer_load_dword v7, off, s[0:3], s33 offset:72 ; 4-byte Folded Reload
	s_and_b64 s[8:9], s[4:5], s[12:13]
	s_xor_b64 s[4:5], s[8:9], s[4:5]
	s_mov_b64 exec, s[8:9]
	s_cbranch_execz .LBB4_16907
; %bb.16906:
	ds_write_b32 v0, v2
	s_trap 2
.LBB4_16907:
	s_or_b64 exec, exec, s[10:11]
	s_waitcnt vmcnt(0)
	v_and_b32_e32 v0, 0x2000, v7
	v_cmp_ne_u32_e32 vcc, 0, v0
	s_and_saveexec_b64 s[4:5], vcc
	s_cbranch_execz .LBB4_16909
; %bb.16908:
	s_trap 2
	ds_read_b64 v[2:3], v0
	buffer_load_dword v4, off, s[0:3], s33 offset:452 ; 4-byte Folded Reload
	buffer_load_dword v5, off, s[0:3], s33 offset:456 ; 4-byte Folded Reload
	s_waitcnt vmcnt(0) lgkmcnt(0)
	flat_store_dwordx2 v[4:5], v[2:3] offset:16
.LBB4_16909:
	s_or_b64 exec, exec, s[4:5]
	v_cmp_ne_u32_e32 vcc, 64, v1
	s_and_b64 exec, exec, vcc
	s_cbranch_execz .LBB4_16927
; %bb.16910:
	v_cmp_ne_u32_sdwa s[4:5], v1, v19 src0_sel:DWORD src1_sel:WORD_0
	s_and_saveexec_b64 s[8:9], s[4:5]
	s_xor_b64 s[4:5], exec, s[8:9]
	s_cbranch_execz .LBB4_16925
; %bb.16911:
	v_and_b32_e32 v0, 63, v31
	v_cmp_eq_u32_e32 vcc, 0, v0
	s_and_saveexec_b64 s[10:11], vcc
	s_cbranch_execz .LBB4_16924
; %bb.16912:
	s_mov_b64 s[14:15], exec
	v_mbcnt_lo_u32_b32 v0, s14, 0
	v_mbcnt_hi_u32_b32 v0, s15, v0
	v_cmp_eq_u32_e32 vcc, 0, v0
	s_waitcnt vmcnt(0) lgkmcnt(0)
	buffer_wbinvl1_vol
	s_and_saveexec_b64 s[12:13], vcc
	s_cbranch_execz .LBB4_16914
; %bb.16913:
	s_bcnt1_i32_b64 s8, s[14:15]
	v_mov_b32_e32 v2, s8
	v_mov_b32_e32 v3, 0
	ds_add_u64 v0, v[2:3]
	s_trap 2
.LBB4_16914:
	s_or_b64 exec, exec, s[12:13]
	v_lshrrev_b32_e32 v0, 6, v1
	s_trap 2
	ds_read_b64 v[2:3], v0
	s_waitcnt lgkmcnt(0)
	buffer_load_dword v4, off, s[0:3], s33 offset:76 ; 4-byte Folded Reload
	buffer_load_dword v5, off, s[0:3], s33 offset:80 ; 4-byte Folded Reload
	s_waitcnt vmcnt(1)
	v_add_co_u32_e32 v0, vcc, v4, v0
	s_waitcnt vmcnt(0)
	v_addc_co_u32_e32 v1, vcc, 0, v5, vcc
	v_cmp_lt_u64_e32 vcc, v[2:3], v[0:1]
	s_and_saveexec_b64 s[12:13], vcc
	s_cbranch_execz .LBB4_16923
; %bb.16915:
	s_mov_b32 s8, 0
	s_mov_b64 s[14:15], 0
                                        ; implicit-def: $sgpr16_sgpr17
                                        ; implicit-def: $sgpr18_sgpr19
	s_branch .LBB4_16917
.LBB4_16916:                            ;   in Loop: Header=BB4_16917 Depth=1
	s_or_b64 exec, exec, s[22:23]
	s_and_b64 s[20:21], exec, s[24:25]
	s_or_b64 s[14:15], s[20:21], s[14:15]
	s_andn2_b64 s[16:17], s[16:17], exec
	s_and_b64 s[20:21], s[18:19], exec
	s_or_b64 s[16:17], s[16:17], s[20:21]
	s_andn2_b64 exec, exec, s[14:15]
	s_cbranch_execz .LBB4_16921
.LBB4_16917:                            ; =>This Inner Loop Header: Depth=1
	s_add_i32 s8, s8, 1
	s_cmpk_lg_i32 s8, 0x2710
	s_cselect_b64 s[20:21], -1, 0
	s_and_b64 vcc, exec, s[20:21]
	s_cbranch_vccz .LBB4_16919
; %bb.16918:                            ;   in Loop: Header=BB4_16917 Depth=1
	s_mov_b64 s[24:25], -1
	s_or_b64 s[18:19], s[18:19], exec
	s_and_saveexec_b64 s[22:23], s[20:21]
	s_cbranch_execz .LBB4_16916
	s_branch .LBB4_16920
.LBB4_16919:                            ;   in Loop: Header=BB4_16917 Depth=1
	s_trap 2
	ds_read_b64 v[2:3], v0
	s_andn2_b64 s[20:21], s[20:21], exec
	s_mov_b32 s8, 0
	s_waitcnt lgkmcnt(0)
	flat_load_dword v2, v[2:3] glc
	s_waitcnt vmcnt(0) lgkmcnt(0)
	buffer_wbinvl1_vol
	v_cmp_eq_u32_e32 vcc, 0, v2
	s_and_b64 s[22:23], vcc, exec
	s_or_b64 s[20:21], s[20:21], s[22:23]
	s_mov_b64 s[24:25], -1
	s_or_b64 s[18:19], s[18:19], exec
	s_and_saveexec_b64 s[22:23], s[20:21]
	s_cbranch_execz .LBB4_16916
.LBB4_16920:                            ;   in Loop: Header=BB4_16917 Depth=1
	s_sleep 1
	s_trap 2
	ds_read_b64 v[2:3], v0
	s_waitcnt lgkmcnt(0)
	s_andn2_b64 s[18:19], s[18:19], exec
	v_cmp_ge_u64_e32 vcc, v[2:3], v[0:1]
	s_orn2_b64 s[24:25], vcc, exec
	s_branch .LBB4_16916
.LBB4_16921:
	s_or_b64 exec, exec, s[14:15]
	s_and_saveexec_b64 s[8:9], s[16:17]
	s_xor_b64 s[8:9], exec, s[8:9]
	s_cbranch_execz .LBB4_16923
; %bb.16922:
	v_mov_b32_e32 v0, 1
	ds_write_b32 v0, v0
	s_trap 2
.LBB4_16923:
	s_or_b64 exec, exec, s[12:13]
	;;#ASMSTART
	s_wakeup
	;;#ASMEND
.LBB4_16924:
	s_or_b64 exec, exec, s[10:11]
.LBB4_16925:
	s_andn2_saveexec_b64 s[4:5], s[4:5]
	s_cbranch_execz .LBB4_16927
; %bb.16926:
	s_waitcnt vmcnt(0) lgkmcnt(0)
	buffer_wbinvl1_vol
	s_barrier
.LBB4_16927:
	s_or_b64 exec, exec, s[6:7]
.LBB4_16928:
	v_readlane_b32 s4, v62, 0
	v_readlane_b32 s5, v62, 1
	s_andn2_saveexec_b64 s[26:27], s[4:5]
	s_cbranch_execz .LBB4_16930
; %bb.16929:
	s_getpc_b64 s[4:5]
	s_add_u32 s4, s4, __PRETTY_FUNCTION__._ZN10PrimitivesI14__hip_fp8_e5m213FuncPreMulSumIS0_E12FanSymmetricILi1EELi0E11ProtoSimpleILi2ELi2ELi0ELi2ELi0ELi0EELi0ELb0ELi0ELi0ELi0EEC2EiiPKiS9_PKvPvmhhhP15ncclDevWorkCollP14ncclDevWorkP2pii@rel32@lo+4
	s_addc_u32 s5, s5, __PRETTY_FUNCTION__._ZN10PrimitivesI14__hip_fp8_e5m213FuncPreMulSumIS0_E12FanSymmetricILi1EELi0E11ProtoSimpleILi2ELi2ELi0ELi2ELi0ELi0EELi0ELb0ELi0ELi0ELi0EEC2EiiPKiS9_PKvPvmhhhP15ncclDevWorkCollP14ncclDevWorkP2pii@rel32@hi+12
	s_getpc_b64 s[6:7]
	s_add_u32 s6, s6, __assert_fail@rel32@lo+4
	s_addc_u32 s7, s7, __assert_fail@rel32@hi+12
	s_mov_b64 s[8:9], s[28:29]
	v_mov_b32_e32 v0, s4
	v_mov_b32_e32 v1, s5
	s_swappc_b64 s[30:31], s[6:7]
	; divergent unreachable
.LBB4_16930:
	s_or_b64 exec, exec, s[26:27]
	buffer_load_dword v61, off, s[0:3], s33 ; 4-byte Folded Reload
	buffer_load_dword v60, off, s[0:3], s33 offset:4 ; 4-byte Folded Reload
	buffer_load_dword v59, off, s[0:3], s33 offset:8 ; 4-byte Folded Reload
	buffer_load_dword v58, off, s[0:3], s33 offset:12 ; 4-byte Folded Reload
	buffer_load_dword v57, off, s[0:3], s33 offset:16 ; 4-byte Folded Reload
	buffer_load_dword v56, off, s[0:3], s33 offset:20 ; 4-byte Folded Reload
	buffer_load_dword v47, off, s[0:3], s33 offset:24 ; 4-byte Folded Reload
	buffer_load_dword v46, off, s[0:3], s33 offset:28 ; 4-byte Folded Reload
	buffer_load_dword v45, off, s[0:3], s33 offset:32 ; 4-byte Folded Reload
	buffer_load_dword v44, off, s[0:3], s33 offset:36 ; 4-byte Folded Reload
	buffer_load_dword v43, off, s[0:3], s33 offset:40 ; 4-byte Folded Reload
	buffer_load_dword v42, off, s[0:3], s33 offset:44 ; 4-byte Folded Reload
	buffer_load_dword v41, off, s[0:3], s33 offset:48 ; 4-byte Folded Reload
	buffer_load_dword v40, off, s[0:3], s33 offset:52 ; 4-byte Folded Reload
	v_readlane_b32 s30, v63, 32
	v_readlane_b32 s31, v63, 33
	;; [unrolled: 1-line block ×34, first 2 shown]
	s_mov_b32 s32, s33
	v_readlane_b32 s4, v63, 34
	s_or_saveexec_b64 s[6:7], -1
	buffer_load_dword v63, off, s[0:3], s33 offset:460 ; 4-byte Folded Reload
	buffer_load_dword v62, off, s[0:3], s33 offset:464 ; 4-byte Folded Reload
	s_mov_b64 exec, s[6:7]
	s_mov_b32 s33, s4
	s_waitcnt vmcnt(0) lgkmcnt(0)
	s_setpc_b64 s[30:31]
.Lfunc_end4:
	.size	_ZN12_GLOBAL__N_17runRingI14__hip_fp8_e5m213FuncPreMulSumIS1_E11ProtoSimpleILi2ELi2ELi0ELi2ELi0ELi0EELi0ELi0ELi2ELi0EEEviiP15ncclDevWorkColl, .Lfunc_end4-_ZN12_GLOBAL__N_17runRingI14__hip_fp8_e5m213FuncPreMulSumIS1_E11ProtoSimpleILi2ELi2ELi0ELi2ELi0ELi0EELi0ELi0ELi2ELi0EEEviiP15ncclDevWorkColl
                                        ; -- End function
	.set .L_ZN12_GLOBAL__N_17runRingI14__hip_fp8_e5m213FuncPreMulSumIS1_E11ProtoSimpleILi2ELi2ELi0ELi2ELi0ELi0EELi0ELi0ELi2ELi0EEEviiP15ncclDevWorkColl.num_vgpr, max(64, .L__assert_fail.num_vgpr)
	.set .L_ZN12_GLOBAL__N_17runRingI14__hip_fp8_e5m213FuncPreMulSumIS1_E11ProtoSimpleILi2ELi2ELi0ELi2ELi0ELi0EELi0ELi0ELi2ELi0EEEviiP15ncclDevWorkColl.num_agpr, max(0, .L__assert_fail.num_agpr)
	.set .L_ZN12_GLOBAL__N_17runRingI14__hip_fp8_e5m213FuncPreMulSumIS1_E11ProtoSimpleILi2ELi2ELi0ELi2ELi0ELi0EELi0ELi0ELi2ELi0EEEviiP15ncclDevWorkColl.numbered_sgpr, max(100, .L__assert_fail.numbered_sgpr)
	.set .L_ZN12_GLOBAL__N_17runRingI14__hip_fp8_e5m213FuncPreMulSumIS1_E11ProtoSimpleILi2ELi2ELi0ELi2ELi0ELi0EELi0ELi0ELi2ELi0EEEviiP15ncclDevWorkColl.num_named_barrier, max(0, .L__assert_fail.num_named_barrier)
	.set .L_ZN12_GLOBAL__N_17runRingI14__hip_fp8_e5m213FuncPreMulSumIS1_E11ProtoSimpleILi2ELi2ELi0ELi2ELi0ELi0EELi0ELi0ELi2ELi0EEEviiP15ncclDevWorkColl.private_seg_size, 480+max(.L__assert_fail.private_seg_size)
	.set .L_ZN12_GLOBAL__N_17runRingI14__hip_fp8_e5m213FuncPreMulSumIS1_E11ProtoSimpleILi2ELi2ELi0ELi2ELi0ELi0EELi0ELi0ELi2ELi0EEEviiP15ncclDevWorkColl.uses_vcc, or(1, .L__assert_fail.uses_vcc)
	.set .L_ZN12_GLOBAL__N_17runRingI14__hip_fp8_e5m213FuncPreMulSumIS1_E11ProtoSimpleILi2ELi2ELi0ELi2ELi0ELi0EELi0ELi0ELi2ELi0EEEviiP15ncclDevWorkColl.uses_flat_scratch, or(0, .L__assert_fail.uses_flat_scratch)
	.set .L_ZN12_GLOBAL__N_17runRingI14__hip_fp8_e5m213FuncPreMulSumIS1_E11ProtoSimpleILi2ELi2ELi0ELi2ELi0ELi0EELi0ELi0ELi2ELi0EEEviiP15ncclDevWorkColl.has_dyn_sized_stack, or(0, .L__assert_fail.has_dyn_sized_stack)
	.set .L_ZN12_GLOBAL__N_17runRingI14__hip_fp8_e5m213FuncPreMulSumIS1_E11ProtoSimpleILi2ELi2ELi0ELi2ELi0ELi0EELi0ELi0ELi2ELi0EEEviiP15ncclDevWorkColl.has_recursion, or(1, .L__assert_fail.has_recursion)
	.set .L_ZN12_GLOBAL__N_17runRingI14__hip_fp8_e5m213FuncPreMulSumIS1_E11ProtoSimpleILi2ELi2ELi0ELi2ELi0ELi0EELi0ELi0ELi2ELi0EEEviiP15ncclDevWorkColl.has_indirect_call, or(0, .L__assert_fail.has_indirect_call)
	.section	.AMDGPU.csdata,"",@progbits
; Function info:
; codeLenInByte = 452776
; TotalNumSgprs: 104
; NumVgprs: 64
; ScratchSize: 544
; MemoryBound: 1
	.text
	.p2align	2                               ; -- Begin function _Z56ncclDevFunc_AllReduce_RING_SIMPLE_PreMulSum_f8e5m2_0_0_2v
	.type	_Z56ncclDevFunc_AllReduce_RING_SIMPLE_PreMulSum_f8e5m2_0_0_2v,@function
_Z56ncclDevFunc_AllReduce_RING_SIMPLE_PreMulSum_f8e5m2_0_0_2v: ; @_Z56ncclDevFunc_AllReduce_RING_SIMPLE_PreMulSum_f8e5m2_0_0_2v
; %bb.0:
	s_waitcnt vmcnt(0) expcnt(0) lgkmcnt(0)
	s_mov_b32 s4, s33
	s_mov_b32 s33, s32
	s_or_saveexec_b64 s[6:7], -1
	buffer_store_dword v43, off, s[0:3], s33 offset:20 ; 4-byte Folded Spill
	buffer_store_dword v44, off, s[0:3], s33 offset:24 ; 4-byte Folded Spill
	s_mov_b64 exec, s[6:7]
	v_writelane_b32 v44, s4, 38
	v_writelane_b32 v44, s100, 36
	v_writelane_b32 v44, s101, 37
	s_addk_i32 s32, 0x800
	buffer_store_dword v40, off, s[0:3], s33 offset:12 ; 4-byte Folded Spill
	buffer_store_dword v41, off, s[0:3], s33 offset:8 ; 4-byte Folded Spill
	;; [unrolled: 1-line block ×3, first 2 shown]
	buffer_store_dword v62, off, s[0:3], s33 ; 4-byte Folded Spill
	v_writelane_b32 v44, s34, 0
	v_writelane_b32 v44, s35, 1
	;; [unrolled: 1-line block ×36, first 2 shown]
	s_trap 2
	ds_read_b32 v0, v0
	v_mov_b32_e32 v40, v31
                                        ; implicit-def: $vgpr43 : SGPR spill to VGPR lane
	v_and_b32_e32 v41, 0x3ff, v40
	v_writelane_b32 v43, s12, 0
	v_writelane_b32 v43, s8, 1
	s_waitcnt lgkmcnt(0)
	v_cmp_lt_i32_e32 vcc, v41, v0
	v_writelane_b32 v43, s9, 2
	s_and_saveexec_b64 s[4:5], vcc
	s_cbranch_execz .LBB5_5
; %bb.1:
	v_readlane_b32 s8, v43, 1
	v_readlane_b32 s9, v43, 2
	s_load_dword s6, s[8:9], 0x0
	v_readlane_b32 s7, v43, 0
	v_mov_b32_e32 v1, 0
	s_mov_b32 s10, 0
	v_mov_b32_e32 v4, v41
	s_waitcnt lgkmcnt(0)
	s_cmp_lt_u32 s7, s6
	s_cselect_b32 s6, 12, 18
	s_add_u32 s6, s8, s6
	s_addc_u32 s7, s9, 0
	global_load_ushort v1, v1, s[6:7]
	s_trap 2
	ds_read_b32 v2, v0
	s_mov_b64 s[6:7], 0
                                        ; implicit-def: $vgpr3
	s_waitcnt vmcnt(0) lgkmcnt(0)
	v_mul_lo_u32 v2, v2, v1
	s_branch .LBB5_3
.LBB5_2:                                ;   in Loop: Header=BB5_3 Depth=1
	s_or_b64 exec, exec, s[8:9]
	v_add_u32_e32 v4, v4, v1
	v_cmp_ge_i32_e32 vcc, v4, v0
	s_or_b64 s[6:7], vcc, s[6:7]
	v_add_u32_e32 v3, v3, v2
	s_andn2_b64 exec, exec, s[6:7]
	s_cbranch_execz .LBB5_5
.LBB5_3:                                ; =>This Inner Loop Header: Depth=1
	ds_read_b32 v5, v3
	s_waitcnt lgkmcnt(0)
	v_and_b32_e32 v5, 0x1000000, v5
	v_cmp_ne_u32_e32 vcc, 0, v5
	s_and_saveexec_b64 s[8:9], vcc
	s_cbranch_execz .LBB5_2
; %bb.4:                                ;   in Loop: Header=BB5_3 Depth=1
	ds_read_b64 v[5:6], v3 offset:104
	s_waitcnt lgkmcnt(0)
	flat_load_ubyte v5, v[5:6]
	v_mov_b32_e32 v6, s10
	s_waitcnt vmcnt(0) lgkmcnt(0)
	v_and_b32_e32 v5, 0xffff, v5
	ds_write_b64 v3, v[5:6] offset:104
	s_branch .LBB5_2
.LBB5_5:
	s_or_b64 exec, exec, s[4:5]
	s_waitcnt vmcnt(0) lgkmcnt(0)
	s_barrier
	s_trap 2
	ds_read_b32 v0, v0
	s_waitcnt lgkmcnt(0)
	v_cmp_gt_i32_e32 vcc, 1, v0
	s_cbranch_vccnz .LBB5_13
; %bb.6:
	s_mov_b32 s6, 0
	v_mov_b32_e32 v42, 6
	s_branch .LBB5_8
.LBB5_7:                                ;   in Loop: Header=BB5_8 Depth=1
	s_or_b64 exec, exec, s[8:9]
	s_trap 2
	ds_read_b32 v0, v0
	s_add_i32 s6, s6, 1
	s_waitcnt lgkmcnt(0)
	v_cmp_lt_i32_e32 vcc, s6, v0
	s_cbranch_vccz .LBB5_13
.LBB5_8:                                ; =>This Inner Loop Header: Depth=1
	s_trap 2
	ds_read_b32 v0, v0
	s_cmp_eq_u32 s6, 0
	s_cbranch_scc1 .LBB5_11
; %bb.9:                                ;   in Loop: Header=BB5_8 Depth=1
	s_trap 2
	s_waitcnt lgkmcnt(0)
	ds_read_b32 v1, v0
	s_waitcnt lgkmcnt(0)
	v_xor_b32_e32 v1, v1, v0
	v_and_b32_e32 v1, 0xff0000, v1
	v_cmp_eq_u32_e32 vcc, 0, v1
	s_cbranch_vccnz .LBB5_11
; %bb.10:                               ;   in Loop: Header=BB5_8 Depth=1
	s_barrier
	ds_read_b32 v0, v0
.LBB5_11:                               ;   in Loop: Header=BB5_8 Depth=1
	s_waitcnt lgkmcnt(0)
	v_lshlrev_b32_sdwa v1, v42, v0 dst_sel:DWORD dst_unused:UNUSED_PAD src0_sel:DWORD src1_sel:BYTE_2
	v_cmp_lt_u32_e32 vcc, v41, v1
	s_and_saveexec_b64 s[8:9], vcc
	s_cbranch_execz .LBB5_7
; %bb.12:                               ;   in Loop: Header=BB5_8 Depth=1
	v_writelane_b32 v43, s6, 3
	v_writelane_b32 v43, s8, 4
	s_mov_b64 s[4:5], src_shared_base
	s_getpc_b64 s[6:7]
	s_add_u32 s6, s6, _ZN12_GLOBAL__N_17runRingI14__hip_fp8_e5m213FuncPreMulSumIS1_E11ProtoSimpleILi2ELi2ELi0ELi2ELi0ELi0EELi0ELi0ELi2ELi0EEEviiP15ncclDevWorkColl@rel32@lo+4
	s_addc_u32 s7, s7, _ZN12_GLOBAL__N_17runRingI14__hip_fp8_e5m213FuncPreMulSumIS1_E11ProtoSimpleILi2ELi2ELi0ELi2ELi0ELi0EELi0ELi0ELi2ELi0EEEviiP15ncclDevWorkColl@rel32@hi+12
	v_writelane_b32 v43, s9, 5
	s_or_saveexec_b64 s[100:101], -1
	buffer_store_dword v43, off, s[0:3], s33 offset:16 ; 4-byte Folded Spill
	s_mov_b64 exec, s[100:101]
	v_readlane_b32 s8, v43, 1
	v_readlane_b32 s9, v43, 2
	;; [unrolled: 1-line block ×3, first 2 shown]
	v_mov_b32_e32 v31, v40
	v_mov_b32_e32 v0, v41
	;; [unrolled: 1-line block ×3, first 2 shown]
	s_swappc_b64 s[30:31], s[6:7]
	s_or_saveexec_b64 s[100:101], -1
	buffer_load_dword v43, off, s[0:3], s33 offset:16 ; 4-byte Folded Reload
	s_mov_b64 exec, s[100:101]
	s_waitcnt vmcnt(0)
	v_readlane_b32 s8, v43, 4
	v_readlane_b32 s9, v43, 5
	;; [unrolled: 1-line block ×3, first 2 shown]
	s_branch .LBB5_7
.LBB5_13:
	buffer_load_dword v62, off, s[0:3], s33 ; 4-byte Folded Reload
	buffer_load_dword v42, off, s[0:3], s33 offset:4 ; 4-byte Folded Reload
	buffer_load_dword v41, off, s[0:3], s33 offset:8 ; 4-byte Folded Reload
	;; [unrolled: 1-line block ×3, first 2 shown]
	v_readlane_b32 s30, v44, 34
	v_readlane_b32 s31, v44, 35
	;; [unrolled: 1-line block ×36, first 2 shown]
	s_mov_b32 s32, s33
	v_readlane_b32 s4, v44, 38
	v_readlane_b32 s100, v44, 36
	;; [unrolled: 1-line block ×3, first 2 shown]
	s_or_saveexec_b64 s[6:7], -1
	buffer_load_dword v43, off, s[0:3], s33 offset:20 ; 4-byte Folded Reload
	buffer_load_dword v44, off, s[0:3], s33 offset:24 ; 4-byte Folded Reload
	s_mov_b64 exec, s[6:7]
	s_mov_b32 s33, s4
	s_waitcnt vmcnt(0)
	s_setpc_b64 s[30:31]
.Lfunc_end5:
	.size	_Z56ncclDevFunc_AllReduce_RING_SIMPLE_PreMulSum_f8e5m2_0_0_2v, .Lfunc_end5-_Z56ncclDevFunc_AllReduce_RING_SIMPLE_PreMulSum_f8e5m2_0_0_2v
                                        ; -- End function
	.set .L_Z56ncclDevFunc_AllReduce_RING_SIMPLE_PreMulSum_f8e5m2_0_0_2v.num_vgpr, max(63, .L_ZN12_GLOBAL__N_17runRingI14__hip_fp8_e5m213FuncPreMulSumIS1_E11ProtoSimpleILi2ELi2ELi0ELi2ELi0ELi0EELi0ELi0ELi2ELi0EEEviiP15ncclDevWorkColl.num_vgpr)
	.set .L_Z56ncclDevFunc_AllReduce_RING_SIMPLE_PreMulSum_f8e5m2_0_0_2v.num_agpr, max(0, .L_ZN12_GLOBAL__N_17runRingI14__hip_fp8_e5m213FuncPreMulSumIS1_E11ProtoSimpleILi2ELi2ELi0ELi2ELi0ELi0EELi0ELi0ELi2ELi0EEEviiP15ncclDevWorkColl.num_agpr)
	.set .L_Z56ncclDevFunc_AllReduce_RING_SIMPLE_PreMulSum_f8e5m2_0_0_2v.numbered_sgpr, max(102, .L_ZN12_GLOBAL__N_17runRingI14__hip_fp8_e5m213FuncPreMulSumIS1_E11ProtoSimpleILi2ELi2ELi0ELi2ELi0ELi0EELi0ELi0ELi2ELi0EEEviiP15ncclDevWorkColl.numbered_sgpr)
	.set .L_Z56ncclDevFunc_AllReduce_RING_SIMPLE_PreMulSum_f8e5m2_0_0_2v.num_named_barrier, max(0, .L_ZN12_GLOBAL__N_17runRingI14__hip_fp8_e5m213FuncPreMulSumIS1_E11ProtoSimpleILi2ELi2ELi0ELi2ELi0ELi0EELi0ELi0ELi2ELi0EEEviiP15ncclDevWorkColl.num_named_barrier)
	.set .L_Z56ncclDevFunc_AllReduce_RING_SIMPLE_PreMulSum_f8e5m2_0_0_2v.private_seg_size, 32+max(.L_ZN12_GLOBAL__N_17runRingI14__hip_fp8_e5m213FuncPreMulSumIS1_E11ProtoSimpleILi2ELi2ELi0ELi2ELi0ELi0EELi0ELi0ELi2ELi0EEEviiP15ncclDevWorkColl.private_seg_size)
	.set .L_Z56ncclDevFunc_AllReduce_RING_SIMPLE_PreMulSum_f8e5m2_0_0_2v.uses_vcc, or(1, .L_ZN12_GLOBAL__N_17runRingI14__hip_fp8_e5m213FuncPreMulSumIS1_E11ProtoSimpleILi2ELi2ELi0ELi2ELi0ELi0EELi0ELi0ELi2ELi0EEEviiP15ncclDevWorkColl.uses_vcc)
	.set .L_Z56ncclDevFunc_AllReduce_RING_SIMPLE_PreMulSum_f8e5m2_0_0_2v.uses_flat_scratch, or(0, .L_ZN12_GLOBAL__N_17runRingI14__hip_fp8_e5m213FuncPreMulSumIS1_E11ProtoSimpleILi2ELi2ELi0ELi2ELi0ELi0EELi0ELi0ELi2ELi0EEEviiP15ncclDevWorkColl.uses_flat_scratch)
	.set .L_Z56ncclDevFunc_AllReduce_RING_SIMPLE_PreMulSum_f8e5m2_0_0_2v.has_dyn_sized_stack, or(0, .L_ZN12_GLOBAL__N_17runRingI14__hip_fp8_e5m213FuncPreMulSumIS1_E11ProtoSimpleILi2ELi2ELi0ELi2ELi0ELi0EELi0ELi0ELi2ELi0EEEviiP15ncclDevWorkColl.has_dyn_sized_stack)
	.set .L_Z56ncclDevFunc_AllReduce_RING_SIMPLE_PreMulSum_f8e5m2_0_0_2v.has_recursion, or(1, .L_ZN12_GLOBAL__N_17runRingI14__hip_fp8_e5m213FuncPreMulSumIS1_E11ProtoSimpleILi2ELi2ELi0ELi2ELi0ELi0EELi0ELi0ELi2ELi0EEEviiP15ncclDevWorkColl.has_recursion)
	.set .L_Z56ncclDevFunc_AllReduce_RING_SIMPLE_PreMulSum_f8e5m2_0_0_2v.has_indirect_call, or(0, .L_ZN12_GLOBAL__N_17runRingI14__hip_fp8_e5m213FuncPreMulSumIS1_E11ProtoSimpleILi2ELi2ELi0ELi2ELi0ELi0EELi0ELi0ELi2ELi0EEEviiP15ncclDevWorkColl.has_indirect_call)
	.section	.AMDGPU.csdata,"",@progbits
; Function info:
; codeLenInByte = 1372
; TotalNumSgprs: 106
; NumVgprs: 64
; ScratchSize: 576
; MemoryBound: 0
	.text
	.p2align	2                               ; -- Begin function _ZN12_GLOBAL__N_17runRingI14__hip_fp8_e5m213FuncPreMulSumIS1_E11ProtoSimpleILi2ELi2ELi0ELi4ELi0ELi0EELi0ELi0ELi4ELi0EEEviiP15ncclDevWorkColl
	.type	_ZN12_GLOBAL__N_17runRingI14__hip_fp8_e5m213FuncPreMulSumIS1_E11ProtoSimpleILi2ELi2ELi0ELi4ELi0ELi0EELi0ELi0ELi4ELi0EEEviiP15ncclDevWorkColl,@function
_ZN12_GLOBAL__N_17runRingI14__hip_fp8_e5m213FuncPreMulSumIS1_E11ProtoSimpleILi2ELi2ELi0ELi4ELi0ELi0EELi0ELi0ELi4ELi0EEEviiP15ncclDevWorkColl: ; @_ZN12_GLOBAL__N_17runRingI14__hip_fp8_e5m213FuncPreMulSumIS1_E11ProtoSimpleILi2ELi2ELi0ELi4ELi0ELi0EELi0ELi0ELi4ELi0EEEviiP15ncclDevWorkColl
; %bb.0:
	s_waitcnt vmcnt(0) expcnt(0) lgkmcnt(0)
	s_mov_b32 s4, s33
	s_mov_b32 s33, s32
	s_or_saveexec_b64 s[6:7], -1
	buffer_store_dword v63, off, s[0:3], s33 offset:812 ; 4-byte Folded Spill
	buffer_store_dword v62, off, s[0:3], s33 offset:816 ; 4-byte Folded Spill
	s_mov_b64 exec, s[6:7]
	v_writelane_b32 v63, s4, 34
	s_add_i32 s32, s32, 0xd000
	buffer_store_dword v40, off, s[0:3], s33 offset:52 ; 4-byte Folded Spill
	buffer_store_dword v41, off, s[0:3], s33 offset:48 ; 4-byte Folded Spill
	;; [unrolled: 1-line block ×13, first 2 shown]
	buffer_store_dword v61, off, s[0:3], s33 ; 4-byte Folded Spill
	v_writelane_b32 v63, s34, 0
	v_writelane_b32 v63, s35, 1
	;; [unrolled: 1-line block ×34, first 2 shown]
	buffer_store_dword v0, off, s[0:3], s33 offset:480 ; 4-byte Folded Spill
	s_trap 2
	flat_load_dword v5, v[2:3]
	ds_read_b32 v6, v0
                                        ; implicit-def: $vgpr7_vgpr8
	s_mov_b64 s[28:29], s[8:9]
                                        ; kill: killed $vgpr7_vgpr8
                                        ; implicit-def: $vgpr7_vgpr8
                                        ; implicit-def: $vgpr17_vgpr18
	buffer_store_dword v7, off, s[0:3], s33 offset:752 ; 4-byte Folded Spill
	s_nop 0
	buffer_store_dword v8, off, s[0:3], s33 offset:756 ; 4-byte Folded Spill
	buffer_store_dword v9, off, s[0:3], s33 offset:760 ; 4-byte Folded Spill
	;; [unrolled: 1-line block ×3, first 2 shown]
	s_waitcnt lgkmcnt(0)
	v_readfirstlane_b32 s66, v6
	s_waitcnt vmcnt(0)
	v_cmp_ne_u32_sdwa s[4:5], v6, v5 src0_sel:DWORD src1_sel:BYTE_0
	s_and_saveexec_b64 s[6:7], s[4:5]
	s_xor_b64 s[4:5], exec, s[6:7]
	s_cbranch_execz .LBB6_6
; %bb.1:
                                        ; implicit-def: $vgpr7_vgpr8
	v_not_b32_sdwa v4, v5 dst_sel:DWORD dst_unused:UNUSED_PAD src0_sel:BYTE_0
	v_cmp_ne_u32_sdwa s[6:7], v6, v5 src0_sel:DWORD src1_sel:BYTE_1
                                        ; kill: killed $vgpr7_vgpr8
                                        ; implicit-def: $vgpr7_vgpr8
                                        ; implicit-def: $vgpr17_vgpr18
	buffer_store_dword v7, off, s[0:3], s33 offset:752 ; 4-byte Folded Spill
	s_nop 0
	buffer_store_dword v8, off, s[0:3], s33 offset:756 ; 4-byte Folded Spill
	buffer_store_dword v9, off, s[0:3], s33 offset:760 ; 4-byte Folded Spill
	;; [unrolled: 1-line block ×3, first 2 shown]
	s_and_saveexec_b64 s[8:9], s[6:7]
	s_xor_b64 s[6:7], exec, s[8:9]
	s_cbranch_execz .LBB6_3
; %bb.2:
	flat_load_dwordx4 v[7:10], v[2:3] offset:72
	flat_load_dwordx2 v[11:12], v[2:3] offset:96
	v_add_u32_e32 v4, v6, v4
	v_ashrrev_i32_e32 v5, 31, v4
	s_waitcnt vmcnt(0) lgkmcnt(0)
	v_mul_lo_u32 v5, v9, v5
	v_mad_u64_u32 v[6:7], s[8:9], v9, v4, v[7:8]
	v_mul_lo_u32 v4, v10, v4
	v_lshrrev_b64 v[17:18], 12, v[11:12]
	v_add3_u32 v7, v4, v7, v5
	buffer_store_dword v6, off, s[0:3], s33 offset:768 ; 4-byte Folded Spill
	s_nop 0
	buffer_store_dword v7, off, s[0:3], s33 offset:772 ; 4-byte Folded Spill
	v_mov_b32_e32 v4, v9
	v_mov_b32_e32 v5, v10
	buffer_store_dword v4, off, s[0:3], s33 offset:752 ; 4-byte Folded Spill
	s_nop 0
	buffer_store_dword v5, off, s[0:3], s33 offset:756 ; 4-byte Folded Spill
	buffer_store_dword v6, off, s[0:3], s33 offset:760 ; 4-byte Folded Spill
	;; [unrolled: 1-line block ×3, first 2 shown]
                                        ; implicit-def: $vgpr5
                                        ; implicit-def: $vgpr4
.LBB6_3:
	s_andn2_saveexec_b64 s[6:7], s[6:7]
	s_cbranch_execz .LBB6_5
; %bb.4:
	flat_load_dwordx4 v[6:9], v[2:3] offset:72
	flat_load_dwordx4 v[10:13], v[2:3] offset:88
	v_add_u32_sdwa v0, v5, v4 dst_sel:DWORD dst_unused:UNUSED_PAD src0_sel:BYTE_1 src1_sel:DWORD
	v_ashrrev_i32_e32 v4, 31, v0
	s_waitcnt vmcnt(0) lgkmcnt(0)
	v_mul_lo_u32 v4, v8, v4
	v_mad_u64_u32 v[5:6], s[8:9], v8, v0, v[6:7]
	v_mul_lo_u32 v0, v9, v0
	v_lshrrev_b32_e32 v17, 1, v13
	v_add3_u32 v6, v0, v6, v4
	buffer_store_dword v5, off, s[0:3], s33 offset:768 ; 4-byte Folded Spill
	s_nop 0
	buffer_store_dword v6, off, s[0:3], s33 offset:772 ; 4-byte Folded Spill
	v_mov_b32_e32 v4, v10
	v_mov_b32_e32 v5, v11
	buffer_store_dword v4, off, s[0:3], s33 offset:752 ; 4-byte Folded Spill
	s_nop 0
	buffer_store_dword v5, off, s[0:3], s33 offset:756 ; 4-byte Folded Spill
	buffer_store_dword v6, off, s[0:3], s33 offset:760 ; 4-byte Folded Spill
	;; [unrolled: 1-line block ×3, first 2 shown]
.LBB6_5:
	s_or_b64 exec, exec, s[6:7]
.LBB6_6:
	s_andn2_saveexec_b64 s[4:5], s[4:5]
	s_cbranch_execz .LBB6_8
; %bb.7:
	flat_load_dwordx2 v[4:5], v[2:3] offset:96
	flat_load_dwordx2 v[6:7], v[2:3] offset:72
	s_waitcnt vmcnt(0) lgkmcnt(0)
	buffer_store_dword v6, off, s[0:3], s33 offset:752 ; 4-byte Folded Spill
	s_nop 0
	buffer_store_dword v7, off, s[0:3], s33 offset:756 ; 4-byte Folded Spill
	buffer_store_dword v8, off, s[0:3], s33 offset:760 ; 4-byte Folded Spill
	;; [unrolled: 1-line block ×3, first 2 shown]
	v_lshlrev_b64 v[17:18], 9, v[4:5]
	v_mov_b32_e32 v4, 0
	v_mov_b32_e32 v5, 0
	buffer_store_dword v4, off, s[0:3], s33 offset:768 ; 4-byte Folded Spill
	s_nop 0
	buffer_store_dword v5, off, s[0:3], s33 offset:772 ; 4-byte Folded Spill
.LBB6_8:
	s_or_b64 exec, exec, s[4:5]
	s_trap 2
	ds_read_b64 v[4:5], v0
	s_waitcnt lgkmcnt(0)
	v_cmp_ne_u32_e32 vcc, -1, v4
	v_cndmask_b32_e64 v18, 0, 1, vcc
	v_cmp_ne_u32_e32 vcc, -1, v5
	v_addc_co_u32_e64 v6, s[4:5], 0, v18, vcc
	v_lshlrev_b32_e32 v4, 1, v6
	v_cmp_le_u32_e64 s[4:5], v4, v1
	s_and_saveexec_b64 s[6:7], s[4:5]
	s_xor_b64 s[6:7], exec, s[6:7]
                                        ; implicit-def: $vgpr62 : SGPR spill to VGPR lane
	v_writelane_b32 v62, s6, 0
	v_writelane_b32 v62, s7, 1
	s_cbranch_execnz .LBB6_9
; %bb.28863:
	s_getpc_b64 s[98:99]
.Lpost_getpc40:
	s_add_u32 s98, s98, (.LBB6_28834-.Lpost_getpc40)&4294967295
	s_addc_u32 s99, s99, (.LBB6_28834-.Lpost_getpc40)>>32
	s_setpc_b64 s[98:99]
.LBB6_9:
	flat_load_dwordx4 v[10:13], v[2:3] offset:16
	flat_load_dwordx2 v[4:5], v[2:3] offset:104
	flat_load_ushort v8, v[2:3] offset:8
	flat_load_dword v7, v[2:3] offset:4
	s_trap 2
	s_load_dword s4, s[28:29], 0x0
	v_mov_b32_e32 v9, 0
	s_waitcnt lgkmcnt(0)
	s_cmp_lt_u32 s12, s4
	s_cselect_b32 s4, 12, 18
	s_add_u32 s4, s28, s4
	s_addc_u32 s5, s29, 0
	global_load_ushort v0, v9, s[4:5]
	s_waitcnt vmcnt(0)
	ds_read_b32 v9, v0
	buffer_store_dword v0, off, s[0:3], s33 offset:792 ; 4-byte Folded Spill
	buffer_load_dword v0, off, s[0:3], s33 offset:480 ; 4-byte Folded Reload
	s_waitcnt lgkmcnt(0)
	v_readfirstlane_b32 s8, v9
	s_waitcnt vmcnt(0)
	v_cmp_ge_u32_e64 s[4:5], v0, v18
	v_mov_b32_e32 v0, 4
	s_and_saveexec_b64 s[6:7], s[4:5]
	s_cbranch_execz .LBB6_19
; %bb.10:
	buffer_load_dword v0, off, s[0:3], s33 offset:480 ; 4-byte Folded Reload
	s_waitcnt vmcnt(0)
	v_cmp_ge_u32_e64 s[4:5], v0, v6
                                        ; implicit-def: $vgpr0
	s_and_saveexec_b64 s[10:11], s[4:5]
	s_xor_b64 s[4:5], exec, s[10:11]
	s_cbranch_execz .LBB6_16
; %bb.11:
	buffer_load_dword v0, off, s[0:3], s33 offset:480 ; 4-byte Folded Reload
	v_cndmask_b32_e64 v9, 0, 1, vcc
	v_sub_u32_e32 v9, v1, v9
	s_waitcnt vmcnt(0)
	v_cmp_ge_u32_e32 vcc, v0, v9
	s_and_saveexec_b64 s[10:11], vcc
	s_xor_b64 s[10:11], exec, s[10:11]
; %bb.12:
                                        ; implicit-def: $vgpr6
; %bb.13:
	s_or_saveexec_b64 s[10:11], s[10:11]
	v_mov_b32_e32 v0, 16
	s_xor_b64 exec, exec, s[10:11]
	s_cbranch_execz .LBB6_15
; %bb.14:
	buffer_load_dword v0, off, s[0:3], s33 offset:480 ; 4-byte Folded Reload
	v_sub_u32_e32 v6, v1, v6
	s_waitcnt vmcnt(0)
	v_cmp_lt_i32_e32 vcc, v0, v6
	v_cndmask_b32_e64 v0, 32, 0, vcc
.LBB6_15:
	s_or_b64 exec, exec, s[10:11]
.LBB6_16:
	s_andn2_saveexec_b64 s[4:5], s[4:5]
; %bb.17:
	v_mov_b32_e32 v0, 8
; %bb.18:
	s_or_b64 exec, exec, s[4:5]
.LBB6_19:
	s_or_b64 exec, exec, s[6:7]
	v_and_b32_e32 v6, 36, v0
	v_cmp_ne_u32_e32 vcc, 0, v6
	v_mov_b32_e32 v6, -1
	buffer_store_dword v0, off, s[0:3], s33 offset:72 ; 4-byte Folded Spill
	s_and_saveexec_b64 s[4:5], vcc
	s_cbranch_execz .LBB6_21
; %bb.20:
	s_trap 2
	ds_read_b32 v6, v0
.LBB6_21:
	s_or_b64 exec, exec, s[4:5]
	buffer_load_dword v0, off, s[0:3], s33 offset:72 ; 4-byte Folded Reload
	s_waitcnt vmcnt(0)
	v_and_b32_e32 v9, 24, v0
	v_cmp_ne_u32_e64 s[4:5], 0, v9
	s_and_saveexec_b64 s[6:7], s[4:5]
	s_cbranch_execz .LBB6_23
; %bb.22:
	s_trap 2
	s_waitcnt lgkmcnt(0)
	ds_read_b32 v6, v0
.LBB6_23:
	s_or_b64 exec, exec, s[6:7]
	v_lshrrev_b64 v[7:8], 31, v[7:8]
	v_mov_b32_e32 v8, 0
	v_mov_b32_e32 v9, 0
	buffer_store_dword v8, off, s[0:3], s33 offset:784 ; 4-byte Folded Spill
	s_nop 0
	buffer_store_dword v9, off, s[0:3], s33 offset:788 ; 4-byte Folded Spill
	v_mov_b32_e32 v8, 0
	v_mov_b32_e32 v9, 0
	buffer_store_dword v8, off, s[0:3], s33 offset:420 ; 4-byte Folded Spill
	s_nop 0
	buffer_store_dword v9, off, s[0:3], s33 offset:424 ; 4-byte Folded Spill
	buffer_store_dword v10, off, s[0:3], s33 offset:428 ; 4-byte Folded Spill
	buffer_store_dword v11, off, s[0:3], s33 offset:432 ; 4-byte Folded Spill
	v_and_b32_e32 v9, 3, v7
                                        ; implicit-def: $vgpr7_vgpr8
                                        ; kill: killed $vgpr7_vgpr8
                                        ; implicit-def: $vgpr7_vgpr8
                                        ; kill: killed $vgpr7_vgpr8
	;; [unrolled: 2-line block ×3, first 2 shown]
                                        ; implicit-def: $vgpr7_vgpr8
                                        ; implicit-def: $vgpr0
                                        ; kill: killed $vgpr0
                                        ; kill: killed $vgpr7_vgpr8
                                        ; implicit-def: $vgpr7_vgpr8
                                        ; kill: killed $vgpr7_vgpr8
	s_and_saveexec_b64 s[4:5], vcc
	s_cbranch_execz .LBB6_33
; %bb.24:
	s_trap 2
	ds_read_b64 v[14:15], v0
	s_waitcnt lgkmcnt(1)
	v_ashrrev_i32_e32 v7, 31, v6
	v_lshlrev_b64 v[7:8], 3, v[6:7]
	s_movk_i32 s6, 0xa8
	s_waitcnt lgkmcnt(0)
	v_add_co_u32_e32 v7, vcc, v14, v7
	v_addc_co_u32_e32 v8, vcc, v15, v8, vcc
	flat_load_dwordx2 v[7:8], v[7:8]
	v_and_b32_e32 v14, 0xffff, v9
	s_waitcnt vmcnt(0) lgkmcnt(0)
	v_mad_u64_u32 v[7:8], s[6:7], v14, s6, v[7:8]
	flat_load_dword v14, v[7:8] offset:640
	s_waitcnt vmcnt(0) lgkmcnt(0)
	v_cmp_eq_u32_e32 vcc, 1, v14
                                        ; implicit-def: $vgpr14_vgpr15
                                        ; kill: killed $vgpr14_vgpr15
	s_and_saveexec_b64 s[6:7], vcc
	s_cbranch_execz .LBB6_26
; %bb.25:
	flat_load_dwordx2 v[19:20], v[7:8] offset:648
	s_waitcnt vmcnt(0) lgkmcnt(0)
	flat_load_dwordx2 v[14:15], v[19:20]
	s_trap 2
	s_waitcnt vmcnt(0) lgkmcnt(0)
	ds_write_b64 v0, v[14:15]
	flat_load_dwordx2 v[14:15], v[19:20] offset:8
	s_waitcnt vmcnt(0) lgkmcnt(0)
	ds_write_b64 v0, v[14:15]
	buffer_store_dword v19, off, s[0:3], s33 offset:804 ; 4-byte Folded Spill
	s_nop 0
	buffer_store_dword v20, off, s[0:3], s33 offset:808 ; 4-byte Folded Spill
	flat_load_dwordx2 v[14:15], v[19:20] offset:16
	s_waitcnt vmcnt(0) lgkmcnt(0)
	ds_write_b64 v0, v[14:15]
	buffer_load_dword v0, off, s[0:3], s33 offset:72 ; 4-byte Folded Reload
	s_waitcnt vmcnt(0)
	v_or_b32_e32 v0, 0x2000, v0
	buffer_store_dword v0, off, s[0:3], s33 offset:72 ; 4-byte Folded Spill
.LBB6_26:
	s_or_b64 exec, exec, s[6:7]
	flat_load_dwordx2 v[14:15], v[7:8] offset:608
	buffer_load_dword v0, off, s[0:3], s33 offset:72 ; 4-byte Folded Reload
	s_waitcnt vmcnt(0) lgkmcnt(0)
	v_add_co_u32_e32 v14, vcc, 3, v14
	v_and_b32_e32 v16, 32, v0
	v_addc_co_u32_e32 v15, vcc, 0, v15, vcc
	v_and_b32_e32 v14, -4, v14
	buffer_store_dword v14, off, s[0:3], s33 offset:276 ; 4-byte Folded Spill
	s_nop 0
	buffer_store_dword v15, off, s[0:3], s33 offset:280 ; 4-byte Folded Spill
	v_cmp_ne_u32_e32 vcc, 0, v16
                                        ; implicit-def: $vgpr14_vgpr15
                                        ; kill: killed $vgpr14_vgpr15
	s_and_saveexec_b64 s[6:7], vcc
	s_cbranch_execz .LBB6_28
; %bb.27:
	flat_load_dwordx2 v[14:15], v[7:8] offset:560
	s_waitcnt vmcnt(0) lgkmcnt(0)
	buffer_store_dword v14, off, s[0:3], s33 offset:64 ; 4-byte Folded Spill
	s_nop 0
	buffer_store_dword v15, off, s[0:3], s33 offset:68 ; 4-byte Folded Spill
	buffer_load_dword v19, off, s[0:3], s33 offset:276 ; 4-byte Folded Reload
	buffer_load_dword v20, off, s[0:3], s33 offset:280 ; 4-byte Folded Reload
	s_waitcnt vmcnt(0)
	flat_store_dwordx2 v[14:15], v[19:20]
.LBB6_28:
	s_or_b64 exec, exec, s[6:7]
	v_add_co_u32_e32 v14, vcc, 0x1f8, v7
	v_addc_co_u32_e32 v15, vcc, 0, v8, vcc
	buffer_store_dword v14, off, s[0:3], s33 offset:784 ; 4-byte Folded Spill
	s_nop 0
	buffer_store_dword v15, off, s[0:3], s33 offset:788 ; 4-byte Folded Spill
	buffer_load_dword v0, off, s[0:3], s33 offset:72 ; 4-byte Folded Reload
	v_mov_b32_e32 v15, 0
	v_mov_b32_e32 v16, 0
	buffer_store_dword v15, off, s[0:3], s33 offset:420 ; 4-byte Folded Spill
	s_nop 0
	buffer_store_dword v16, off, s[0:3], s33 offset:424 ; 4-byte Folded Spill
	buffer_store_dword v17, off, s[0:3], s33 offset:428 ; 4-byte Folded Spill
	;; [unrolled: 1-line block ×3, first 2 shown]
	s_waitcnt vmcnt(0)
	v_and_b32_e32 v14, 4, v0
	v_cmp_ne_u32_e32 vcc, 0, v14
                                        ; implicit-def: $vgpr14_vgpr15
                                        ; implicit-def: $vgpr0
                                        ; kill: killed $vgpr0
                                        ; kill: killed $vgpr14_vgpr15
                                        ; implicit-def: $vgpr14_vgpr15
                                        ; kill: killed $vgpr14_vgpr15
	s_and_saveexec_b64 s[6:7], vcc
	s_cbranch_execz .LBB6_32
; %bb.29:
	buffer_load_dword v0, off, s[0:3], s33 offset:72 ; 4-byte Folded Reload
	s_waitcnt vmcnt(0)
	v_and_b32_e32 v14, 0x800, v0
	v_cmp_eq_u32_e32 vcc, 0, v14
	s_and_saveexec_b64 s[10:11], vcc
	s_cbranch_execz .LBB6_31
; %bb.30:
	s_trap 2
	buffer_load_dword v14, off, s[0:3], s33 offset:784 ; 4-byte Folded Reload
	buffer_load_dword v15, off, s[0:3], s33 offset:788 ; 4-byte Folded Reload
	s_waitcnt vmcnt(0)
	ds_write_b64 v0, v[14:15]
.LBB6_31:
	s_or_b64 exec, exec, s[10:11]
	flat_load_dwordx2 v[14:15], v[7:8] offset:552
	s_waitcnt vmcnt(0) lgkmcnt(0)
	buffer_store_dword v14, off, s[0:3], s33 offset:64 ; 4-byte Folded Spill
	s_nop 0
	buffer_store_dword v15, off, s[0:3], s33 offset:68 ; 4-byte Folded Spill
	flat_load_dwordx2 v[14:15], v[14:15] glc
	s_waitcnt vmcnt(0) lgkmcnt(0)
	buffer_store_dword v14, off, s[0:3], s33 offset:56 ; 4-byte Folded Spill
	s_nop 0
	buffer_store_dword v15, off, s[0:3], s33 offset:60 ; 4-byte Folded Spill
	flat_load_dwordx2 v[19:20], v[7:8] offset:600
	flat_load_dword v0, v[7:8] offset:576
	s_waitcnt vmcnt(0) lgkmcnt(0)
	v_cmp_eq_u64_e32 vcc, 0, v[19:20]
	flat_load_dwordx2 v[7:8], v[7:8] offset:520
	v_mov_b32_e32 v14, v19
	buffer_store_dword v0, off, s[0:3], s33 offset:456 ; 4-byte Folded Spill
	s_waitcnt vmcnt(0) lgkmcnt(0)
	buffer_store_dword v7, off, s[0:3], s33 offset:412 ; 4-byte Folded Spill
	s_nop 0
	buffer_store_dword v8, off, s[0:3], s33 offset:416 ; 4-byte Folded Spill
	buffer_load_dword v0, off, s[0:3], s33 offset:72 ; 4-byte Folded Reload
	v_mov_b32_e32 v15, v20
	buffer_store_dword v14, off, s[0:3], s33 offset:420 ; 4-byte Folded Spill
	s_nop 0
	buffer_store_dword v15, off, s[0:3], s33 offset:424 ; 4-byte Folded Spill
	buffer_store_dword v16, off, s[0:3], s33 offset:428 ; 4-byte Folded Spill
	;; [unrolled: 1-line block ×3, first 2 shown]
	s_waitcnt vmcnt(4)
	v_or_b32_e32 v7, 0x100, v0
	v_cndmask_b32_e32 v0, v7, v0, vcc
	buffer_store_dword v0, off, s[0:3], s33 offset:72 ; 4-byte Folded Spill
.LBB6_32:
	s_or_b64 exec, exec, s[6:7]
.LBB6_33:
	s_or_b64 exec, exec, s[4:5]
	buffer_load_dword v0, off, s[0:3], s33 offset:72 ; 4-byte Folded Reload
	s_waitcnt vmcnt(0)
	v_and_b32_e32 v7, 24, v0
	v_cmp_ne_u32_e32 vcc, 0, v7
                                        ; implicit-def: $vgpr7_vgpr8
                                        ; kill: killed $vgpr7_vgpr8
	s_and_saveexec_b64 s[4:5], vcc
	s_cbranch_execz .LBB6_41
; %bb.34:
	s_trap 2
	ds_read_b64 v[14:15], v0
	s_waitcnt lgkmcnt(0)
	v_ashrrev_i32_e32 v7, 31, v6
	v_lshlrev_b64 v[6:7], 3, v[6:7]
	v_and_b32_e32 v8, 0xffff, v9
	s_movk_i32 s6, 0xa8
	v_add_co_u32_e32 v6, vcc, v14, v6
	v_addc_co_u32_e32 v7, vcc, v15, v7, vcc
	flat_load_dwordx2 v[6:7], v[6:7]
	s_waitcnt vmcnt(0) lgkmcnt(0)
	v_mad_u64_u32 v[6:7], s[6:7], v8, s6, v[6:7]
	buffer_store_dword v6, off, s[0:3], s33 offset:784 ; 4-byte Folded Spill
	s_nop 0
	buffer_store_dword v7, off, s[0:3], s33 offset:788 ; 4-byte Folded Spill
	buffer_load_dword v0, off, s[0:3], s33 offset:72 ; 4-byte Folded Reload
	flat_load_dwordx4 v[19:22], v[6:7] offset:96
	s_waitcnt vmcnt(0) lgkmcnt(0)
	buffer_store_dword v19, off, s[0:3], s33 offset:420 ; 4-byte Folded Spill
	s_nop 0
	buffer_store_dword v20, off, s[0:3], s33 offset:424 ; 4-byte Folded Spill
	buffer_store_dword v21, off, s[0:3], s33 offset:428 ; 4-byte Folded Spill
	;; [unrolled: 1-line block ×3, first 2 shown]
	v_or_b32_e32 v6, 0x100, v0
	v_cmp_eq_u64_e32 vcc, 0, v[19:20]
	v_cndmask_b32_e32 v0, v6, v0, vcc
	v_and_b32_e32 v6, 16, v0
	v_cmp_ne_u32_e32 vcc, 0, v6
	buffer_store_dword v0, off, s[0:3], s33 offset:72 ; 4-byte Folded Spill
                                        ; implicit-def: $vgpr6_vgpr7
                                        ; kill: killed $vgpr6_vgpr7
	s_and_saveexec_b64 s[6:7], vcc
	s_cbranch_execz .LBB6_36
; %bb.35:
	buffer_load_dword v6, off, s[0:3], s33 offset:784 ; 4-byte Folded Reload
	buffer_load_dword v7, off, s[0:3], s33 offset:788 ; 4-byte Folded Reload
	s_waitcnt vmcnt(0)
	flat_load_dwordx2 v[8:9], v[6:7] offset:48
	s_waitcnt vmcnt(0) lgkmcnt(0)
	buffer_store_dword v8, off, s[0:3], s33 offset:64 ; 4-byte Folded Spill
	s_nop 0
	buffer_store_dword v9, off, s[0:3], s33 offset:68 ; 4-byte Folded Spill
	flat_load_dwordx2 v[8:9], v[6:7] offset:120
	s_waitcnt vmcnt(0) lgkmcnt(0)
	buffer_store_dword v8, off, s[0:3], s33 offset:436 ; 4-byte Folded Spill
	s_nop 0
	buffer_store_dword v9, off, s[0:3], s33 offset:440 ; 4-byte Folded Spill
	;; [unrolled: 5-line block ×3, first 2 shown]
.LBB6_36:
	s_or_b64 exec, exec, s[6:7]
	buffer_load_dword v6, off, s[0:3], s33 offset:420 ; 4-byte Folded Reload
	buffer_load_dword v7, off, s[0:3], s33 offset:424 ; 4-byte Folded Reload
	;; [unrolled: 1-line block ×4, first 2 shown]
	s_waitcnt vmcnt(1)
	v_add_co_u32_e32 v6, vcc, 3, v8
	s_waitcnt vmcnt(0)
	v_addc_co_u32_e32 v7, vcc, 0, v9, vcc
	v_and_b32_e32 v6, -4, v6
	buffer_store_dword v6, off, s[0:3], s33 offset:276 ; 4-byte Folded Spill
	s_nop 0
	buffer_store_dword v7, off, s[0:3], s33 offset:280 ; 4-byte Folded Spill
	buffer_load_dword v0, off, s[0:3], s33 offset:72 ; 4-byte Folded Reload
	s_waitcnt vmcnt(0)
	v_and_b32_e32 v6, 8, v0
	v_cmp_ne_u32_e32 vcc, 0, v6
	s_and_saveexec_b64 s[6:7], vcc
	s_cbranch_execz .LBB6_40
; %bb.37:
	buffer_load_dword v0, off, s[0:3], s33 offset:72 ; 4-byte Folded Reload
	s_waitcnt vmcnt(0)
	v_and_b32_e32 v6, 0x800, v0
	v_cmp_eq_u32_e32 vcc, 0, v6
	s_and_saveexec_b64 s[10:11], vcc
	s_cbranch_execz .LBB6_39
; %bb.38:
	s_trap 2
	buffer_load_dword v6, off, s[0:3], s33 offset:784 ; 4-byte Folded Reload
	buffer_load_dword v7, off, s[0:3], s33 offset:788 ; 4-byte Folded Reload
	s_waitcnt vmcnt(0)
	ds_write_b64 v0, v[6:7]
.LBB6_39:
	s_or_b64 exec, exec, s[10:11]
	buffer_load_dword v6, off, s[0:3], s33 offset:784 ; 4-byte Folded Reload
	buffer_load_dword v7, off, s[0:3], s33 offset:788 ; 4-byte Folded Reload
	s_waitcnt vmcnt(0)
	flat_load_dwordx2 v[8:9], v[6:7] offset:56
	s_waitcnt vmcnt(0) lgkmcnt(0)
	buffer_store_dword v8, off, s[0:3], s33 offset:64 ; 4-byte Folded Spill
	s_nop 0
	buffer_store_dword v9, off, s[0:3], s33 offset:68 ; 4-byte Folded Spill
	flat_load_dwordx2 v[8:9], v[8:9] glc
	s_waitcnt vmcnt(0) lgkmcnt(0)
	buffer_store_dword v8, off, s[0:3], s33 offset:56 ; 4-byte Folded Spill
	s_nop 0
	buffer_store_dword v9, off, s[0:3], s33 offset:60 ; 4-byte Folded Spill
	flat_load_dword v0, v[6:7] offset:72
	s_nop 0
	flat_load_dwordx2 v[6:7], v[6:7] offset:16
	s_waitcnt vmcnt(0) lgkmcnt(0)
	buffer_store_dword v0, off, s[0:3], s33 offset:456 ; 4-byte Folded Spill
	buffer_store_dword v6, off, s[0:3], s33 offset:412 ; 4-byte Folded Spill
	s_nop 0
	buffer_store_dword v7, off, s[0:3], s33 offset:416 ; 4-byte Folded Spill
.LBB6_40:
	s_or_b64 exec, exec, s[6:7]
.LBB6_41:
	s_or_b64 exec, exec, s[4:5]
	buffer_load_dword v0, off, s[0:3], s33 offset:480 ; 4-byte Folded Reload
	s_waitcnt vmcnt(0)
	v_cmp_eq_u32_e64 s[4:5], 0, v0
	s_and_saveexec_b64 s[6:7], s[4:5]
	s_cbranch_execz .LBB6_43
; %bb.42:
	s_waitcnt lgkmcnt(0)
	flat_load_dwordx2 v[6:7], v[2:3] offset:32
	v_mov_b32_e32 v8, v12
	v_mov_b32_e32 v9, v13
	ds_write2_b64 v0, v[8:9], v[10:11] offset1:1
	s_trap 2
	s_waitcnt vmcnt(0) lgkmcnt(0)
	ds_write_b64 v0, v[6:7]
	ds_write_b64 v0, v[4:5]
.LBB6_43:
	s_or_b64 exec, exec, s[6:7]
	v_mov_b32_e32 v4, 0
	v_mov_b32_e32 v5, 0
	buffer_store_dword v4, off, s[0:3], s33 offset:76 ; 4-byte Folded Spill
	s_nop 0
	buffer_store_dword v5, off, s[0:3], s33 offset:80 ; 4-byte Folded Spill
	buffer_load_dword v4, off, s[0:3], s33 offset:752 ; 4-byte Folded Reload
	s_nop 0
	buffer_load_dword v5, off, s[0:3], s33 offset:756 ; 4-byte Folded Reload
	s_waitcnt lgkmcnt(0)
	buffer_load_dword v6, off, s[0:3], s33 offset:760 ; 4-byte Folded Reload
	buffer_load_dword v7, off, s[0:3], s33 offset:764 ; 4-byte Folded Reload
	s_waitcnt vmcnt(2)
	v_cmp_lt_i64_e32 vcc, 0, v[4:5]
	s_mov_b64 s[6:7], exec
	v_writelane_b32 v62, s6, 2
	v_writelane_b32 v62, s7, 3
	s_and_b64 s[6:7], s[6:7], vcc
	s_mov_b64 exec, s[6:7]
	s_cbranch_execnz .LBB6_44
; %bb.28865:
	s_getpc_b64 s[98:99]
.Lpost_getpc41:
	s_add_u32 s98, s98, (.LBB6_28800-.Lpost_getpc41)&4294967295
	s_addc_u32 s99, s99, (.LBB6_28800-.Lpost_getpc41)>>32
	s_setpc_b64 s[98:99]
.LBB6_44:
	v_mov_b32_e32 v33, 0
	v_and_b32_e32 v4, 0x3ffffe00, v17
	v_mov_b32_e32 v5, v33
	buffer_store_dword v4, off, s[0:3], s33 offset:700 ; 4-byte Folded Spill
	s_nop 0
	buffer_store_dword v5, off, s[0:3], s33 offset:704 ; 4-byte Folded Spill
	v_writelane_b32 v62, s28, 4
	s_ashr_i32 s67, s66, 31
	v_writelane_b32 v62, s29, 5
	flat_load_dword v0, v[2:3] offset:4
	v_and_b32_e32 v2, 63, v31
	buffer_load_dword v3, off, s[0:3], s33 offset:480 ; 4-byte Folded Reload
	s_waitcnt vmcnt(0)
	v_lshrrev_b32_e32 v6, 6, v1
	buffer_store_dword v31, off, s[0:3], s33 offset:800 ; 4-byte Folded Spill
	v_lshlrev_b32_e32 v8, 13, v6
	v_lshlrev_b32_e32 v9, 11, v6
	v_cmp_eq_u32_e64 s[10:11], 64, v1
	v_cmp_ne_u32_e64 s[12:13], 64, v1
	s_mov_b32 s56, -1
	s_mov_b32 s57, 0xffffff
	s_mov_b64 s[60:61], 0
	s_movk_i32 s82, 0xfc00
	s_movk_i32 s86, 0x7c
	s_brev_b32 s87, 1
	s_movk_i32 s96, 0xff
	s_movk_i32 s97, 0x80
	;; [unrolled: 1-line block ×3, first 2 shown]
	s_mov_b64 s[76:77], 0x7f800000
	s_mov_b64 s[78:79], 0x47600001
	s_movk_i32 s47, 0x72
	s_mov_b64 s[88:89], 0xffffff
	s_movk_i32 s44, 0x7f
	s_mov_b32 s45, 0x7c0000
	s_brev_b32 s68, 62
	s_movk_i32 s69, 0x108
	v_mad_i64_i32 v[4:5], s[6:7], v4, s66, 0
	s_add_u32 s6, s66, -1
	v_writelane_b32 v62, s6, 6
	s_addc_u32 s6, s67, -1
	v_writelane_b32 v62, s6, 7
	s_add_i32 s70, s66, s66
	s_not_b32 s6, s66
	s_cmp_gt_i32 s66, 0
	s_cselect_b32 s6, s6, -1
	s_add_i32 s71, s6, s70
	s_ashr_i32 s6, s71, 31
	v_writelane_b32 v62, s6, 8
	s_ashr_i32 s6, s8, 31
	s_lshr_b32 s6, s6, 25
	s_add_i32 s8, s8, s6
	v_cmp_eq_u32_e64 s[6:7], 0, v2
	buffer_load_dword v2, off, s[0:3], s33 offset:456 ; 4-byte Folded Reload
	s_waitcnt lgkmcnt(0)
	v_and_b32_e32 v0, 1, v0
	v_cmp_ge_u32_e32 vcc, v3, v1
	v_cmp_eq_u32_e64 s[18:19], 1, v0
	s_ashr_i32 s81, s8, 7
	v_and_b32_e32 v7, 63, v3
	v_lshrrev_b32_e32 v3, 6, v3
	s_cmp_gt_i32 s66, 2
	s_cselect_b64 s[8:9], -1, 0
	v_writelane_b32 v62, s8, 9
	v_writelane_b32 v62, s9, 10
	s_movk_i32 s8, 0x400
	s_xor_b64 s[72:73], s[18:19], -1
	v_cmp_eq_u32_e64 s[14:15], 0, v7
	v_cmp_lt_u32_e64 s[16:17], v7, v18
	v_cmp_le_u32_e64 s[24:25], v7, v18
	s_waitcnt vmcnt(0)
	v_ashrrev_i32_e32 v2, 31, v2
	buffer_store_dword v2, off, s[0:3], s33 offset:476 ; 4-byte Folded Spill
	s_trap 2
	buffer_load_dword v2, off, s[0:3], s33 offset:792 ; 4-byte Folded Reload
	s_waitcnt vmcnt(0)
	v_cmp_ne_u32_sdwa s[58:59], v1, v2 src0_sel:DWORD src1_sel:WORD_0
	buffer_store_dword v8, off, s[0:3], s33 offset:684 ; 4-byte Folded Spill
	buffer_store_dword v9, off, s[0:3], s33 offset:396 ; 4-byte Folded Spill
	;; [unrolled: 1-line block ×3, first 2 shown]
	v_and_b32_e32 v9, 0x3fc0, v1
	buffer_load_dword v0, off, s[0:3], s33 offset:436 ; 4-byte Folded Reload
	buffer_load_dword v1, off, s[0:3], s33 offset:440 ; 4-byte Folded Reload
	v_lshlrev_b32_e32 v2, 4, v7
	v_lshlrev_b32_e32 v8, 10, v6
	buffer_store_dword v7, off, s[0:3], s33 offset:688 ; 4-byte Folded Spill
	s_waitcnt vmcnt(1)
	v_cmp_eq_u64_e64 s[20:21], 0, v[0:1]
	v_cmp_ne_u64_e64 s[22:23], 0, v[0:1]
	v_lshl_or_b32 v0, v3, 12, v2
	buffer_store_dword v0, off, s[0:3], s33 offset:680 ; 4-byte Folded Spill
	buffer_store_dword v6, off, s[0:3], s33 offset:284 ; 4-byte Folded Spill
	v_lshlrev_b32_e32 v0, 12, v6
	buffer_store_dword v0, off, s[0:3], s33 offset:408 ; 4-byte Folded Spill
	v_add_u32_e32 v0, 0xfffffc00, v8
	v_ashrrev_i32_e32 v1, 31, v0
	buffer_store_dword v0, off, s[0:3], s33 offset:484 ; 4-byte Folded Spill
	v_add_co_u32_e64 v0, s[26:27], s8, v0
	buffer_store_dword v8, off, s[0:3], s33 offset:444 ; 4-byte Folded Spill
	buffer_store_dword v0, off, s[0:3], s33 offset:492 ; 4-byte Folded Spill
	buffer_store_dword v1, off, s[0:3], s33 offset:488 ; 4-byte Folded Spill
	v_addc_co_u32_e64 v0, s[26:27], 0, v1, s[26:27]
	buffer_store_dword v0, off, s[0:3], s33 offset:496 ; 4-byte Folded Spill
	buffer_store_dword v9, off, s[0:3], s33 offset:404 ; 4-byte Folded Spill
	v_subrev_u32_e32 v0, 64, v9
	v_ashrrev_i32_e32 v1, 31, v0
	buffer_store_dword v0, off, s[0:3], s33 offset:460 ; 4-byte Folded Spill
	v_add_co_u32_e64 v0, s[26:27], 64, v0
	buffer_store_dword v0, off, s[0:3], s33 offset:468 ; 4-byte Folded Spill
	buffer_store_dword v1, off, s[0:3], s33 offset:464 ; 4-byte Folded Spill
	v_addc_co_u32_e64 v0, s[26:27], 0, v1, s[26:27]
	buffer_store_dword v0, off, s[0:3], s33 offset:472 ; 4-byte Folded Spill
	v_lshl_or_b32 v0, v3, 13, v2
	buffer_store_dword v0, off, s[0:3], s33 offset:528 ; 4-byte Folded Spill
	v_mov_b32_e32 v0, 0
	v_mov_b32_e32 v1, 0
	buffer_store_dword v3, off, s[0:3], s33 offset:524 ; 4-byte Folded Spill
	buffer_store_dword v0, off, s[0:3], s33 offset:76 ; 4-byte Folded Spill
	s_nop 0
	buffer_store_dword v1, off, s[0:3], s33 offset:80 ; 4-byte Folded Spill
	buffer_load_dword v0, off, s[0:3], s33 offset:752 ; 4-byte Folded Reload
	s_nop 0
	buffer_load_dword v1, off, s[0:3], s33 offset:756 ; 4-byte Folded Reload
	buffer_load_dword v2, off, s[0:3], s33 offset:760 ; 4-byte Folded Reload
	;; [unrolled: 1-line block ×3, first 2 shown]
	s_add_i32 s8, s66, 1
	s_cmp_ge_i32 s8, s66
	s_cselect_b32 s9, s66, 0
	s_sub_i32 s83, s8, s9
	s_ashr_i32 s8, s83, 31
	v_mov_b32_e32 v6, 0
	v_writelane_b32 v62, s8, 11
	s_add_i32 s85, s66, -2
	v_mov_b32_e32 v7, 0
	s_xor_b64 s[74:75], vcc, -1
	s_movk_i32 s9, 0x1000
	s_movk_i32 s8, 0xffc0
	buffer_store_dword v4, off, s[0:3], s33 offset:776 ; 4-byte Folded Spill
	s_nop 0
	buffer_store_dword v5, off, s[0:3], s33 offset:780 ; 4-byte Folded Spill
	s_branch .LBB6_47
.LBB6_45:                               ;   in Loop: Header=BB6_47 Depth=1
	s_or_b64 exec, exec, s[40:41]
.LBB6_46:                               ;   in Loop: Header=BB6_47 Depth=1
	s_or_b64 exec, exec, s[28:29]
	buffer_load_dword v4, off, s[0:3], s33 offset:776 ; 4-byte Folded Reload
	buffer_load_dword v5, off, s[0:3], s33 offset:780 ; 4-byte Folded Reload
	;; [unrolled: 1-line block ×8, first 2 shown]
	s_waitcnt vmcnt(0)
	v_add_co_u32_e32 v6, vcc, v6, v4
	v_addc_co_u32_e32 v7, vcc, v7, v5, vcc
	v_cmp_ge_i64_e32 vcc, v[6:7], v[0:1]
	s_or_b64 s[60:61], vcc, s[60:61]
	s_andn2_b64 exec, exec, s[60:61]
	s_cbranch_execnz .LBB6_47
; %bb.28867:
	s_getpc_b64 s[98:99]
.Lpost_getpc42:
	s_add_u32 s98, s98, (.LBB6_28799-.Lpost_getpc42)&4294967295
	s_addc_u32 s99, s99, (.LBB6_28799-.Lpost_getpc42)>>32
	s_setpc_b64 s[98:99]
.LBB6_47:                               ; =>This Loop Header: Depth=1
                                        ;     Child Loop BB6_57 Depth 2
                                        ;       Child Loop BB6_65 Depth 3
                                        ;       Child Loop BB6_89 Depth 3
	;; [unrolled: 1-line block ×9, first 2 shown]
                                        ;     Child Loop BB6_5315 Depth 2
                                        ;       Child Loop BB6_5321 Depth 3
                                        ;       Child Loop BB6_5345 Depth 3
	;; [unrolled: 1-line block ×3, first 2 shown]
                                        ;     Child Loop BB6_5387 Depth 2
                                        ;       Child Loop BB6_5390 Depth 3
                                        ;         Child Loop BB6_5398 Depth 4
                                        ;         Child Loop BB6_5426 Depth 4
	;; [unrolled: 1-line block ×9, first 2 shown]
                                        ;       Child Loop BB6_13026 Depth 3
                                        ;         Child Loop BB6_13032 Depth 4
                                        ;         Child Loop BB6_13060 Depth 4
	;; [unrolled: 1-line block ×3, first 2 shown]
                                        ;     Child Loop BB6_13101 Depth 2
                                        ;       Child Loop BB6_13109 Depth 3
                                        ;       Child Loop BB6_13137 Depth 3
	;; [unrolled: 1-line block ×9, first 2 shown]
                                        ;         Child Loop BB6_18274 Depth 4
                                        ;       Child Loop BB6_18303 Depth 3
                                        ;       Child Loop BB6_20616 Depth 3
                                        ;         Child Loop BB6_20695 Depth 4
                                        ;       Child Loop BB6_28224 Depth 3
                                        ;       Child Loop BB6_28243 Depth 3
                                        ;     Child Loop BB6_28261 Depth 2
                                        ;       Child Loop BB6_28267 Depth 3
                                        ;       Child Loop BB6_28295 Depth 3
	;; [unrolled: 1-line block ×3, first 2 shown]
                                        ;     Child Loop BB6_28337 Depth 2
                                        ;       Child Loop BB6_28340 Depth 3
                                        ;         Child Loop BB6_28348 Depth 4
                                        ;         Child Loop BB6_28376 Depth 4
	;; [unrolled: 1-line block ×9, first 2 shown]
                                        ;           Child Loop BB6_28430 Depth 5
                                        ;         Child Loop BB6_28437 Depth 4
                                        ;         Child Loop BB6_28442 Depth 4
                                        ;           Child Loop BB6_28443 Depth 5
                                        ;         Child Loop BB6_28479 Depth 4
                                        ;         Child Loop BB6_28498 Depth 4
                                        ;       Child Loop BB6_28516 Depth 3
                                        ;         Child Loop BB6_28522 Depth 4
                                        ;         Child Loop BB6_28550 Depth 4
	;; [unrolled: 1-line block ×3, first 2 shown]
                                        ;     Child Loop BB6_28595 Depth 2
                                        ;       Child Loop BB6_28603 Depth 3
                                        ;       Child Loop BB6_28627 Depth 3
	;; [unrolled: 1-line block ×9, first 2 shown]
                                        ;     Child Loop BB6_28733 Depth 2
                                        ;       Child Loop BB6_28739 Depth 3
                                        ;       Child Loop BB6_28763 Depth 3
	;; [unrolled: 1-line block ×3, first 2 shown]
	s_waitcnt vmcnt(0)
	v_sub_co_u32_e32 v0, vcc, v0, v6
	buffer_store_dword v6, off, s[0:3], s33 offset:740 ; 4-byte Folded Spill
	s_nop 0
	buffer_store_dword v7, off, s[0:3], s33 offset:744 ; 4-byte Folded Spill
	s_waitcnt vmcnt(6)
	v_subb_co_u32_e32 v1, vcc, v1, v7, vcc
	buffer_store_dword v0, off, s[0:3], s33 offset:692 ; 4-byte Folded Spill
	s_nop 0
	buffer_store_dword v1, off, s[0:3], s33 offset:696 ; 4-byte Folded Spill
	v_cmp_lt_i64_e32 vcc, v[0:1], v[4:5]
	s_and_saveexec_b64 s[28:29], vcc
	s_cbranch_execz .LBB6_53
; %bb.48:                               ;   in Loop: Header=BB6_47 Depth=1
	buffer_load_dword v2, off, s[0:3], s33 offset:692 ; 4-byte Folded Reload
	buffer_load_dword v3, off, s[0:3], s33 offset:696 ; 4-byte Folded Reload
	v_readlane_b32 s26, v62, 7
	v_mov_b32_e32 v0, s26
	v_readlane_b32 s26, v62, 6
	s_waitcnt vmcnt(0)
	v_add_co_u32_e32 v2, vcc, s26, v2
	s_waitcnt vmcnt(0)
	v_addc_co_u32_e32 v3, vcc, v0, v3, vcc
	v_or_b32_e32 v1, s67, v3
	v_mov_b32_e32 v0, v33
	v_cmp_ne_u64_e32 vcc, 0, v[0:1]
                                        ; implicit-def: $vgpr0_vgpr1
	s_and_saveexec_b64 s[26:27], vcc
	s_xor_b64 s[40:41], exec, s[26:27]
	s_cbranch_execz .LBB6_50
; %bb.49:                               ;   in Loop: Header=BB6_47 Depth=1
	s_ashr_i32 s42, s67, 31
	s_add_u32 s26, s66, s42
	s_mov_b32 s43, s42
	s_addc_u32 s27, s67, s42
	s_xor_b64 s[90:91], s[26:27], s[42:43]
	v_cvt_f32_u32_e32 v0, s90
	v_cvt_f32_u32_e32 v1, s91
	s_sub_u32 s43, 0, s90
	s_subb_u32 s62, 0, s91
	v_ashrrev_i32_e32 v4, 31, v3
	v_mac_f32_e32 v0, 0x4f800000, v1
	v_rcp_f32_e32 v0, v0
	v_mul_f32_e32 v0, 0x5f7ffffc, v0
	v_mul_f32_e32 v1, 0x2f800000, v0
	v_trunc_f32_e32 v1, v1
	v_mac_f32_e32 v0, 0xcf800000, v1
	v_cvt_u32_f32_e32 v1, v1
	v_cvt_u32_f32_e32 v0, v0
	v_readfirstlane_b32 s63, v1
	v_readfirstlane_b32 s26, v0
	s_mul_i32 s27, s43, s63
	s_mul_hi_u32 s93, s43, s26
	s_mul_i32 s92, s62, s26
	s_add_i32 s27, s93, s27
	s_add_i32 s27, s27, s92
	s_mul_i32 s94, s43, s26
	s_mul_i32 s93, s26, s27
	s_mul_hi_u32 s95, s26, s94
	s_mul_hi_u32 s92, s26, s27
	s_add_u32 s93, s95, s93
	s_addc_u32 s92, 0, s92
	s_mul_hi_u32 vcc_lo, s63, s94
	s_mul_i32 s94, s63, s94
	s_add_u32 s93, s93, s94
	s_mul_hi_u32 s95, s63, s27
	s_addc_u32 s92, s92, vcc_lo
	s_addc_u32 s93, s95, 0
	s_mul_i32 s27, s63, s27
	s_add_u32 s27, s92, s27
	s_addc_u32 s92, 0, s93
	s_add_u32 s93, s26, s27
	s_cselect_b64 s[26:27], -1, 0
	s_cmp_lg_u64 s[26:27], 0
	s_addc_u32 s63, s63, s92
	s_mul_i32 s26, s43, s63
	s_mul_hi_u32 s27, s43, s93
	s_add_i32 s26, s27, s26
	s_mul_i32 s62, s62, s93
	s_add_i32 s26, s26, s62
	s_mul_i32 s43, s43, s93
	s_mul_hi_u32 s62, s63, s43
	s_mul_i32 s92, s63, s43
	s_mul_i32 s95, s93, s26
	s_mul_hi_u32 s43, s93, s43
	s_mul_hi_u32 s94, s93, s26
	s_add_u32 s43, s43, s95
	s_addc_u32 s94, 0, s94
	s_add_u32 s43, s43, s92
	s_mul_hi_u32 s27, s63, s26
	s_addc_u32 s43, s94, s62
	s_addc_u32 s27, s27, 0
	s_mul_i32 s26, s63, s26
	s_add_u32 s26, s43, s26
	s_addc_u32 s43, 0, s27
	s_add_u32 s62, s93, s26
	s_cselect_b64 s[26:27], -1, 0
	s_cmp_lg_u64 s[26:27], 0
	v_add_co_u32_e32 v0, vcc, v2, v4
	s_addc_u32 s43, s63, s43
	v_xor_b32_e32 v5, v0, v4
	v_addc_co_u32_e32 v2, vcc, v3, v4, vcc
	v_mad_u64_u32 v[0:1], s[26:27], v5, s43, 0
	v_mul_hi_u32 v3, v5, s62
	v_xor_b32_e32 v6, v2, v4
	v_add_co_u32_e32 v7, vcc, v3, v0
	v_addc_co_u32_e32 v8, vcc, 0, v1, vcc
	v_mad_u64_u32 v[0:1], s[26:27], v6, s62, 0
	v_mad_u64_u32 v[2:3], s[26:27], v6, s43, 0
	v_add_co_u32_e32 v0, vcc, v7, v0
	v_addc_co_u32_e32 v0, vcc, v8, v1, vcc
	v_addc_co_u32_e32 v1, vcc, 0, v3, vcc
	v_add_co_u32_e32 v2, vcc, v0, v2
	v_addc_co_u32_e32 v3, vcc, 0, v1, vcc
	v_mul_lo_u32 v7, s91, v2
	v_mul_lo_u32 v8, s90, v3
	v_mad_u64_u32 v[0:1], s[26:27], s90, v2, 0
	v_add3_u32 v1, v1, v8, v7
	v_sub_u32_e32 v7, v6, v1
	v_mov_b32_e32 v8, s91
	v_sub_co_u32_e32 v0, vcc, v5, v0
	v_subb_co_u32_e64 v5, s[26:27], v7, v8, vcc
	v_subrev_co_u32_e64 v7, s[26:27], s90, v0
	v_subbrev_co_u32_e64 v5, s[26:27], 0, v5, s[26:27]
	v_cmp_le_u32_e64 s[26:27], s91, v5
	v_cndmask_b32_e64 v8, 0, -1, s[26:27]
	v_cmp_le_u32_e64 s[26:27], s90, v7
	v_cndmask_b32_e64 v7, 0, -1, s[26:27]
	v_cmp_eq_u32_e64 s[26:27], s91, v5
	v_cndmask_b32_e64 v5, v8, v7, s[26:27]
	v_add_co_u32_e64 v7, s[26:27], 2, v2
	v_subb_co_u32_e32 v1, vcc, v6, v1, vcc
	v_addc_co_u32_e64 v8, s[26:27], 0, v3, s[26:27]
	v_cmp_le_u32_e32 vcc, s91, v1
	v_add_co_u32_e64 v9, s[26:27], 1, v2
	v_cndmask_b32_e64 v6, 0, -1, vcc
	v_cmp_le_u32_e32 vcc, s90, v0
	v_addc_co_u32_e64 v10, s[26:27], 0, v3, s[26:27]
	v_cndmask_b32_e64 v0, 0, -1, vcc
	v_cmp_eq_u32_e32 vcc, s91, v1
	v_cmp_ne_u32_e64 s[26:27], 0, v5
	v_cndmask_b32_e32 v0, v6, v0, vcc
	v_cndmask_b32_e64 v5, v10, v8, s[26:27]
	v_cmp_ne_u32_e32 vcc, 0, v0
	v_cndmask_b32_e64 v1, v9, v7, s[26:27]
	v_cndmask_b32_e32 v0, v3, v5, vcc
	v_cndmask_b32_e32 v1, v2, v1, vcc
	v_xor_b32_e32 v2, s42, v4
	v_xor_b32_e32 v3, v0, v2
	;; [unrolled: 1-line block ×3, first 2 shown]
	v_sub_co_u32_e32 v0, vcc, v0, v2
	v_subb_co_u32_e32 v1, vcc, v3, v2, vcc
                                        ; implicit-def: $vgpr2
.LBB6_50:                               ;   in Loop: Header=BB6_47 Depth=1
	s_andn2_saveexec_b64 s[40:41], s[40:41]
	s_cbranch_execz .LBB6_52
; %bb.51:                               ;   in Loop: Header=BB6_47 Depth=1
	v_cvt_f32_u32_e32 v0, s66
	s_sub_i32 s26, 0, s66
	v_rcp_iflag_f32_e32 v0, v0
	v_mul_f32_e32 v0, 0x4f7ffffe, v0
	v_cvt_u32_f32_e32 v0, v0
	v_mul_lo_u32 v1, s26, v0
	v_mul_hi_u32 v1, v0, v1
	v_add_u32_e32 v0, v0, v1
	v_mul_hi_u32 v0, v2, v0
	v_mul_lo_u32 v1, v0, s66
	v_sub_u32_e32 v1, v2, v1
	v_cmp_le_u32_e32 vcc, s66, v1
	v_subrev_u32_e32 v2, s66, v1
	v_cndmask_b32_e32 v1, v1, v2, vcc
	v_cmp_le_u32_e64 s[26:27], s66, v1
	v_add_u32_e32 v1, 1, v0
	v_cndmask_b32_e32 v0, v0, v1, vcc
	v_add_u32_e32 v1, 1, v0
	v_cndmask_b32_e64 v0, v0, v1, s[26:27]
	v_mov_b32_e32 v1, v33
.LBB6_52:                               ;   in Loop: Header=BB6_47 Depth=1
	s_or_b64 exec, exec, s[40:41]
	v_add_co_u32_e32 v0, vcc, 15, v0
	v_addc_co_u32_e32 v1, vcc, 0, v1, vcc
	v_and_b32_e32 v0, -16, v0
	buffer_store_dword v0, off, s[0:3], s33 offset:700 ; 4-byte Folded Spill
	s_nop 0
	buffer_store_dword v1, off, s[0:3], s33 offset:704 ; 4-byte Folded Spill
.LBB6_53:                               ;   in Loop: Header=BB6_47 Depth=1
	s_or_b64 exec, exec, s[28:29]
	buffer_load_dword v4, off, s[0:3], s33 offset:700 ; 4-byte Folded Reload
	buffer_load_dword v5, off, s[0:3], s33 offset:704 ; 4-byte Folded Reload
	v_readlane_b32 s26, v62, 8
	v_mov_b32_e32 v10, 0
	s_waitcnt vmcnt(0)
	v_mul_lo_u32 v1, v4, s26
	s_waitcnt vmcnt(0)
	v_mul_lo_u32 v0, v5, s71
	v_mad_u64_u32 v[6:7], s[26:27], v4, s71, 0
	v_add3_u32 v7, v7, v1, v0
	buffer_load_dword v0, off, s[0:3], s33 offset:768 ; 4-byte Folded Reload
	buffer_load_dword v1, off, s[0:3], s33 offset:772 ; 4-byte Folded Reload
	;; [unrolled: 1-line block ×4, first 2 shown]
	s_waitcnt vmcnt(0)
	v_add_co_u32_e32 v0, vcc, v2, v0
	buffer_store_dword v0, off, s[0:3], s33 offset:500 ; 4-byte Folded Spill
	s_waitcnt vmcnt(1)
	v_addc_co_u32_e32 v0, vcc, v3, v1, vcc
	buffer_store_dword v0, off, s[0:3], s33 offset:504 ; 4-byte Folded Spill
	buffer_load_dword v0, off, s[0:3], s33 offset:692 ; 4-byte Folded Reload
	s_nop 0
	buffer_load_dword v1, off, s[0:3], s33 offset:696 ; 4-byte Folded Reload
	s_waitcnt vmcnt(0)
	v_sub_co_u32_e32 v0, vcc, v0, v6
	buffer_store_dword v6, off, s[0:3], s33 offset:732 ; 4-byte Folded Spill
	s_nop 0
	buffer_store_dword v7, off, s[0:3], s33 offset:736 ; 4-byte Folded Spill
	s_waitcnt vmcnt(2)
	v_subb_co_u32_e32 v1, vcc, v1, v7, vcc
	v_cmp_lt_i64_e32 vcc, v[4:5], v[0:1]
	v_cndmask_b32_e32 v1, v0, v4, vcc
	v_max_i32_e32 v7, 0, v1
	v_add_u32_e32 v2, 31, v7
	v_lshrrev_b32_e32 v2, 1, v2
	v_and_b32_e32 v2, 0x3ffffff0, v2
	v_cmp_lt_i32_e32 vcc, 0, v1
	v_mov_b32_e32 v0, 0
	v_max_i32_e32 v8, s81, v2
	s_and_b64 s[26:27], s[74:75], vcc
	s_and_saveexec_b64 s[42:43], s[26:27]
	s_cbranch_execnz .LBB6_54
; %bb.28869:                            ;   in Loop: Header=BB6_47 Depth=1
	s_getpc_b64 s[98:99]
.Lpost_getpc43:
	s_add_u32 s98, s98, (.LBB6_5311-.Lpost_getpc43)&4294967295
	s_addc_u32 s99, s99, (.LBB6_5311-.Lpost_getpc43)>>32
	s_setpc_b64 s[98:99]
.LBB6_54:                               ;   in Loop: Header=BB6_47 Depth=1
	s_mov_b32 s64, 1
	s_mov_b64 s[92:93], -1
	v_mov_b32_e32 v10, 0
	s_mov_b64 s[90:91], 0
	buffer_store_dword v7, off, s[0:3], s33 offset:728 ; 4-byte Folded Spill
	s_branch .LBB6_57
.LBB6_55:                               ;   in Loop: Header=BB6_57 Depth=2
	s_or_b64 exec, exec, s[28:29]
	buffer_load_dword v2, off, s[0:3], s33 offset:276 ; 4-byte Folded Reload
	buffer_load_dword v3, off, s[0:3], s33 offset:280 ; 4-byte Folded Reload
	;; [unrolled: 1-line block ×4, first 2 shown]
	s_waitcnt vmcnt(0)
	v_add_co_u32_e32 v2, vcc, 2, v2
	v_addc_co_u32_e32 v3, vcc, 0, v3, vcc
	buffer_store_dword v2, off, s[0:3], s33 offset:276 ; 4-byte Folded Spill
	s_nop 0
	buffer_store_dword v3, off, s[0:3], s33 offset:280 ; 4-byte Folded Spill
	flat_store_dwordx2 v[0:1], v[2:3]
.LBB6_56:                               ;   in Loop: Header=BB6_57 Depth=2
	s_or_b64 exec, exec, s[26:27]
	s_waitcnt vmcnt(0)
	v_add_u32_e32 v10, v8, v10
	v_cmp_ge_i32_e32 vcc, v10, v7
	s_xor_b64 s[26:27], s[92:93], -1
	s_or_b64 s[26:27], s[26:27], vcc
	s_and_b64 s[26:27], exec, s[26:27]
	s_or_b64 s[90:91], s[26:27], s[90:91]
	s_mov_b64 s[92:93], 0
	v_mov_b32_e32 v0, s64
	s_mov_b32 s64, 2
	s_andn2_b64 exec, exec, s[90:91]
	s_cbranch_execnz .LBB6_57
; %bb.28871:                            ;   in Loop: Header=BB6_47 Depth=1
	s_getpc_b64 s[98:99]
.Lpost_getpc44:
	s_add_u32 s98, s98, (.LBB6_5310-.Lpost_getpc44)&4294967295
	s_addc_u32 s99, s99, (.LBB6_5310-.Lpost_getpc44)>>32
	s_setpc_b64 s[98:99]
.LBB6_57:                               ;   Parent Loop BB6_47 Depth=1
                                        ; =>  This Loop Header: Depth=2
                                        ;       Child Loop BB6_65 Depth 3
                                        ;       Child Loop BB6_89 Depth 3
	;; [unrolled: 1-line block ×9, first 2 shown]
	s_and_saveexec_b64 s[26:27], s[4:5]
	s_cbranch_execz .LBB6_59
; %bb.58:                               ;   in Loop: Header=BB6_57 Depth=2
	s_trap 2
	buffer_load_dword v2, off, s[0:3], s33 offset:500 ; 4-byte Folded Reload
	ds_read_b64 v[0:1], v0
	s_waitcnt vmcnt(0) lgkmcnt(0)
	v_add_co_u32_e32 v0, vcc, v0, v2
	buffer_load_dword v2, off, s[0:3], s33 offset:504 ; 4-byte Folded Reload
	s_waitcnt vmcnt(0)
	v_addc_co_u32_e32 v1, vcc, v1, v2, vcc
	buffer_load_dword v2, off, s[0:3], s33 offset:732 ; 4-byte Folded Reload
	buffer_load_dword v3, off, s[0:3], s33 offset:736 ; 4-byte Folded Reload
	s_waitcnt vmcnt(1)
	v_add_co_u32_e32 v0, vcc, v0, v2
	s_waitcnt vmcnt(0)
	v_addc_co_u32_e32 v1, vcc, v1, v3, vcc
	v_ashrrev_i32_e32 v2, 31, v10
	v_add_co_u32_e32 v0, vcc, v0, v10
	v_addc_co_u32_e32 v1, vcc, v1, v2, vcc
	ds_write_b64 v0, v[0:1]
	v_mov_b32_e32 v0, v33
	v_mov_b32_e32 v1, v33
	ds_write_b64 v0, v[0:1]
.LBB6_59:                               ;   in Loop: Header=BB6_57 Depth=2
	s_or_b64 exec, exec, s[26:27]
	v_sub_u32_e32 v0, v7, v10
	v_min_i32_e32 v8, v8, v0
	buffer_load_dword v0, off, s[0:3], s33 offset:72 ; 4-byte Folded Reload
	s_waitcnt vmcnt(0)
	v_and_b32_e32 v0, 8, v0
	v_cmp_ne_u32_e32 vcc, 0, v0
	s_and_saveexec_b64 s[28:29], vcc
	s_cbranch_execz .LBB6_81
; %bb.60:                               ;   in Loop: Header=BB6_57 Depth=2
	buffer_load_dword v0, off, s[0:3], s33 offset:56 ; 4-byte Folded Reload
	buffer_load_dword v1, off, s[0:3], s33 offset:60 ; 4-byte Folded Reload
	s_waitcnt vmcnt(0)
	v_add_co_u32_e32 v2, vcc, 8, v0
	s_waitcnt vmcnt(0)
	v_addc_co_u32_e32 v3, vcc, 0, v1, vcc
	buffer_load_dword v0, off, s[0:3], s33 offset:276 ; 4-byte Folded Reload
	buffer_load_dword v1, off, s[0:3], s33 offset:280 ; 4-byte Folded Reload
	s_waitcnt vmcnt(0)
	v_add_co_u32_e32 v0, vcc, 2, v0
	s_waitcnt vmcnt(0)
	v_addc_co_u32_e32 v1, vcc, 0, v1, vcc
	v_cmp_lt_u64_e32 vcc, v[2:3], v[0:1]
	s_and_saveexec_b64 s[40:41], vcc
	s_cbranch_execz .LBB6_72
; %bb.61:                               ;   in Loop: Header=BB6_57 Depth=2
	buffer_load_dword v2, off, s[0:3], s33 offset:72 ; 4-byte Folded Reload
	s_mov_b32 s65, 0
	s_mov_b64 s[94:95], 0
                                        ; implicit-def: $sgpr30_sgpr31
                                        ; implicit-def: $sgpr34_sgpr35
                                        ; implicit-def: $sgpr36_sgpr37
	s_waitcnt vmcnt(0)
	v_and_b32_e32 v2, 64, v2
	v_cmp_eq_u32_e32 vcc, 0, v2
	s_branch .LBB6_65
.LBB6_62:                               ;   in Loop: Header=BB6_65 Depth=3
	buffer_load_dword v3, off, s[0:3], s33 offset:56 ; 4-byte Folded Reload
	buffer_load_dword v4, off, s[0:3], s33 offset:60 ; 4-byte Folded Reload
	s_or_b64 s[50:51], s[50:51], exec
	s_waitcnt vmcnt(1)
	v_add_co_u32_e64 v3, s[26:27], 8, v3
	s_waitcnt vmcnt(0)
	v_addc_co_u32_e64 v4, s[26:27], 0, v4, s[26:27]
	v_cmp_ge_u64_e64 s[26:27], v[3:4], v[0:1]
	s_orn2_b64 s[48:49], s[26:27], exec
.LBB6_63:                               ;   in Loop: Header=BB6_65 Depth=3
	s_or_b64 exec, exec, s[54:55]
	s_andn2_b64 s[26:27], s[36:37], exec
	s_and_b64 s[62:63], s[50:51], exec
	s_or_b64 s[36:37], s[26:27], s[62:63]
	s_andn2_b64 s[26:27], s[34:35], exec
	s_and_b64 s[62:63], s[48:49], exec
	s_or_b64 s[34:35], s[26:27], s[62:63]
.LBB6_64:                               ;   in Loop: Header=BB6_65 Depth=3
	s_or_b64 exec, exec, s[38:39]
	s_and_b64 s[26:27], exec, s[34:35]
	s_or_b64 s[94:95], s[26:27], s[94:95]
	s_andn2_b64 s[26:27], s[30:31], exec
	s_and_b64 s[62:63], s[36:37], exec
	s_or_b64 s[30:31], s[26:27], s[62:63]
	s_andn2_b64 exec, exec, s[94:95]
	s_cbranch_execz .LBB6_69
.LBB6_65:                               ;   Parent Loop BB6_47 Depth=1
                                        ;     Parent Loop BB6_57 Depth=2
                                        ; =>    This Inner Loop Header: Depth=3
	s_sleep 1
	buffer_load_dword v2, off, s[0:3], s33 offset:64 ; 4-byte Folded Reload
	buffer_load_dword v3, off, s[0:3], s33 offset:68 ; 4-byte Folded Reload
	s_or_b64 s[36:37], s[36:37], exec
	s_or_b64 s[34:35], s[34:35], exec
	s_waitcnt vmcnt(0)
	flat_load_dwordx2 v[2:3], v[2:3] glc
	s_waitcnt vmcnt(0) lgkmcnt(0)
	buffer_store_dword v2, off, s[0:3], s33 offset:56 ; 4-byte Folded Spill
	s_nop 0
	buffer_store_dword v3, off, s[0:3], s33 offset:60 ; 4-byte Folded Spill
                                        ; implicit-def: $vgpr2
	s_and_saveexec_b64 s[38:39], vcc
	s_cbranch_execz .LBB6_64
; %bb.66:                               ;   in Loop: Header=BB6_65 Depth=3
	s_cmpk_lt_i32 s65, 0x270f
	s_cselect_b64 s[52:53], -1, 0
	s_cmpk_gt_i32 s65, 0x270e
	s_mov_b64 s[48:49], -1
	s_cbranch_scc0 .LBB6_68
; %bb.67:                               ;   in Loop: Header=BB6_65 Depth=3
	s_trap 2
	ds_read_b64 v[2:3], v0
	s_andn2_b64 s[62:63], s[52:53], exec
	s_mov_b32 s65, 0
	s_mov_b64 s[50:51], 0
	s_waitcnt vmcnt(0) lgkmcnt(0)
	flat_load_dword v2, v[2:3] glc
	s_waitcnt vmcnt(0) lgkmcnt(0)
	buffer_wbinvl1_vol
	v_cmp_eq_u32_e64 s[26:27], 0, v2
	s_and_b64 s[26:27], s[26:27], exec
	s_or_b64 s[52:53], s[62:63], s[26:27]
	s_and_saveexec_b64 s[54:55], s[52:53]
	s_cbranch_execz .LBB6_63
	s_branch .LBB6_62
.LBB6_68:                               ;   in Loop: Header=BB6_65 Depth=3
	s_add_i32 s65, s65, 1
	s_mov_b64 s[50:51], -1
                                        ; implicit-def: $vgpr2
	s_and_saveexec_b64 s[54:55], s[52:53]
	s_cbranch_execz .LBB6_63
	s_branch .LBB6_62
.LBB6_69:                               ;   in Loop: Header=BB6_57 Depth=2
	s_or_b64 exec, exec, s[94:95]
	s_xor_b64 s[26:27], s[30:31], -1
	s_and_saveexec_b64 s[62:63], s[26:27]
	s_xor_b64 s[26:27], exec, s[62:63]
	s_cbranch_execz .LBB6_71
; %bb.70:                               ;   in Loop: Header=BB6_57 Depth=2
	ds_write_b32 v0, v2
	s_trap 2
	buffer_load_dword v2, off, s[0:3], s33 offset:72 ; 4-byte Folded Reload
	s_waitcnt vmcnt(0)
	v_or_b32_e32 v2, 64, v2
	buffer_store_dword v2, off, s[0:3], s33 offset:72 ; 4-byte Folded Spill
.LBB6_71:                               ;   in Loop: Header=BB6_57 Depth=2
	s_or_b64 exec, exec, s[26:27]
.LBB6_72:                               ;   in Loop: Header=BB6_57 Depth=2
	s_or_b64 exec, exec, s[40:41]
	;;#ASMSTART
	s_wakeup
	;;#ASMEND
	buffer_load_dword v2, off, s[0:3], s33 offset:72 ; 4-byte Folded Reload
	s_mov_b64 s[26:27], -1
	s_waitcnt vmcnt(0)
	v_and_b32_e32 v2, 0x100, v2
	v_cmp_ne_u32_e32 vcc, 0, v2
	buffer_load_dword v2, off, s[0:3], s33 offset:276 ; 4-byte Folded Reload
	buffer_load_dword v3, off, s[0:3], s33 offset:280 ; 4-byte Folded Reload
	s_waitcnt vmcnt(0)
	v_and_b32_e32 v6, 7, v2
                                        ; implicit-def: $vgpr2_vgpr3
	s_and_saveexec_b64 s[40:41], vcc
	s_cbranch_execz .LBB6_76
; %bb.73:                               ;   in Loop: Header=BB6_57 Depth=2
	buffer_load_dword v2, off, s[0:3], s33 offset:420 ; 4-byte Folded Reload
	buffer_load_dword v3, off, s[0:3], s33 offset:424 ; 4-byte Folded Reload
	;; [unrolled: 1-line block ×4, first 2 shown]
	v_ashrrev_i32_e32 v9, 31, v8
	s_waitcnt vmcnt(0)
	v_mad_u64_u32 v[4:5], s[26:27], v6, 24, v[2:3]
	flat_load_dword v2, v[4:5]
	s_nop 0
	flat_store_dwordx2 v[4:5], v[8:9] offset:8
	s_waitcnt vmcnt(0) lgkmcnt(0)
	v_cmp_ne_u32_e32 vcc, 1, v2
	v_cmp_eq_u32_e64 s[26:27], 1, v2
                                        ; implicit-def: $vgpr2_vgpr3
	s_and_saveexec_b64 s[94:95], s[26:27]
	s_cbranch_execz .LBB6_75
; %bb.74:                               ;   in Loop: Header=BB6_57 Depth=2
	flat_load_dword v2, v[4:5] offset:4 glc
	s_waitcnt vmcnt(0) lgkmcnt(0)
	v_ashrrev_i32_e32 v3, 31, v2
.LBB6_75:                               ;   in Loop: Header=BB6_57 Depth=2
	s_or_b64 exec, exec, s[94:95]
	s_orn2_b64 s[26:27], vcc, exec
.LBB6_76:                               ;   in Loop: Header=BB6_57 Depth=2
	s_or_b64 exec, exec, s[40:41]
	s_and_saveexec_b64 s[40:41], s[26:27]
	s_cbranch_execz .LBB6_78
; %bb.77:                               ;   in Loop: Header=BB6_57 Depth=2
	buffer_load_dword v2, off, s[0:3], s33 offset:456 ; 4-byte Folded Reload
	s_waitcnt vmcnt(0)
	v_mad_i64_i32 v[2:3], s[26:27], v6, v2, 0
.LBB6_78:                               ;   in Loop: Header=BB6_57 Depth=2
	s_or_b64 exec, exec, s[40:41]
	buffer_load_dword v4, off, s[0:3], s33 offset:412 ; 4-byte Folded Reload
	buffer_load_dword v5, off, s[0:3], s33 offset:416 ; 4-byte Folded Reload
	s_waitcnt vmcnt(0)
	v_add_co_u32_e32 v2, vcc, v4, v2
	s_waitcnt vmcnt(0)
	v_addc_co_u32_e32 v3, vcc, v5, v3, vcc
	ds_write_b64 v0, v[2:3] offset:784
	buffer_load_dword v2, off, s[0:3], s33 offset:72 ; 4-byte Folded Reload
	s_waitcnt vmcnt(0)
	v_and_b32_e32 v2, 0x2000, v2
	v_cmp_ne_u32_e32 vcc, 0, v2
	s_and_saveexec_b64 s[26:27], vcc
	s_cbranch_execz .LBB6_80
; %bb.79:                               ;   in Loop: Header=BB6_57 Depth=2
	ds_read_b64 v[2:3], v0 offset:872
	s_waitcnt lgkmcnt(0)
	v_add_co_u32_e32 v2, vcc, 1, v2
	v_addc_co_u32_e32 v3, vcc, 0, v3, vcc
	ds_write_b64 v0, v[2:3] offset:872
.LBB6_80:                               ;   in Loop: Header=BB6_57 Depth=2
	s_or_b64 exec, exec, s[26:27]
	buffer_store_dword v0, off, s[0:3], s33 offset:276 ; 4-byte Folded Spill
	s_nop 0
	buffer_store_dword v1, off, s[0:3], s33 offset:280 ; 4-byte Folded Spill
.LBB6_81:                               ;   in Loop: Header=BB6_57 Depth=2
	s_or_b64 exec, exec, s[28:29]
	s_and_saveexec_b64 s[26:27], s[12:13]
	s_cbranch_execz .LBB6_100
; %bb.82:                               ;   in Loop: Header=BB6_57 Depth=2
	s_and_saveexec_b64 s[28:29], s[58:59]
	s_xor_b64 s[28:29], exec, s[28:29]
	s_cbranch_execz .LBB6_97
; %bb.83:                               ;   in Loop: Header=BB6_57 Depth=2
	s_and_saveexec_b64 s[40:41], s[6:7]
	s_cbranch_execz .LBB6_96
; %bb.84:                               ;   in Loop: Header=BB6_57 Depth=2
	s_mov_b64 s[30:31], exec
	v_mbcnt_lo_u32_b32 v0, s30, 0
	v_mbcnt_hi_u32_b32 v0, s31, v0
	v_cmp_eq_u32_e32 vcc, 0, v0
	s_waitcnt vmcnt(0) lgkmcnt(0)
	buffer_wbinvl1_vol
	s_and_saveexec_b64 s[94:95], vcc
	s_cbranch_execz .LBB6_86
; %bb.85:                               ;   in Loop: Header=BB6_57 Depth=2
	s_bcnt1_i32_b64 s62, s[30:31]
	v_mov_b32_e32 v0, s62
	v_mov_b32_e32 v1, v33
	ds_add_u64 v0, v[0:1]
	s_trap 2
.LBB6_86:                               ;   in Loop: Header=BB6_57 Depth=2
	s_or_b64 exec, exec, s[94:95]
	s_trap 2
	ds_read_b64 v[0:1], v0
	s_waitcnt lgkmcnt(0)
	buffer_load_dword v2, off, s[0:3], s33 offset:76 ; 4-byte Folded Reload
	buffer_load_dword v3, off, s[0:3], s33 offset:80 ; 4-byte Folded Reload
	;; [unrolled: 1-line block ×3, first 2 shown]
	s_waitcnt vmcnt(0)
	v_add_co_u32_e32 v2, vcc, v2, v4
	v_addc_co_u32_e32 v3, vcc, 0, v3, vcc
	buffer_store_dword v2, off, s[0:3], s33 offset:76 ; 4-byte Folded Spill
	s_nop 0
	buffer_store_dword v3, off, s[0:3], s33 offset:80 ; 4-byte Folded Spill
	v_cmp_lt_u64_e32 vcc, v[0:1], v[2:3]
	s_and_saveexec_b64 s[94:95], vcc
	s_cbranch_execz .LBB6_95
; %bb.87:                               ;   in Loop: Header=BB6_57 Depth=2
	s_mov_b32 s62, 0
	s_mov_b64 s[30:31], 0
                                        ; implicit-def: $sgpr34_sgpr35
                                        ; implicit-def: $sgpr36_sgpr37
	s_branch .LBB6_89
.LBB6_88:                               ;   in Loop: Header=BB6_89 Depth=3
	s_or_b64 exec, exec, s[48:49]
	s_and_b64 vcc, exec, vcc
	s_or_b64 s[30:31], vcc, s[30:31]
	s_andn2_b64 vcc, s[34:35], exec
	s_and_b64 s[34:35], s[36:37], exec
	s_or_b64 s[34:35], vcc, s[34:35]
	s_andn2_b64 exec, exec, s[30:31]
	s_cbranch_execz .LBB6_93
.LBB6_89:                               ;   Parent Loop BB6_47 Depth=1
                                        ;     Parent Loop BB6_57 Depth=2
                                        ; =>    This Inner Loop Header: Depth=3
	s_add_i32 s62, s62, 1
	s_cmpk_lg_i32 s62, 0x2710
	s_cselect_b64 s[38:39], -1, 0
	s_and_b64 vcc, exec, s[38:39]
	s_cbranch_vccz .LBB6_91
; %bb.90:                               ;   in Loop: Header=BB6_89 Depth=3
	s_mov_b64 vcc, -1
	s_or_b64 s[36:37], s[36:37], exec
	s_and_saveexec_b64 s[48:49], s[38:39]
	s_cbranch_execz .LBB6_88
	s_branch .LBB6_92
.LBB6_91:                               ;   in Loop: Header=BB6_89 Depth=3
	s_trap 2
	ds_read_b64 v[0:1], v0
	s_andn2_b64 s[38:39], s[38:39], exec
	s_mov_b32 s62, 0
	s_waitcnt vmcnt(0) lgkmcnt(0)
	flat_load_dword v0, v[0:1] glc
	s_waitcnt vmcnt(0) lgkmcnt(0)
	buffer_wbinvl1_vol
	v_cmp_eq_u32_e32 vcc, 0, v0
	s_and_b64 vcc, vcc, exec
	s_or_b64 s[38:39], s[38:39], vcc
	s_mov_b64 vcc, -1
	s_or_b64 s[36:37], s[36:37], exec
	s_and_saveexec_b64 s[48:49], s[38:39]
	s_cbranch_execz .LBB6_88
.LBB6_92:                               ;   in Loop: Header=BB6_89 Depth=3
	s_sleep 1
	s_trap 2
	ds_read_b64 v[0:1], v0
	s_waitcnt lgkmcnt(0)
	buffer_load_dword v2, off, s[0:3], s33 offset:76 ; 4-byte Folded Reload
	buffer_load_dword v3, off, s[0:3], s33 offset:80 ; 4-byte Folded Reload
	s_andn2_b64 s[36:37], s[36:37], exec
	s_waitcnt vmcnt(0)
	v_cmp_ge_u64_e32 vcc, v[0:1], v[2:3]
	s_orn2_b64 vcc, vcc, exec
	s_branch .LBB6_88
.LBB6_93:                               ;   in Loop: Header=BB6_57 Depth=2
	s_or_b64 exec, exec, s[30:31]
	s_and_saveexec_b64 s[62:63], s[34:35]
	s_xor_b64 s[62:63], exec, s[62:63]
	s_cbranch_execz .LBB6_95
; %bb.94:                               ;   in Loop: Header=BB6_57 Depth=2
	v_mov_b32_e32 v0, 1
	ds_write_b32 v0, v0
	s_trap 2
.LBB6_95:                               ;   in Loop: Header=BB6_57 Depth=2
	s_or_b64 exec, exec, s[94:95]
	;;#ASMSTART
	s_wakeup
	;;#ASMEND
.LBB6_96:                               ;   in Loop: Header=BB6_57 Depth=2
	s_or_b64 exec, exec, s[40:41]
.LBB6_97:                               ;   in Loop: Header=BB6_57 Depth=2
	s_andn2_saveexec_b64 s[28:29], s[28:29]
	s_cbranch_execz .LBB6_99
; %bb.98:                               ;   in Loop: Header=BB6_57 Depth=2
	s_waitcnt vmcnt(0) lgkmcnt(0)
	buffer_wbinvl1_vol
	s_barrier
.LBB6_99:                               ;   in Loop: Header=BB6_57 Depth=2
	s_or_b64 exec, exec, s[28:29]
.LBB6_100:                              ;   in Loop: Header=BB6_57 Depth=2
	s_or_b64 exec, exec, s[26:27]
	s_trap 2
	buffer_load_dword v1, off, s[0:3], s33 offset:72 ; 4-byte Folded Reload
	ds_read_b32 v0, v0
	s_xor_b64 s[26:27], s[10:11], -1
	s_waitcnt vmcnt(0)
	v_and_b32_e32 v1, 0x4000, v1
	v_cmp_ne_u32_e32 vcc, 0, v1
	s_and_b64 s[28:29], s[26:27], vcc
	s_and_saveexec_b64 s[26:27], s[28:29]
	s_cbranch_execz .LBB6_119
; %bb.101:                              ;   in Loop: Header=BB6_57 Depth=2
	s_and_saveexec_b64 s[28:29], s[58:59]
	s_xor_b64 s[28:29], exec, s[28:29]
	s_cbranch_execz .LBB6_116
; %bb.102:                              ;   in Loop: Header=BB6_57 Depth=2
	s_and_saveexec_b64 s[40:41], s[6:7]
	s_cbranch_execz .LBB6_115
; %bb.103:                              ;   in Loop: Header=BB6_57 Depth=2
	s_mov_b64 s[30:31], exec
	v_mbcnt_lo_u32_b32 v1, s30, 0
	v_mbcnt_hi_u32_b32 v1, s31, v1
	v_cmp_eq_u32_e32 vcc, 0, v1
	s_waitcnt lgkmcnt(0)
	buffer_wbinvl1_vol
	s_and_saveexec_b64 s[94:95], vcc
	s_cbranch_execz .LBB6_105
; %bb.104:                              ;   in Loop: Header=BB6_57 Depth=2
	s_bcnt1_i32_b64 s62, s[30:31]
	v_mov_b32_e32 v1, s62
	v_mov_b32_e32 v2, v33
	ds_add_u64 v0, v[1:2]
	s_trap 2
.LBB6_105:                              ;   in Loop: Header=BB6_57 Depth=2
	s_or_b64 exec, exec, s[94:95]
	s_trap 2
	ds_read_b64 v[1:2], v0
	s_waitcnt lgkmcnt(0)
	buffer_load_dword v3, off, s[0:3], s33 offset:76 ; 4-byte Folded Reload
	buffer_load_dword v4, off, s[0:3], s33 offset:80 ; 4-byte Folded Reload
	;; [unrolled: 1-line block ×3, first 2 shown]
	s_waitcnt vmcnt(0)
	v_add_co_u32_e32 v3, vcc, v3, v5
	v_addc_co_u32_e32 v4, vcc, 0, v4, vcc
	buffer_store_dword v3, off, s[0:3], s33 offset:76 ; 4-byte Folded Spill
	s_nop 0
	buffer_store_dword v4, off, s[0:3], s33 offset:80 ; 4-byte Folded Spill
	v_cmp_lt_u64_e32 vcc, v[1:2], v[3:4]
	s_and_saveexec_b64 s[94:95], vcc
	s_cbranch_execz .LBB6_114
; %bb.106:                              ;   in Loop: Header=BB6_57 Depth=2
	s_mov_b32 s62, 0
	s_mov_b64 s[30:31], 0
                                        ; implicit-def: $sgpr34_sgpr35
                                        ; implicit-def: $sgpr36_sgpr37
	s_branch .LBB6_108
.LBB6_107:                              ;   in Loop: Header=BB6_108 Depth=3
	s_or_b64 exec, exec, s[48:49]
	s_and_b64 vcc, exec, vcc
	s_or_b64 s[30:31], vcc, s[30:31]
	s_andn2_b64 vcc, s[34:35], exec
	s_and_b64 s[34:35], s[36:37], exec
	s_or_b64 s[34:35], vcc, s[34:35]
	s_andn2_b64 exec, exec, s[30:31]
	s_cbranch_execz .LBB6_112
.LBB6_108:                              ;   Parent Loop BB6_47 Depth=1
                                        ;     Parent Loop BB6_57 Depth=2
                                        ; =>    This Inner Loop Header: Depth=3
	s_add_i32 s62, s62, 1
	s_cmpk_lg_i32 s62, 0x2710
	s_cselect_b64 s[38:39], -1, 0
	s_and_b64 vcc, exec, s[38:39]
	s_cbranch_vccz .LBB6_110
; %bb.109:                              ;   in Loop: Header=BB6_108 Depth=3
	s_mov_b64 vcc, -1
	s_or_b64 s[36:37], s[36:37], exec
	s_and_saveexec_b64 s[48:49], s[38:39]
	s_cbranch_execz .LBB6_107
	s_branch .LBB6_111
.LBB6_110:                              ;   in Loop: Header=BB6_108 Depth=3
	s_trap 2
	ds_read_b64 v[1:2], v0
	s_andn2_b64 s[38:39], s[38:39], exec
	s_mov_b32 s62, 0
	s_waitcnt vmcnt(0) lgkmcnt(0)
	flat_load_dword v1, v[1:2] glc
	s_waitcnt vmcnt(0) lgkmcnt(0)
	buffer_wbinvl1_vol
	v_cmp_eq_u32_e32 vcc, 0, v1
	s_and_b64 vcc, vcc, exec
	s_or_b64 s[38:39], s[38:39], vcc
	s_mov_b64 vcc, -1
	s_or_b64 s[36:37], s[36:37], exec
	s_and_saveexec_b64 s[48:49], s[38:39]
	s_cbranch_execz .LBB6_107
.LBB6_111:                              ;   in Loop: Header=BB6_108 Depth=3
	s_sleep 1
	s_trap 2
	ds_read_b64 v[1:2], v0
	s_waitcnt lgkmcnt(0)
	buffer_load_dword v3, off, s[0:3], s33 offset:76 ; 4-byte Folded Reload
	buffer_load_dword v4, off, s[0:3], s33 offset:80 ; 4-byte Folded Reload
	s_andn2_b64 s[36:37], s[36:37], exec
	s_waitcnt vmcnt(0)
	v_cmp_ge_u64_e32 vcc, v[1:2], v[3:4]
	s_orn2_b64 vcc, vcc, exec
	s_branch .LBB6_107
.LBB6_112:                              ;   in Loop: Header=BB6_57 Depth=2
	s_or_b64 exec, exec, s[30:31]
	s_and_saveexec_b64 s[62:63], s[34:35]
	s_xor_b64 s[62:63], exec, s[62:63]
	s_cbranch_execz .LBB6_114
; %bb.113:                              ;   in Loop: Header=BB6_57 Depth=2
	v_mov_b32_e32 v1, 1
	ds_write_b32 v0, v1
	s_trap 2
.LBB6_114:                              ;   in Loop: Header=BB6_57 Depth=2
	s_or_b64 exec, exec, s[94:95]
	;;#ASMSTART
	s_wakeup
	;;#ASMEND
.LBB6_115:                              ;   in Loop: Header=BB6_57 Depth=2
	s_or_b64 exec, exec, s[40:41]
.LBB6_116:                              ;   in Loop: Header=BB6_57 Depth=2
	s_andn2_saveexec_b64 s[28:29], s[28:29]
	s_cbranch_execz .LBB6_118
; %bb.117:                              ;   in Loop: Header=BB6_57 Depth=2
	s_waitcnt vmcnt(0) lgkmcnt(0)
	buffer_wbinvl1_vol
	s_barrier
.LBB6_118:                              ;   in Loop: Header=BB6_57 Depth=2
	s_or_b64 exec, exec, s[28:29]
.LBB6_119:                              ;   in Loop: Header=BB6_57 Depth=2
	s_or_b64 exec, exec, s[26:27]
	s_trap 2
	s_waitcnt lgkmcnt(0)
	ds_read_b64 v[56:57], v0
	s_waitcnt lgkmcnt(0)
	v_cmp_eq_u64_e32 vcc, 0, v[56:57]
	s_cbranch_vccnz .LBB6_127
; %bb.120:                              ;   in Loop: Header=BB6_57 Depth=2
	buffer_store_dword v10, off, s[0:3], s33 offset:716 ; 4-byte Folded Spill
	buffer_store_dword v8, off, s[0:3], s33 offset:708 ; 4-byte Folded Spill
	s_nop 0
	buffer_store_dword v9, off, s[0:3], s33 offset:712 ; 4-byte Folded Spill
	s_trap 2
	ds_read_b64 v[58:59], v0
	s_waitcnt lgkmcnt(0)
	v_cmp_eq_u64_e32 vcc, 0, v[58:59]
	s_cbranch_vccnz .LBB6_133
; %bb.121:                              ;   in Loop: Header=BB6_57 Depth=2
	s_mov_b64 s[28:29], -1
	s_and_saveexec_b64 s[26:27], s[14:15]
	s_cbranch_execz .LBB6_123
; %bb.122:                              ;   in Loop: Header=BB6_57 Depth=2
	ds_read_b32 v1, v0 offset:720
	s_waitcnt lgkmcnt(0)
	v_and_b32_e32 v1, 15, v1
	v_cmp_eq_u32_e32 vcc, 0, v1
	s_orn2_b64 s[28:29], vcc, exec
.LBB6_123:                              ;   in Loop: Header=BB6_57 Depth=2
	s_or_b64 exec, exec, s[26:27]
	s_and_saveexec_b64 s[26:27], s[16:17]
	s_cbranch_execz .LBB6_125
; %bb.124:                              ;   in Loop: Header=BB6_57 Depth=2
	ds_read_b32 v1, v0 offset:784
	s_waitcnt lgkmcnt(0)
	v_and_b32_e32 v1, 15, v1
	v_cmp_eq_u32_e32 vcc, 0, v1
	s_and_b64 s[40:41], s[28:29], vcc
	s_andn2_b64 s[28:29], s[28:29], exec
	s_and_b64 s[40:41], s[40:41], exec
	s_or_b64 s[28:29], s[28:29], s[40:41]
.LBB6_125:                              ;   in Loop: Header=BB6_57 Depth=2
	s_or_b64 exec, exec, s[26:27]
	v_cmp_eq_u32_e32 vcc, 0, v0
	buffer_load_dword v0, off, s[0:3], s33 offset:708 ; 4-byte Folded Reload
	buffer_load_dword v1, off, s[0:3], s33 offset:712 ; 4-byte Folded Reload
	;; [unrolled: 1-line block ×3, first 2 shown]
	s_xor_b64 s[28:29], s[28:29], -1
	s_mov_b64 s[26:27], -1
	v_mov_b32_e32 v5, 0
	s_waitcnt vmcnt(2)
	v_cndmask_b32_e32 v6, 0, v0, vcc
	v_cndmask_b32_e64 v0, 0, 1, s[28:29]
	v_cmp_ne_u32_e32 vcc, 0, v0
	buffer_store_dword v6, off, s[0:3], s33 offset:724 ; 4-byte Folded Spill
	s_cbranch_vccz .LBB6_134
; %bb.126:                              ;   in Loop: Header=BB6_57 Depth=2
	s_and_saveexec_b64 s[28:29], s[26:27]
	s_cbranch_execnz .LBB6_4193
; %bb.28837:                            ;   in Loop: Header=BB6_57 Depth=2
	s_getpc_b64 s[98:99]
.Lpost_getpc27:
	s_add_u32 s98, s98, (.LBB6_5269-.Lpost_getpc27)&4294967295
	s_addc_u32 s99, s99, (.LBB6_5269-.Lpost_getpc27)>>32
	s_setpc_b64 s[98:99]
.LBB6_127:                              ;   in Loop: Header=BB6_57 Depth=2
	s_mov_b64 s[26:27], 0
	s_and_saveexec_b64 s[28:29], s[12:13]
	s_cbranch_execz .LBB6_128
; %bb.28873:                            ;   in Loop: Header=BB6_57 Depth=2
	s_getpc_b64 s[98:99]
.Lpost_getpc45:
	s_add_u32 s98, s98, (.LBB6_5271-.Lpost_getpc45)&4294967295
	s_addc_u32 s99, s99, (.LBB6_5271-.Lpost_getpc45)>>32
	s_setpc_b64 s[98:99]
.LBB6_128:                              ;   in Loop: Header=BB6_57 Depth=2
	s_or_b64 exec, exec, s[28:29]
                                        ; implicit-def: $vgpr0
	s_and_saveexec_b64 s[28:29], s[18:19]
	s_xor_b64 s[28:29], exec, s[28:29]
	s_cbranch_execnz .LBB6_129
; %bb.28875:                            ;   in Loop: Header=BB6_57 Depth=2
	s_getpc_b64 s[98:99]
.Lpost_getpc46:
	s_add_u32 s98, s98, (.LBB6_5289-.Lpost_getpc46)&4294967295
	s_addc_u32 s99, s99, (.LBB6_5289-.Lpost_getpc46)>>32
	s_setpc_b64 s[98:99]
.LBB6_129:                              ;   in Loop: Header=BB6_57 Depth=2
	buffer_load_dword v1, off, s[0:3], s33 offset:72 ; 4-byte Folded Reload
	s_waitcnt vmcnt(0)
	v_and_b32_e32 v0, 16, v1
	v_and_b32_e32 v1, 16, v1
	v_cmp_ne_u32_e32 vcc, 0, v1
	s_and_b64 s[40:41], vcc, s[26:27]
	s_and_saveexec_b64 s[26:27], s[40:41]
	s_cbranch_execz .LBB6_131
; %bb.130:                              ;   in Loop: Header=BB6_57 Depth=2
	v_mov_b32_e32 v0, 1
	s_waitcnt lgkmcnt(0)
	buffer_wbinvl1_vol
.LBB6_131:                              ;   in Loop: Header=BB6_57 Depth=2
	s_or_b64 exec, exec, s[26:27]
	s_andn2_saveexec_b64 s[26:27], s[28:29]
	s_cbranch_execz .LBB6_132
; %bb.28877:                            ;   in Loop: Header=BB6_57 Depth=2
	s_getpc_b64 s[98:99]
.Lpost_getpc47:
	s_add_u32 s98, s98, (.LBB6_5290-.Lpost_getpc47)&4294967295
	s_addc_u32 s99, s99, (.LBB6_5290-.Lpost_getpc47)>>32
	s_setpc_b64 s[98:99]
.LBB6_132:                              ;   in Loop: Header=BB6_57 Depth=2
	s_or_b64 exec, exec, s[26:27]
	v_cmp_ne_u32_e32 vcc, 0, v0
	s_and_saveexec_b64 s[26:27], vcc
	s_cbranch_execz .LBB6_56
; %bb.28839:                            ;   in Loop: Header=BB6_57 Depth=2
	s_getpc_b64 s[98:99]
.Lpost_getpc28:
	s_add_u32 s98, s98, (.LBB6_5308-.Lpost_getpc28)&4294967295
	s_addc_u32 s99, s99, (.LBB6_5308-.Lpost_getpc28)>>32
	s_setpc_b64 s[98:99]
.LBB6_133:                              ;   in Loop: Header=BB6_57 Depth=2
	s_mov_b64 s[26:27], 0
; %bb.28841:                            ;   in Loop: Header=BB6_57 Depth=2
	s_getpc_b64 s[98:99]
.Lpost_getpc29:
	s_add_u32 s98, s98, (.LBB6_5270-.Lpost_getpc29)&4294967295
	s_addc_u32 s99, s99, (.LBB6_5270-.Lpost_getpc29)>>32
	s_setpc_b64 s[98:99]
.LBB6_134:                              ;   in Loop: Header=BB6_57 Depth=2
	buffer_load_dword v1, off, s[0:3], s33 offset:724 ; 4-byte Folded Reload
	s_waitcnt vmcnt(0)
	v_ashrrev_i32_e32 v0, 31, v1
	v_lshrrev_b32_e32 v0, 19, v0
	v_add_u32_e32 v0, v1, v0
	v_ashrrev_i32_e32 v1, 13, v0
	buffer_load_dword v0, off, s[0:3], s33 offset:524 ; 4-byte Folded Reload
	s_waitcnt vmcnt(0)
	v_sub_u32_e32 v55, v1, v0
	v_cmp_lt_i32_e32 vcc, 0, v55
	s_and_saveexec_b64 s[40:41], vcc
	s_cbranch_execz .LBB6_3730
; %bb.135:                              ;   in Loop: Header=BB6_57 Depth=2
	buffer_store_dword v1, off, s[0:3], s33 offset:748 ; 4-byte Folded Spill
	s_trap 2
	ds_read_b64 v[0:1], v0
	v_mov_b32_e32 v2, 0x7f800000
	v_mov_b32_e32 v26, v58
	;; [unrolled: 1-line block ×4, first 2 shown]
	s_waitcnt lgkmcnt(0)
	v_readfirstlane_b32 s28, v0
	s_bfe_i32 s62, s28, 0x80000
	s_and_b32 s29, s28, 3
	s_bfe_u32 s26, s28, 0x50002
	s_and_b32 s27, s28, 0x7c
	s_cmpk_eq_i32 s27, 0x7c
	s_flbit_i32_b32 s27, s29
	s_cselect_b64 vcc, -1, 0
	s_min_u32 s27, s27, 32
	s_sub_i32 s63, s27, 29
	v_lshlrev_b64 v[0:1], s63, v[0:1]
	s_sub_i32 s27, 30, s27
	s_cmp_eq_u32 s26, 0
	v_and_b32_e32 v0, 3, v0
	s_cselect_b32 s63, s27, s26
	v_mov_b32_e32 v1, s29
	s_cselect_b64 s[26:27], -1, 0
	v_cndmask_b32_e64 v0, v1, v0, s[26:27]
	s_lshl_b32 s26, s28, 24
	s_and_b32 s26, s26, 0x80000000
	s_lshl_b32 s27, s63, 23
	s_add_i32 s27, s27, s26
	v_lshlrev_b32_e32 v0, 21, v0
	s_cmp_eq_u32 s29, 0
	s_sext_i32_i8 s28, s28
	v_or_b32_e32 v0, s27, v0
	s_cselect_b64 s[26:27], -1, 0
	s_cmp_gt_i32 s28, -1
	s_cselect_b64 s[28:29], -1, 0
	v_mov_b32_e32 v1, 0xff800000
	v_cndmask_b32_e64 v1, v1, v2, s[28:29]
	v_mov_b32_e32 v2, 0x7f800001
	v_add_u32_e32 v0, 0x38000000, v0
	v_cndmask_b32_e64 v1, v2, v1, s[26:27]
	v_cndmask_b32_e32 v0, v0, v1, vcc
	s_mov_b64 s[28:29], 0
	s_and_b32 s38, s62, 0xff
	v_mov_b32_e32 v29, v57
	buffer_store_dword v0, off, s[0:3], s33 offset:720 ; 4-byte Folded Spill
	s_branch .LBB6_138
.LBB6_136:                              ;   in Loop: Header=BB6_138 Depth=3
	s_or_b64 exec, exec, s[94:95]
.LBB6_137:                              ;   in Loop: Header=BB6_138 Depth=3
	s_or_b64 exec, exec, s[26:27]
	v_lshl_or_b32 v0, v47, 8, v46
	v_lshl_or_b32 v1, v60, 8, v45
	v_lshlrev_b32_e32 v4, 16, v25
	v_lshlrev_b32_e32 v6, 24, v6
	;; [unrolled: 1-line block ×4, first 2 shown]
	v_or3_b32 v9, v0, v4, v6
	v_or3_b32 v8, v1, v8, v5
	v_lshl_or_b32 v0, v17, 8, v16
	v_lshlrev_b32_e32 v1, 16, v18
	v_lshlrev_b32_e32 v4, 24, v19
	v_or3_b32 v10, v0, v1, v4
	v_lshl_or_b32 v0, v24, 8, v7
	v_lshlrev_b32_e32 v1, 24, v31
	v_lshlrev_b32_e32 v4, 16, v30
	v_or3_b32 v11, v0, v4, v1
	buffer_load_dword v0, off, s[0:3], s33 offset:656 ; 4-byte Folded Reload
	buffer_load_dword v1, off, s[0:3], s33 offset:660 ; 4-byte Folded Reload
	v_lshlrev_b32_e32 v25, 16, v39
	v_lshlrev_b32_e32 v30, 24, v48
	;; [unrolled: 1-line block ×3, first 2 shown]
	v_lshl_or_b32 v3, v53, 8, v3
	s_waitcnt vmcnt(0)
	v_lshl_or_b32 v0, v1, 8, v0
	buffer_load_dword v1, off, s[0:3], s33 offset:640 ; 4-byte Folded Reload
	buffer_load_dword v4, off, s[0:3], s33 offset:644 ; 4-byte Folded Reload
	;; [unrolled: 1-line block ×5, first 2 shown]
	s_waitcnt vmcnt(3)
	v_lshl_or_b32 v1, v4, 8, v1
	buffer_load_dword v4, off, s[0:3], s33 offset:664 ; 4-byte Folded Reload
	s_waitcnt vmcnt(3)
	v_lshlrev_b32_e32 v6, 16, v6
	s_waitcnt vmcnt(2)
	v_lshlrev_b32_e32 v5, 24, v5
	;; [unrolled: 2-line block ×3, first 2 shown]
	v_or3_b32 v12, v1, v6, v7
	s_waitcnt vmcnt(0)
	v_lshlrev_b32_e32 v4, 16, v4
	v_or3_b32 v13, v0, v4, v5
	buffer_load_dword v0, off, s[0:3], s33 offset:672 ; 4-byte Folded Reload
	buffer_load_dword v1, off, s[0:3], s33 offset:676 ; 4-byte Folded Reload
	v_lshlrev_b32_e32 v4, 24, v23
	s_waitcnt vmcnt(0)
	v_lshl_or_b32 v0, v1, 8, v0
	v_lshlrev_b32_e32 v1, 16, v22
	v_or3_b32 v14, v0, v1, v4
	v_lshl_or_b32 v0, v41, 8, v40
	v_lshlrev_b32_e32 v1, 24, v43
	v_lshlrev_b32_e32 v4, 16, v42
	v_or3_b32 v15, v0, v4, v1
	buffer_load_dword v0, off, s[0:3], s33 offset:592 ; 4-byte Folded Reload
	buffer_load_dword v1, off, s[0:3], s33 offset:596 ; 4-byte Folded Reload
	s_waitcnt vmcnt(0)
	v_lshl_or_b32 v0, v1, 8, v0
	buffer_load_dword v1, off, s[0:3], s33 offset:576 ; 4-byte Folded Reload
	buffer_load_dword v4, off, s[0:3], s33 offset:580 ; 4-byte Folded Reload
	;; [unrolled: 1-line block ×5, first 2 shown]
	s_waitcnt vmcnt(3)
	v_lshl_or_b32 v1, v4, 8, v1
	buffer_load_dword v4, off, s[0:3], s33 offset:600 ; 4-byte Folded Reload
	s_waitcnt vmcnt(3)
	v_lshlrev_b32_e32 v6, 16, v6
	s_waitcnt vmcnt(2)
	v_lshlrev_b32_e32 v5, 24, v5
	;; [unrolled: 2-line block ×3, first 2 shown]
	v_or3_b32 v16, v1, v6, v7
	s_waitcnt vmcnt(0)
	v_lshlrev_b32_e32 v4, 16, v4
	v_or3_b32 v17, v0, v4, v5
	buffer_load_dword v0, off, s[0:3], s33 offset:608 ; 4-byte Folded Reload
	buffer_load_dword v1, off, s[0:3], s33 offset:612 ; 4-byte Folded Reload
	;; [unrolled: 1-line block ×3, first 2 shown]
	s_waitcnt vmcnt(1)
	v_lshl_or_b32 v0, v1, 8, v0
	buffer_load_dword v1, off, s[0:3], s33 offset:616 ; 4-byte Folded Reload
	s_waitcnt vmcnt(1)
	v_lshlrev_b32_e32 v4, 24, v4
	s_waitcnt vmcnt(0)
	v_lshlrev_b32_e32 v1, 16, v1
	v_or3_b32 v18, v0, v1, v4
	buffer_load_dword v0, off, s[0:3], s33 offset:624 ; 4-byte Folded Reload
	buffer_load_dword v1, off, s[0:3], s33 offset:628 ; 4-byte Folded Reload
	;; [unrolled: 1-line block ×3, first 2 shown]
	s_waitcnt vmcnt(1)
	v_lshl_or_b32 v0, v1, 8, v0
	buffer_load_dword v1, off, s[0:3], s33 offset:636 ; 4-byte Folded Reload
	s_waitcnt vmcnt(1)
	v_lshlrev_b32_e32 v4, 16, v4
	s_waitcnt vmcnt(0)
	v_lshlrev_b32_e32 v1, 24, v1
	v_or3_b32 v19, v0, v4, v1
	buffer_load_dword v0, off, s[0:3], s33 offset:448 ; 4-byte Folded Reload
	buffer_load_dword v1, off, s[0:3], s33 offset:452 ; 4-byte Folded Reload
	;; [unrolled: 1-line block ×6, first 2 shown]
	s_waitcnt vmcnt(4)
	v_lshl_or_b32 v0, v1, 8, v0
	v_lshl_or_b32 v1, v44, 8, v21
	s_waitcnt vmcnt(3)
	v_lshlrev_b32_e32 v4, 16, v4
	s_waitcnt vmcnt(2)
	v_lshlrev_b32_e32 v5, 24, v5
	;; [unrolled: 2-line block ×4, first 2 shown]
	v_or3_b32 v21, v0, v4, v5
	v_or3_b32 v20, v1, v6, v7
	buffer_load_dword v0, off, s[0:3], s33 offset:532 ; 4-byte Folded Reload
	buffer_load_dword v1, off, s[0:3], s33 offset:540 ; 4-byte Folded Reload
	buffer_load_dword v4, off, s[0:3], s33 offset:552 ; 4-byte Folded Reload
	s_waitcnt vmcnt(1)
	v_lshl_or_b32 v0, v1, 8, v0
	buffer_load_dword v1, off, s[0:3], s33 offset:548 ; 4-byte Folded Reload
	s_waitcnt vmcnt(1)
	v_lshlrev_b32_e32 v4, 24, v4
	s_waitcnt vmcnt(0)
	v_lshlrev_b32_e32 v1, 16, v1
	v_or3_b32 v22, v0, v1, v4
	buffer_load_dword v0, off, s[0:3], s33 offset:556 ; 4-byte Folded Reload
	buffer_load_dword v1, off, s[0:3], s33 offset:560 ; 4-byte Folded Reload
	;; [unrolled: 1-line block ×3, first 2 shown]
	s_waitcnt vmcnt(1)
	v_lshl_or_b32 v0, v1, 8, v0
	buffer_load_dword v1, off, s[0:3], s33 offset:572 ; 4-byte Folded Reload
	s_waitcnt vmcnt(1)
	v_lshlrev_b32_e32 v4, 16, v4
	s_waitcnt vmcnt(0)
	v_lshlrev_b32_e32 v1, 24, v1
	v_or3_b32 v23, v0, v4, v1
	buffer_load_dword v0, off, s[0:3], s33 offset:340 ; 4-byte Folded Reload
	buffer_load_dword v1, off, s[0:3], s33 offset:344 ; 4-byte Folded Reload
	s_waitcnt vmcnt(0)
	v_lshl_or_b32 v0, v1, 8, v0
	buffer_load_dword v1, off, s[0:3], s33 offset:324 ; 4-byte Folded Reload
	buffer_load_dword v4, off, s[0:3], s33 offset:328 ; 4-byte Folded Reload
	buffer_load_dword v6, off, s[0:3], s33 offset:332 ; 4-byte Folded Reload
	buffer_load_dword v5, off, s[0:3], s33 offset:352 ; 4-byte Folded Reload
	buffer_load_dword v7, off, s[0:3], s33 offset:336 ; 4-byte Folded Reload
	s_waitcnt vmcnt(3)
	v_lshl_or_b32 v1, v4, 8, v1
	buffer_load_dword v4, off, s[0:3], s33 offset:348 ; 4-byte Folded Reload
	s_waitcnt vmcnt(3)
	v_lshlrev_b32_e32 v6, 16, v6
	s_waitcnt vmcnt(2)
	v_lshlrev_b32_e32 v5, 24, v5
	;; [unrolled: 2-line block ×3, first 2 shown]
	v_or3_b32 v40, v1, v6, v7
	s_waitcnt vmcnt(0)
	v_lshlrev_b32_e32 v4, 16, v4
	v_or3_b32 v41, v0, v4, v5
	buffer_load_dword v0, off, s[0:3], s33 offset:356 ; 4-byte Folded Reload
	buffer_load_dword v1, off, s[0:3], s33 offset:360 ; 4-byte Folded Reload
	;; [unrolled: 1-line block ×3, first 2 shown]
	s_waitcnt vmcnt(1)
	v_lshl_or_b32 v0, v1, 8, v0
	buffer_load_dword v1, off, s[0:3], s33 offset:364 ; 4-byte Folded Reload
	s_waitcnt vmcnt(1)
	v_lshlrev_b32_e32 v4, 24, v4
	s_waitcnt vmcnt(0)
	v_lshlrev_b32_e32 v1, 16, v1
	v_or3_b32 v42, v0, v1, v4
	buffer_load_dword v0, off, s[0:3], s33 offset:372 ; 4-byte Folded Reload
	buffer_load_dword v1, off, s[0:3], s33 offset:376 ; 4-byte Folded Reload
	;; [unrolled: 1-line block ×3, first 2 shown]
	s_waitcnt vmcnt(1)
	v_lshl_or_b32 v0, v1, 8, v0
	buffer_load_dword v1, off, s[0:3], s33 offset:384 ; 4-byte Folded Reload
	s_waitcnt vmcnt(1)
	v_lshlrev_b32_e32 v4, 16, v4
	s_waitcnt vmcnt(0)
	v_lshlrev_b32_e32 v1, 24, v1
	v_or3_b32 v43, v0, v4, v1
	buffer_load_dword v0, off, s[0:3], s33 offset:244 ; 4-byte Folded Reload
	buffer_load_dword v1, off, s[0:3], s33 offset:252 ; 4-byte Folded Reload
	s_waitcnt vmcnt(0)
	v_lshl_or_b32 v0, v1, 8, v0
	buffer_load_dword v1, off, s[0:3], s33 offset:212 ; 4-byte Folded Reload
	buffer_load_dword v4, off, s[0:3], s33 offset:220 ; 4-byte Folded Reload
	;; [unrolled: 1-line block ×5, first 2 shown]
	s_waitcnt vmcnt(3)
	v_lshl_or_b32 v1, v4, 8, v1
	buffer_load_dword v4, off, s[0:3], s33 offset:260 ; 4-byte Folded Reload
	s_waitcnt vmcnt(3)
	v_lshlrev_b32_e32 v6, 16, v6
	s_waitcnt vmcnt(2)
	v_lshlrev_b32_e32 v5, 24, v5
	;; [unrolled: 2-line block ×3, first 2 shown]
	v_or3_b32 v44, v1, v6, v7
	s_waitcnt vmcnt(0)
	v_lshlrev_b32_e32 v4, 16, v4
	v_or3_b32 v45, v0, v4, v5
	buffer_load_dword v0, off, s[0:3], s33 offset:288 ; 4-byte Folded Reload
	buffer_load_dword v1, off, s[0:3], s33 offset:296 ; 4-byte Folded Reload
	;; [unrolled: 1-line block ×3, first 2 shown]
	s_waitcnt vmcnt(1)
	v_lshl_or_b32 v0, v1, 8, v0
	buffer_load_dword v1, off, s[0:3], s33 offset:300 ; 4-byte Folded Reload
	s_waitcnt vmcnt(1)
	v_lshlrev_b32_e32 v4, 24, v4
	s_waitcnt vmcnt(0)
	v_lshlrev_b32_e32 v1, 16, v1
	v_or3_b32 v46, v0, v1, v4
	buffer_load_dword v0, off, s[0:3], s33 offset:308 ; 4-byte Folded Reload
	buffer_load_dword v1, off, s[0:3], s33 offset:312 ; 4-byte Folded Reload
	;; [unrolled: 1-line block ×3, first 2 shown]
	s_waitcnt vmcnt(1)
	v_lshl_or_b32 v0, v1, 8, v0
	buffer_load_dword v1, off, s[0:3], s33 offset:320 ; 4-byte Folded Reload
	s_waitcnt vmcnt(1)
	v_lshlrev_b32_e32 v4, 16, v4
	s_waitcnt vmcnt(0)
	v_lshlrev_b32_e32 v1, 24, v1
	v_or3_b32 v47, v0, v4, v1
	buffer_load_dword v0, off, s[0:3], s33 offset:116 ; 4-byte Folded Reload
	buffer_load_dword v1, off, s[0:3], s33 offset:124 ; 4-byte Folded Reload
	s_waitcnt vmcnt(0)
	v_lshl_or_b32 v0, v1, 8, v0
	buffer_load_dword v1, off, s[0:3], s33 offset:84 ; 4-byte Folded Reload
	buffer_load_dword v4, off, s[0:3], s33 offset:92 ; 4-byte Folded Reload
	;; [unrolled: 1-line block ×5, first 2 shown]
	s_waitcnt vmcnt(3)
	v_lshl_or_b32 v1, v4, 8, v1
	buffer_load_dword v4, off, s[0:3], s33 offset:132 ; 4-byte Folded Reload
	s_waitcnt vmcnt(3)
	v_lshlrev_b32_e32 v6, 16, v6
	s_waitcnt vmcnt(2)
	v_lshlrev_b32_e32 v5, 24, v5
	;; [unrolled: 2-line block ×4, first 2 shown]
	v_or3_b32 v5, v0, v4, v5
	v_or3_b32 v4, v1, v6, v7
	buffer_load_dword v0, off, s[0:3], s33 offset:148 ; 4-byte Folded Reload
	buffer_load_dword v1, off, s[0:3], s33 offset:156 ; 4-byte Folded Reload
	;; [unrolled: 1-line block ×3, first 2 shown]
	s_waitcnt vmcnt(1)
	v_lshl_or_b32 v0, v1, 8, v0
	buffer_load_dword v1, off, s[0:3], s33 offset:164 ; 4-byte Folded Reload
	s_waitcnt vmcnt(1)
	v_lshlrev_b32_e32 v6, 24, v6
	s_waitcnt vmcnt(0)
	v_lshlrev_b32_e32 v1, 16, v1
	v_or3_b32 v6, v0, v1, v6
	buffer_load_dword v0, off, s[0:3], s33 offset:204 ; 4-byte Folded Reload
	buffer_load_dword v1, off, s[0:3], s33 offset:196 ; 4-byte Folded Reload
	buffer_load_dword v7, off, s[0:3], s33 offset:180 ; 4-byte Folded Reload
	buffer_load_dword v24, off, s[0:3], s33 offset:188 ; 4-byte Folded Reload
	s_waitcnt vmcnt(3)
	v_lshlrev_b32_e32 v0, 24, v0
	s_waitcnt vmcnt(2)
	v_lshlrev_b32_e32 v1, 16, v1
	s_waitcnt vmcnt(0)
	v_lshl_or_b32 v7, v24, 8, v7
	v_or3_b32 v7, v7, v1, v0
	buffer_load_dword v0, off, s[0:3], s33 offset:528 ; 4-byte Folded Reload
	v_lshl_or_b32 v24, v38, 8, v37
	v_or3_b32 v37, v24, v25, v30
	v_lshl_or_b32 v24, v34, 8, v32
	v_lshlrev_b32_e32 v25, 16, v35
	v_lshlrev_b32_e32 v30, 24, v36
	v_or3_b32 v36, v24, v25, v30
	v_lshl_or_b32 v24, v50, 8, v49
	v_lshlrev_b32_e32 v25, 16, v51
	v_lshlrev_b32_e32 v30, 24, v52
	v_or3_b32 v38, v24, v25, v30
	v_lshlrev_b32_e32 v24, 16, v54
	v_or3_b32 v39, v3, v24, v2
	s_waitcnt vmcnt(0)
	v_add_co_u32_e32 v0, vcc, v0, v26
	v_addc_co_u32_e32 v1, vcc, 0, v27, vcc
	global_store_dwordx4 v[0:1], v[4:7], off glc slc
	global_store_dwordx4 v[0:1], v[44:47], off offset:1024 glc slc
	global_store_dwordx4 v[0:1], v[40:43], off offset:2048 glc slc
	;; [unrolled: 1-line block ×3, first 2 shown]
	v_add_co_u32_e32 v0, vcc, s9, v0
	v_addc_co_u32_e32 v1, vcc, 0, v1, vcc
	global_store_dwordx4 v[0:1], v[16:19], off glc slc
	global_store_dwordx4 v[0:1], v[12:15], off offset:1024 glc slc
	global_store_dwordx4 v[0:1], v[8:11], off offset:2048 glc slc
	;; [unrolled: 1-line block ×3, first 2 shown]
	buffer_load_dword v0, off, s[0:3], s33 offset:284 ; 4-byte Folded Reload
	s_waitcnt vmcnt(0)
	v_sub_u32_e32 v55, v55, v0
	buffer_load_dword v0, off, s[0:3], s33 offset:684 ; 4-byte Folded Reload
	s_waitcnt vmcnt(0)
	v_add_co_u32_e32 v28, vcc, v28, v0
	v_addc_co_u32_e32 v29, vcc, 0, v29, vcc
	v_cmp_gt_i32_e32 vcc, 1, v55
	s_or_b64 s[28:29], vcc, s[28:29]
	v_add_co_u32_e32 v26, vcc, v26, v0
	v_addc_co_u32_e32 v27, vcc, 0, v27, vcc
	s_andn2_b64 exec, exec, s[28:29]
	s_cbranch_execz .LBB6_3729
.LBB6_138:                              ;   Parent Loop BB6_47 Depth=1
                                        ;     Parent Loop BB6_57 Depth=2
                                        ; =>    This Inner Loop Header: Depth=3
	buffer_load_dword v0, off, s[0:3], s33 offset:528 ; 4-byte Folded Reload
	s_cmpk_lt_i32 s38, 0x80
	s_cbranch_scc1 .LBB6_142
; %bb.139:                              ;   in Loop: Header=BB6_138 Depth=3
	s_and_b32 s62, 0xffff, s38
	s_mov_b64 s[26:27], -1
	s_cmpk_eq_i32 s62, 0x80
	s_cbranch_scc0 .LBB6_141
; %bb.140:                              ;   in Loop: Header=BB6_138 Depth=3
	s_mov_b64 s[26:27], 0
.LBB6_141:                              ;   in Loop: Header=BB6_138 Depth=3
	s_brev_b32 s62, 1
	s_branch .LBB6_144
.LBB6_142:                              ;   in Loop: Header=BB6_138 Depth=3
	s_mov_b64 s[26:27], 0
	s_brev_b32 s62, 1
	s_cbranch_execz .LBB6_144
; %bb.143:                              ;   in Loop: Header=BB6_138 Depth=3
	s_and_b32 s26, 0xffff, s38
	s_cmp_lg_u32 s26, 0
	s_mov_b32 s62, 0
	s_cselect_b64 s[26:27], -1, 0
.LBB6_144:                              ;   in Loop: Header=BB6_138 Depth=3
	s_andn2_b64 vcc, exec, s[26:27]
	v_mov_b32_e32 v14, s62
	s_cbranch_vccnz .LBB6_146
; %bb.145:                              ;   in Loop: Header=BB6_138 Depth=3
	buffer_load_dword v14, off, s[0:3], s33 offset:720 ; 4-byte Folded Reload
.LBB6_146:                              ;   in Loop: Header=BB6_138 Depth=3
	s_waitcnt vmcnt(0)
	v_add_co_u32_e32 v12, vcc, v0, v28
	v_addc_co_u32_e32 v13, vcc, 0, v29, vcc
	global_load_dwordx4 v[8:11], v[12:13], off glc slc
	v_mov_b32_e32 v0, 0
	s_waitcnt vmcnt(0)
	v_cmp_ne_u16_sdwa s[62:63], v8, v33 src0_sel:BYTE_0 src1_sel:DWORD
	s_and_saveexec_b64 s[26:27], s[62:63]
	s_cbranch_execz .LBB6_154
; %bb.147:                              ;   in Loop: Header=BB6_138 Depth=3
	v_cmp_ne_u16_sdwa s[62:63], sext(v8), s46 src0_sel:BYTE_0 src1_sel:DWORD
	v_bfrev_b32_e32 v0, 1
	s_and_saveexec_b64 s[94:95], s[62:63]
	s_cbranch_execz .LBB6_153
; %bb.148:                              ;   in Loop: Header=BB6_138 Depth=3
	v_and_b32_e32 v0, 0x7c, v8
	v_and_b32_e32 v1, 3, v8
	v_cmp_ne_u32_e32 vcc, s86, v0
                                        ; implicit-def: $vgpr0
	s_and_saveexec_b64 s[62:63], vcc
	s_xor_b64 s[30:31], exec, s[62:63]
	s_cbranch_execz .LBB6_150
; %bb.149:                              ;   in Loop: Header=BB6_138 Depth=3
	v_ffbh_u32_e32 v2, v1
	v_min_u32_e32 v4, 32, v2
	v_subrev_u32_e32 v2, 29, v4
	v_lshlrev_b64 v[2:3], v2, v[8:9]
	v_bfe_u32 v0, v8, 2, 5
	v_and_b32_e32 v2, 3, v2
	v_cmp_eq_u32_e32 vcc, 0, v0
	v_sub_u32_e32 v3, 30, v4
	v_cndmask_b32_e32 v1, v1, v2, vcc
	v_lshlrev_b32_e32 v2, 24, v8
	v_cndmask_b32_e32 v0, v0, v3, vcc
	v_and_b32_e32 v2, 0x80000000, v2
	v_lshl_add_u32 v0, v0, 23, v2
	v_lshl_or_b32 v0, v1, 21, v0
	v_add_u32_e32 v0, 0x38000000, v0
                                        ; implicit-def: $vgpr1
.LBB6_150:                              ;   in Loop: Header=BB6_138 Depth=3
	s_andn2_saveexec_b64 s[30:31], s[30:31]
; %bb.151:                              ;   in Loop: Header=BB6_138 Depth=3
	v_mov_b32_e32 v0, -1
	v_cmp_gt_i16_sdwa vcc, sext(v8), v0 src0_sel:BYTE_0 src1_sel:DWORD
	v_mov_b32_e32 v0, 0xff800000
	v_mov_b32_e32 v2, 0x7f800000
	v_cndmask_b32_e32 v0, v0, v2, vcc
	v_cmp_eq_u32_e32 vcc, 0, v1
	v_mov_b32_e32 v1, 0x7f800001
	v_cndmask_b32_e32 v0, v1, v0, vcc
; %bb.152:                              ;   in Loop: Header=BB6_138 Depth=3
	s_or_b64 exec, exec, s[30:31]
.LBB6_153:                              ;   in Loop: Header=BB6_138 Depth=3
	s_or_b64 exec, exec, s[94:95]
.LBB6_154:                              ;   in Loop: Header=BB6_138 Depth=3
	s_or_b64 exec, exec, s[26:27]
	v_mul_f32_e32 v2, v14, v0
	v_and_b32_e32 v3, 0x7f800000, v2
	v_mov_b32_e32 v4, v33
	v_cmp_ne_u64_e32 vcc, s[76:77], v[3:4]
	v_and_b32_e32 v0, 0x7fffff, v2
	v_mov_b32_e32 v1, v33
                                        ; implicit-def: $vgpr3
                                        ; kill: killed $vgpr3
	s_and_saveexec_b64 s[26:27], vcc
	s_xor_b64 s[94:95], exec, s[26:27]
	s_cbranch_execz .LBB6_168
; %bb.155:                              ;   in Loop: Header=BB6_138 Depth=3
	v_and_b32_e32 v3, 0x7fffffff, v2
	v_mov_b32_e32 v4, v33
	v_cmp_gt_u64_e32 vcc, s[78:79], v[3:4]
	v_and_b32_sdwa v3, v2, s97 dst_sel:DWORD dst_unused:UNUSED_PAD src0_sel:BYTE_3 src1_sel:DWORD
                                        ; implicit-def: $vgpr4
                                        ; kill: killed $vgpr4
	s_and_saveexec_b64 s[26:27], vcc
	s_xor_b64 s[30:31], exec, s[26:27]
	s_cbranch_execz .LBB6_165
; %bb.156:                              ;   in Loop: Header=BB6_138 Depth=3
	v_mov_b32_e32 v4, 0
	v_cmp_ne_u32_e32 vcc, 0, v2
	buffer_store_dword v4, off, s[0:3], s33 offset:84 ; 4-byte Folded Spill
	s_and_saveexec_b64 s[34:35], vcc
	s_cbranch_execz .LBB6_164
; %bb.157:                              ;   in Loop: Header=BB6_138 Depth=3
	v_bfe_u32 v5, v2, 23, 8
	v_cmp_gt_u32_e64 s[26:27], s47, v5
	v_sub_u32_e32 v2, 0x71, v5
	v_cmp_eq_u32_e32 vcc, 0, v5
	v_cndmask_b32_e64 v2, 0, v2, s[26:27]
	v_mov_b32_e32 v6, 0x70
	v_cndmask_b32_e32 v6, v2, v6, vcc
	v_add_u32_e32 v2, 21, v6
	v_or_b32_e32 v4, 0x800000, v0
	v_lshlrev_b64 v[15:16], v2, -1
	v_cndmask_b32_e32 v0, v4, v0, vcc
	v_add_u32_e32 v2, 20, v6
	v_bfi_b32 v15, v15, 0, v0
	v_lshlrev_b64 v[17:18], v2, 1
	v_lshrrev_b64 v[0:1], v6, v[0:1]
	v_bfi_b32 v16, v16, 0, 0
	v_cmp_eq_u64_e64 s[26:27], v[15:16], v[17:18]
	v_mov_b32_e32 v2, v1
	v_mov_b32_e32 v1, v0
	s_and_saveexec_b64 s[36:37], s[26:27]
; %bb.158:                              ;   in Loop: Header=BB6_138 Depth=3
	v_bfe_u32 v1, v0, 21, 1
	v_add_co_u32_e64 v1, s[26:27], v0, v1
	v_add_co_u32_e64 v1, s[26:27], -1, v1
; %bb.159:                              ;   in Loop: Header=BB6_138 Depth=3
	s_or_b64 exec, exec, s[36:37]
	v_add_u32_e32 v2, 0xffffff81, v5
	v_mov_b32_e32 v4, 0xffffff82
	v_cndmask_b32_e32 v2, v2, v4, vcc
	v_lshrrev_b32_e32 v4, 23, v0
	v_add3_u32 v6, v6, v2, v4
	v_add_u32_e32 v5, 14, v6
	v_and_b32_e32 v1, 0x1fffff, v1
	v_add_u32_e32 v0, v1, v0
	v_mov_b32_e32 v1, v33
	v_cmp_ne_u32_e32 vcc, 0, v5
                                        ; implicit-def: $vgpr2
	s_and_saveexec_b64 s[26:27], vcc
	s_xor_b64 s[26:27], exec, s[26:27]
; %bb.160:                              ;   in Loop: Header=BB6_138 Depth=3
	v_cmp_lt_u64_e32 vcc, s[88:89], v[0:1]
	v_add_u32_e32 v2, 15, v6
	v_cndmask_b32_e64 v4, 0, 1, vcc
	v_cndmask_b32_e32 v2, v5, v2, vcc
	v_lshrrev_b64 v[0:1], v4, v[0:1]
; %bb.161:                              ;   in Loop: Header=BB6_138 Depth=3
	s_andn2_saveexec_b64 s[26:27], s[26:27]
; %bb.162:                              ;   in Loop: Header=BB6_138 Depth=3
	v_bfe_u32 v2, v0, 23, 1
; %bb.163:                              ;   in Loop: Header=BB6_138 Depth=3
	s_or_b64 exec, exec, s[26:27]
	v_lshrrev_b64 v[0:1], 21, v[0:1]
	v_cmp_gt_i32_e32 vcc, 32, v2
	v_cndmask_b32_e32 v1, 0, v1, vcc
	v_cndmask_b32_e32 v0, 3, v0, vcc
	v_cmp_eq_u64_e64 s[26:27], 0, v[0:1]
	v_min_i32_e32 v1, 31, v2
	v_lshlrev_b32_e32 v1, 2, v1
	v_cmp_eq_u32_e32 vcc, 0, v2
	v_and_b32_e32 v1, 0xfc, v1
	v_and_or_b32 v0, v0, 3, v1
	s_and_b64 s[26:27], vcc, s[26:27]
	v_cndmask_b32_e64 v0, v0, 0, s[26:27]
	v_or_b32_e32 v0, v0, v3
	buffer_store_dword v0, off, s[0:3], s33 offset:84 ; 4-byte Folded Spill
.LBB6_164:                              ;   in Loop: Header=BB6_138 Depth=3
	s_or_b64 exec, exec, s[34:35]
                                        ; implicit-def: $vgpr3
.LBB6_165:                              ;   in Loop: Header=BB6_138 Depth=3
	s_andn2_saveexec_b64 s[26:27], s[30:31]
	s_cbranch_execz .LBB6_167
; %bb.166:                              ;   in Loop: Header=BB6_138 Depth=3
	v_or_b32_e32 v0, 0x7b, v3
	buffer_store_dword v0, off, s[0:3], s33 offset:84 ; 4-byte Folded Spill
.LBB6_167:                              ;   in Loop: Header=BB6_138 Depth=3
	s_or_b64 exec, exec, s[26:27]
                                        ; implicit-def: $vgpr2
                                        ; implicit-def: $vgpr0_vgpr1
.LBB6_168:                              ;   in Loop: Header=BB6_138 Depth=3
	s_andn2_saveexec_b64 s[26:27], s[94:95]
	s_cbranch_execz .LBB6_174
; %bb.169:                              ;   in Loop: Header=BB6_138 Depth=3
	v_cmp_ne_u64_e32 vcc, 0, v[0:1]
                                        ; implicit-def: $vgpr0
                                        ; kill: killed $vgpr0
	s_and_saveexec_b64 s[62:63], vcc
	s_xor_b64 s[94:95], exec, s[62:63]
	s_cbranch_execz .LBB6_171
; %bb.170:                              ;   in Loop: Header=BB6_138 Depth=3
	v_or_b32_sdwa v0, v2, s44 dst_sel:DWORD dst_unused:UNUSED_PAD src0_sel:BYTE_3 src1_sel:DWORD
	buffer_store_dword v0, off, s[0:3], s33 offset:84 ; 4-byte Folded Spill
                                        ; implicit-def: $vgpr2
.LBB6_171:                              ;   in Loop: Header=BB6_138 Depth=3
	s_andn2_saveexec_b64 s[94:95], s[94:95]
	s_cbranch_execz .LBB6_173
; %bb.172:                              ;   in Loop: Header=BB6_138 Depth=3
	v_cmp_lt_i32_e32 vcc, -1, v2
	v_bfrev_b32_e32 v0, 0.5
	v_mov_b32_e32 v1, 0x7c
	v_cndmask_b32_e32 v0, v0, v1, vcc
	buffer_store_dword v0, off, s[0:3], s33 offset:84 ; 4-byte Folded Spill
.LBB6_173:                              ;   in Loop: Header=BB6_138 Depth=3
	s_or_b64 exec, exec, s[94:95]
.LBB6_174:                              ;   in Loop: Header=BB6_138 Depth=3
	s_or_b64 exec, exec, s[26:27]
	v_lshrrev_b16_e32 v0, 8, v8
	v_cmp_ne_u16_e32 vcc, 0, v0
	v_mov_b32_e32 v1, 0
	s_and_saveexec_b64 s[26:27], vcc
	s_cbranch_execz .LBB6_182
; %bb.175:                              ;   in Loop: Header=BB6_138 Depth=3
	v_cmp_ne_u16_e32 vcc, s97, v0
	v_bfrev_b32_e32 v1, 1
	s_and_saveexec_b64 s[94:95], vcc
	s_cbranch_execz .LBB6_181
; %bb.176:                              ;   in Loop: Header=BB6_138 Depth=3
	v_and_b32_e32 v1, 0x7c, v0
	v_and_b32_e32 v2, 3, v0
	v_cmp_ne_u32_e32 vcc, s86, v1
                                        ; implicit-def: $vgpr1
	s_and_saveexec_b64 s[62:63], vcc
	s_xor_b64 s[30:31], exec, s[62:63]
	s_cbranch_execz .LBB6_178
; %bb.177:                              ;   in Loop: Header=BB6_138 Depth=3
	v_ffbh_u32_e32 v4, v2
	v_min_u32_e32 v4, 32, v4
	v_mov_b32_e32 v1, v33
	v_subrev_u32_e32 v5, 29, v4
	v_bfe_u32 v3, v0, 2, 5
	v_lshlrev_b64 v[0:1], v5, v[0:1]
	v_cmp_eq_u32_e32 vcc, 0, v3
	v_and_b32_e32 v0, 3, v0
	v_sub_u32_e32 v1, 30, v4
	v_cndmask_b32_e32 v0, v2, v0, vcc
	v_lshlrev_b32_e32 v2, 16, v8
	v_cndmask_b32_e32 v1, v3, v1, vcc
	v_and_b32_e32 v2, 0x80000000, v2
	v_lshl_add_u32 v1, v1, 23, v2
	v_lshl_or_b32 v0, v0, 21, v1
	v_add_u32_e32 v1, 0x38000000, v0
                                        ; implicit-def: $vgpr2
.LBB6_178:                              ;   in Loop: Header=BB6_138 Depth=3
	s_andn2_saveexec_b64 s[30:31], s[30:31]
; %bb.179:                              ;   in Loop: Header=BB6_138 Depth=3
	v_cmp_lt_i16_e32 vcc, -1, v8
	v_mov_b32_e32 v0, 0xff800000
	v_mov_b32_e32 v1, 0x7f800000
	v_cndmask_b32_e32 v0, v0, v1, vcc
	v_cmp_eq_u32_e32 vcc, 0, v2
	v_mov_b32_e32 v1, 0x7f800001
	v_cndmask_b32_e32 v1, v1, v0, vcc
; %bb.180:                              ;   in Loop: Header=BB6_138 Depth=3
	s_or_b64 exec, exec, s[30:31]
.LBB6_181:                              ;   in Loop: Header=BB6_138 Depth=3
	s_or_b64 exec, exec, s[94:95]
.LBB6_182:                              ;   in Loop: Header=BB6_138 Depth=3
	s_or_b64 exec, exec, s[26:27]
	v_mul_f32_e32 v2, v14, v1
	v_and_b32_e32 v3, 0x7f800000, v2
	v_mov_b32_e32 v4, v33
	v_cmp_ne_u64_e32 vcc, s[76:77], v[3:4]
	v_and_b32_e32 v0, 0x7fffff, v2
	v_mov_b32_e32 v1, v33
                                        ; implicit-def: $vgpr3
                                        ; kill: killed $vgpr3
	s_and_saveexec_b64 s[26:27], vcc
	s_xor_b64 s[94:95], exec, s[26:27]
	s_cbranch_execz .LBB6_196
; %bb.183:                              ;   in Loop: Header=BB6_138 Depth=3
	v_and_b32_e32 v3, 0x7fffffff, v2
	v_mov_b32_e32 v4, v33
	v_cmp_gt_u64_e32 vcc, s[78:79], v[3:4]
	v_and_b32_sdwa v3, v2, s97 dst_sel:DWORD dst_unused:UNUSED_PAD src0_sel:BYTE_3 src1_sel:DWORD
                                        ; implicit-def: $vgpr4
                                        ; kill: killed $vgpr4
	s_and_saveexec_b64 s[26:27], vcc
	s_xor_b64 s[30:31], exec, s[26:27]
	s_cbranch_execz .LBB6_193
; %bb.184:                              ;   in Loop: Header=BB6_138 Depth=3
	v_mov_b32_e32 v4, 0
	v_cmp_ne_u32_e32 vcc, 0, v2
	buffer_store_dword v4, off, s[0:3], s33 offset:92 ; 4-byte Folded Spill
	s_and_saveexec_b64 s[34:35], vcc
	s_cbranch_execz .LBB6_192
; %bb.185:                              ;   in Loop: Header=BB6_138 Depth=3
	v_bfe_u32 v5, v2, 23, 8
	v_cmp_gt_u32_e64 s[26:27], s47, v5
	v_sub_u32_e32 v2, 0x71, v5
	v_cmp_eq_u32_e32 vcc, 0, v5
	v_cndmask_b32_e64 v2, 0, v2, s[26:27]
	v_mov_b32_e32 v6, 0x70
	v_cndmask_b32_e32 v6, v2, v6, vcc
	v_add_u32_e32 v2, 21, v6
	v_or_b32_e32 v4, 0x800000, v0
	v_lshlrev_b64 v[15:16], v2, -1
	v_cndmask_b32_e32 v0, v4, v0, vcc
	v_add_u32_e32 v2, 20, v6
	v_bfi_b32 v15, v15, 0, v0
	v_lshlrev_b64 v[17:18], v2, 1
	v_lshrrev_b64 v[0:1], v6, v[0:1]
	v_bfi_b32 v16, v16, 0, 0
	v_cmp_eq_u64_e64 s[26:27], v[15:16], v[17:18]
	v_mov_b32_e32 v2, v1
	v_mov_b32_e32 v1, v0
	s_and_saveexec_b64 s[36:37], s[26:27]
; %bb.186:                              ;   in Loop: Header=BB6_138 Depth=3
	v_bfe_u32 v1, v0, 21, 1
	v_add_co_u32_e64 v1, s[26:27], v0, v1
	v_add_co_u32_e64 v1, s[26:27], -1, v1
; %bb.187:                              ;   in Loop: Header=BB6_138 Depth=3
	s_or_b64 exec, exec, s[36:37]
	v_add_u32_e32 v2, 0xffffff81, v5
	v_mov_b32_e32 v4, 0xffffff82
	v_cndmask_b32_e32 v2, v2, v4, vcc
	v_lshrrev_b32_e32 v4, 23, v0
	v_add3_u32 v6, v6, v2, v4
	v_add_u32_e32 v5, 14, v6
	v_and_b32_e32 v1, 0x1fffff, v1
	v_add_u32_e32 v0, v1, v0
	v_mov_b32_e32 v1, v33
	v_cmp_ne_u32_e32 vcc, 0, v5
                                        ; implicit-def: $vgpr2
	s_and_saveexec_b64 s[26:27], vcc
	s_xor_b64 s[26:27], exec, s[26:27]
; %bb.188:                              ;   in Loop: Header=BB6_138 Depth=3
	v_cmp_lt_u64_e32 vcc, s[88:89], v[0:1]
	v_add_u32_e32 v2, 15, v6
	v_cndmask_b32_e64 v4, 0, 1, vcc
	v_cndmask_b32_e32 v2, v5, v2, vcc
	v_lshrrev_b64 v[0:1], v4, v[0:1]
; %bb.189:                              ;   in Loop: Header=BB6_138 Depth=3
	s_andn2_saveexec_b64 s[26:27], s[26:27]
; %bb.190:                              ;   in Loop: Header=BB6_138 Depth=3
	v_bfe_u32 v2, v0, 23, 1
; %bb.191:                              ;   in Loop: Header=BB6_138 Depth=3
	s_or_b64 exec, exec, s[26:27]
	v_lshrrev_b64 v[0:1], 21, v[0:1]
	v_cmp_gt_i32_e32 vcc, 32, v2
	v_cndmask_b32_e32 v1, 0, v1, vcc
	v_cndmask_b32_e32 v0, 3, v0, vcc
	v_cmp_eq_u64_e64 s[26:27], 0, v[0:1]
	v_min_i32_e32 v1, 31, v2
	v_lshlrev_b32_e32 v1, 2, v1
	v_cmp_eq_u32_e32 vcc, 0, v2
	v_and_b32_e32 v1, 0xfc, v1
	v_and_or_b32 v0, v0, 3, v1
	s_and_b64 s[26:27], vcc, s[26:27]
	v_cndmask_b32_e64 v0, v0, 0, s[26:27]
	v_or_b32_e32 v0, v0, v3
	buffer_store_dword v0, off, s[0:3], s33 offset:92 ; 4-byte Folded Spill
.LBB6_192:                              ;   in Loop: Header=BB6_138 Depth=3
	s_or_b64 exec, exec, s[34:35]
                                        ; implicit-def: $vgpr3
.LBB6_193:                              ;   in Loop: Header=BB6_138 Depth=3
	s_andn2_saveexec_b64 s[26:27], s[30:31]
	s_cbranch_execz .LBB6_195
; %bb.194:                              ;   in Loop: Header=BB6_138 Depth=3
	v_or_b32_e32 v0, 0x7b, v3
	buffer_store_dword v0, off, s[0:3], s33 offset:92 ; 4-byte Folded Spill
.LBB6_195:                              ;   in Loop: Header=BB6_138 Depth=3
	s_or_b64 exec, exec, s[26:27]
                                        ; implicit-def: $vgpr2
                                        ; implicit-def: $vgpr0_vgpr1
.LBB6_196:                              ;   in Loop: Header=BB6_138 Depth=3
	s_andn2_saveexec_b64 s[26:27], s[94:95]
	s_cbranch_execz .LBB6_202
; %bb.197:                              ;   in Loop: Header=BB6_138 Depth=3
	v_cmp_ne_u64_e32 vcc, 0, v[0:1]
                                        ; implicit-def: $vgpr0
                                        ; kill: killed $vgpr0
	s_and_saveexec_b64 s[62:63], vcc
	s_xor_b64 s[94:95], exec, s[62:63]
	s_cbranch_execz .LBB6_199
; %bb.198:                              ;   in Loop: Header=BB6_138 Depth=3
	v_or_b32_sdwa v0, v2, s44 dst_sel:DWORD dst_unused:UNUSED_PAD src0_sel:BYTE_3 src1_sel:DWORD
	buffer_store_dword v0, off, s[0:3], s33 offset:92 ; 4-byte Folded Spill
                                        ; implicit-def: $vgpr2
.LBB6_199:                              ;   in Loop: Header=BB6_138 Depth=3
	s_andn2_saveexec_b64 s[94:95], s[94:95]
	s_cbranch_execz .LBB6_201
; %bb.200:                              ;   in Loop: Header=BB6_138 Depth=3
	v_cmp_lt_i32_e32 vcc, -1, v2
	v_bfrev_b32_e32 v0, 0.5
	v_mov_b32_e32 v1, 0x7c
	v_cndmask_b32_e32 v0, v0, v1, vcc
	buffer_store_dword v0, off, s[0:3], s33 offset:92 ; 4-byte Folded Spill
.LBB6_201:                              ;   in Loop: Header=BB6_138 Depth=3
	s_or_b64 exec, exec, s[94:95]
.LBB6_202:                              ;   in Loop: Header=BB6_138 Depth=3
	s_or_b64 exec, exec, s[26:27]
	v_lshrrev_b32_e32 v0, 16, v8
	v_cmp_ne_u16_sdwa s[62:63], v0, v33 src0_sel:BYTE_0 src1_sel:DWORD
	v_mov_b32_e32 v1, 0
	s_and_saveexec_b64 s[26:27], s[62:63]
	s_cbranch_execz .LBB6_210
; %bb.203:                              ;   in Loop: Header=BB6_138 Depth=3
	v_cmp_ne_u16_sdwa s[62:63], v0, s97 src0_sel:BYTE_0 src1_sel:DWORD
	v_bfrev_b32_e32 v1, 1
	s_and_saveexec_b64 s[94:95], s[62:63]
	s_cbranch_execz .LBB6_209
; %bb.204:                              ;   in Loop: Header=BB6_138 Depth=3
	v_and_b32_e32 v1, 0x7c0000, v8
	v_bfe_u32 v2, v8, 16, 2
	v_cmp_ne_u32_e32 vcc, s45, v1
                                        ; implicit-def: $vgpr1
	s_and_saveexec_b64 s[62:63], vcc
	s_xor_b64 s[30:31], exec, s[62:63]
	s_cbranch_execz .LBB6_206
; %bb.205:                              ;   in Loop: Header=BB6_138 Depth=3
	v_ffbh_u32_e32 v1, v2
	v_min_u32_e32 v4, 32, v1
	v_subrev_u32_e32 v1, 29, v4
	v_lshlrev_b64 v[0:1], v1, v[0:1]
	v_bfe_u32 v3, v8, 18, 5
	v_and_b32_e32 v0, 3, v0
	v_cmp_eq_u32_e32 vcc, 0, v3
	v_sub_u32_e32 v1, 30, v4
	v_cndmask_b32_e32 v0, v2, v0, vcc
	v_lshlrev_b32_e32 v2, 8, v8
	v_cndmask_b32_e32 v1, v3, v1, vcc
	v_and_b32_e32 v2, 0x80000000, v2
	v_lshl_add_u32 v1, v1, 23, v2
	v_lshl_or_b32 v0, v0, 21, v1
	v_add_u32_e32 v1, 0x38000000, v0
                                        ; implicit-def: $vgpr2
                                        ; implicit-def: $vgpr0
.LBB6_206:                              ;   in Loop: Header=BB6_138 Depth=3
	s_andn2_saveexec_b64 s[30:31], s[30:31]
; %bb.207:                              ;   in Loop: Header=BB6_138 Depth=3
	v_mov_b32_e32 v1, -1
	v_cmp_gt_i16_sdwa vcc, sext(v0), v1 src0_sel:BYTE_0 src1_sel:DWORD
	v_mov_b32_e32 v0, 0xff800000
	v_mov_b32_e32 v1, 0x7f800000
	v_cndmask_b32_e32 v0, v0, v1, vcc
	v_cmp_eq_u32_e32 vcc, 0, v2
	v_mov_b32_e32 v1, 0x7f800001
	v_cndmask_b32_e32 v1, v1, v0, vcc
; %bb.208:                              ;   in Loop: Header=BB6_138 Depth=3
	s_or_b64 exec, exec, s[30:31]
.LBB6_209:                              ;   in Loop: Header=BB6_138 Depth=3
	s_or_b64 exec, exec, s[94:95]
.LBB6_210:                              ;   in Loop: Header=BB6_138 Depth=3
	s_or_b64 exec, exec, s[26:27]
	v_mul_f32_e32 v2, v14, v1
	v_and_b32_e32 v3, 0x7f800000, v2
	v_mov_b32_e32 v4, v33
	v_cmp_ne_u64_e32 vcc, s[76:77], v[3:4]
	v_and_b32_e32 v0, 0x7fffff, v2
	v_mov_b32_e32 v1, v33
                                        ; implicit-def: $vgpr3
                                        ; kill: killed $vgpr3
	s_and_saveexec_b64 s[26:27], vcc
	s_xor_b64 s[94:95], exec, s[26:27]
	s_cbranch_execz .LBB6_224
; %bb.211:                              ;   in Loop: Header=BB6_138 Depth=3
	v_and_b32_e32 v3, 0x7fffffff, v2
	v_mov_b32_e32 v4, v33
	v_cmp_gt_u64_e32 vcc, s[78:79], v[3:4]
	v_and_b32_sdwa v3, v2, s97 dst_sel:DWORD dst_unused:UNUSED_PAD src0_sel:BYTE_3 src1_sel:DWORD
                                        ; implicit-def: $vgpr4
                                        ; kill: killed $vgpr4
	s_and_saveexec_b64 s[26:27], vcc
	s_xor_b64 s[30:31], exec, s[26:27]
	s_cbranch_execz .LBB6_221
; %bb.212:                              ;   in Loop: Header=BB6_138 Depth=3
	v_mov_b32_e32 v4, 0
	v_cmp_ne_u32_e32 vcc, 0, v2
	buffer_store_dword v4, off, s[0:3], s33 offset:100 ; 4-byte Folded Spill
	s_and_saveexec_b64 s[34:35], vcc
	s_cbranch_execz .LBB6_220
; %bb.213:                              ;   in Loop: Header=BB6_138 Depth=3
	v_bfe_u32 v5, v2, 23, 8
	v_cmp_gt_u32_e64 s[26:27], s47, v5
	v_sub_u32_e32 v2, 0x71, v5
	v_cmp_eq_u32_e32 vcc, 0, v5
	v_cndmask_b32_e64 v2, 0, v2, s[26:27]
	v_mov_b32_e32 v6, 0x70
	v_cndmask_b32_e32 v6, v2, v6, vcc
	v_add_u32_e32 v2, 21, v6
	v_or_b32_e32 v4, 0x800000, v0
	v_lshlrev_b64 v[15:16], v2, -1
	v_cndmask_b32_e32 v0, v4, v0, vcc
	v_add_u32_e32 v2, 20, v6
	v_bfi_b32 v15, v15, 0, v0
	v_lshlrev_b64 v[17:18], v2, 1
	v_lshrrev_b64 v[0:1], v6, v[0:1]
	v_bfi_b32 v16, v16, 0, 0
	v_cmp_eq_u64_e64 s[26:27], v[15:16], v[17:18]
	v_mov_b32_e32 v2, v1
	v_mov_b32_e32 v1, v0
	s_and_saveexec_b64 s[36:37], s[26:27]
; %bb.214:                              ;   in Loop: Header=BB6_138 Depth=3
	v_bfe_u32 v1, v0, 21, 1
	v_add_co_u32_e64 v1, s[26:27], v0, v1
	v_add_co_u32_e64 v1, s[26:27], -1, v1
; %bb.215:                              ;   in Loop: Header=BB6_138 Depth=3
	s_or_b64 exec, exec, s[36:37]
	v_add_u32_e32 v2, 0xffffff81, v5
	v_mov_b32_e32 v4, 0xffffff82
	v_cndmask_b32_e32 v2, v2, v4, vcc
	v_lshrrev_b32_e32 v4, 23, v0
	v_add3_u32 v6, v6, v2, v4
	v_add_u32_e32 v5, 14, v6
	v_and_b32_e32 v1, 0x1fffff, v1
	v_add_u32_e32 v0, v1, v0
	v_mov_b32_e32 v1, v33
	v_cmp_ne_u32_e32 vcc, 0, v5
                                        ; implicit-def: $vgpr2
	s_and_saveexec_b64 s[26:27], vcc
	s_xor_b64 s[26:27], exec, s[26:27]
; %bb.216:                              ;   in Loop: Header=BB6_138 Depth=3
	v_cmp_lt_u64_e32 vcc, s[88:89], v[0:1]
	v_add_u32_e32 v2, 15, v6
	v_cndmask_b32_e64 v4, 0, 1, vcc
	v_cndmask_b32_e32 v2, v5, v2, vcc
	v_lshrrev_b64 v[0:1], v4, v[0:1]
; %bb.217:                              ;   in Loop: Header=BB6_138 Depth=3
	s_andn2_saveexec_b64 s[26:27], s[26:27]
; %bb.218:                              ;   in Loop: Header=BB6_138 Depth=3
	v_bfe_u32 v2, v0, 23, 1
; %bb.219:                              ;   in Loop: Header=BB6_138 Depth=3
	s_or_b64 exec, exec, s[26:27]
	v_lshrrev_b64 v[0:1], 21, v[0:1]
	v_cmp_gt_i32_e32 vcc, 32, v2
	v_cndmask_b32_e32 v1, 0, v1, vcc
	v_cndmask_b32_e32 v0, 3, v0, vcc
	v_cmp_eq_u64_e64 s[26:27], 0, v[0:1]
	v_min_i32_e32 v1, 31, v2
	v_lshlrev_b32_e32 v1, 2, v1
	v_cmp_eq_u32_e32 vcc, 0, v2
	v_and_b32_e32 v1, 0xfc, v1
	v_and_or_b32 v0, v0, 3, v1
	s_and_b64 s[26:27], vcc, s[26:27]
	v_cndmask_b32_e64 v0, v0, 0, s[26:27]
	v_or_b32_e32 v0, v0, v3
	buffer_store_dword v0, off, s[0:3], s33 offset:100 ; 4-byte Folded Spill
.LBB6_220:                              ;   in Loop: Header=BB6_138 Depth=3
	s_or_b64 exec, exec, s[34:35]
                                        ; implicit-def: $vgpr3
.LBB6_221:                              ;   in Loop: Header=BB6_138 Depth=3
	s_andn2_saveexec_b64 s[26:27], s[30:31]
	s_cbranch_execz .LBB6_223
; %bb.222:                              ;   in Loop: Header=BB6_138 Depth=3
	v_or_b32_e32 v0, 0x7b, v3
	buffer_store_dword v0, off, s[0:3], s33 offset:100 ; 4-byte Folded Spill
.LBB6_223:                              ;   in Loop: Header=BB6_138 Depth=3
	s_or_b64 exec, exec, s[26:27]
                                        ; implicit-def: $vgpr2
                                        ; implicit-def: $vgpr0_vgpr1
.LBB6_224:                              ;   in Loop: Header=BB6_138 Depth=3
	s_andn2_saveexec_b64 s[26:27], s[94:95]
	s_cbranch_execz .LBB6_230
; %bb.225:                              ;   in Loop: Header=BB6_138 Depth=3
	v_cmp_ne_u64_e32 vcc, 0, v[0:1]
                                        ; implicit-def: $vgpr0
                                        ; kill: killed $vgpr0
	s_and_saveexec_b64 s[62:63], vcc
	s_xor_b64 s[94:95], exec, s[62:63]
	s_cbranch_execz .LBB6_227
; %bb.226:                              ;   in Loop: Header=BB6_138 Depth=3
	v_or_b32_sdwa v0, v2, s44 dst_sel:DWORD dst_unused:UNUSED_PAD src0_sel:BYTE_3 src1_sel:DWORD
	buffer_store_dword v0, off, s[0:3], s33 offset:100 ; 4-byte Folded Spill
                                        ; implicit-def: $vgpr2
.LBB6_227:                              ;   in Loop: Header=BB6_138 Depth=3
	s_andn2_saveexec_b64 s[94:95], s[94:95]
	s_cbranch_execz .LBB6_229
; %bb.228:                              ;   in Loop: Header=BB6_138 Depth=3
	v_cmp_lt_i32_e32 vcc, -1, v2
	v_bfrev_b32_e32 v0, 0.5
	v_mov_b32_e32 v1, 0x7c
	v_cndmask_b32_e32 v0, v0, v1, vcc
	buffer_store_dword v0, off, s[0:3], s33 offset:100 ; 4-byte Folded Spill
.LBB6_229:                              ;   in Loop: Header=BB6_138 Depth=3
	s_or_b64 exec, exec, s[94:95]
.LBB6_230:                              ;   in Loop: Header=BB6_138 Depth=3
	s_or_b64 exec, exec, s[26:27]
	v_cmp_lt_u32_e32 vcc, s57, v8
	v_mov_b32_e32 v1, 0
	s_and_saveexec_b64 s[26:27], vcc
	s_cbranch_execz .LBB6_238
; %bb.231:                              ;   in Loop: Header=BB6_138 Depth=3
	v_lshrrev_b32_e32 v0, 24, v8
	v_cmp_ne_u32_e32 vcc, s97, v0
	v_bfrev_b32_e32 v1, 1
	s_and_saveexec_b64 s[94:95], vcc
	s_cbranch_execz .LBB6_237
; %bb.232:                              ;   in Loop: Header=BB6_138 Depth=3
	v_and_b32_e32 v1, 0x7c000000, v8
	v_bfe_u32 v2, v8, 24, 2
	v_cmp_ne_u32_e32 vcc, s68, v1
                                        ; implicit-def: $vgpr1
	s_and_saveexec_b64 s[62:63], vcc
	s_xor_b64 s[30:31], exec, s[62:63]
	s_cbranch_execz .LBB6_234
; %bb.233:                              ;   in Loop: Header=BB6_138 Depth=3
	v_ffbh_u32_e32 v1, v2
	v_min_u32_e32 v4, 32, v1
	v_subrev_u32_e32 v1, 29, v4
	v_lshlrev_b64 v[0:1], v1, v[0:1]
	v_bfe_u32 v3, v8, 26, 5
	v_sub_u32_e32 v1, 30, v4
	v_and_b32_e32 v0, 3, v0
	v_cmp_eq_u32_e32 vcc, 0, v3
	v_cndmask_b32_e32 v1, v3, v1, vcc
	v_cndmask_b32_e32 v0, v2, v0, vcc
	v_and_b32_e32 v2, 0x80000000, v8
	v_lshl_add_u32 v1, v1, 23, v2
	v_lshl_or_b32 v0, v0, 21, v1
	v_add_u32_e32 v1, 0x38000000, v0
                                        ; implicit-def: $vgpr2
.LBB6_234:                              ;   in Loop: Header=BB6_138 Depth=3
	s_andn2_saveexec_b64 s[30:31], s[30:31]
; %bb.235:                              ;   in Loop: Header=BB6_138 Depth=3
	v_cmp_lt_i32_e32 vcc, -1, v8
	v_mov_b32_e32 v0, 0xff800000
	v_mov_b32_e32 v1, 0x7f800000
	v_cndmask_b32_e32 v0, v0, v1, vcc
	v_cmp_eq_u32_e32 vcc, 0, v2
	v_mov_b32_e32 v1, 0x7f800001
	v_cndmask_b32_e32 v1, v1, v0, vcc
; %bb.236:                              ;   in Loop: Header=BB6_138 Depth=3
	s_or_b64 exec, exec, s[30:31]
.LBB6_237:                              ;   in Loop: Header=BB6_138 Depth=3
	s_or_b64 exec, exec, s[94:95]
.LBB6_238:                              ;   in Loop: Header=BB6_138 Depth=3
	s_or_b64 exec, exec, s[26:27]
	v_mul_f32_e32 v2, v14, v1
	v_and_b32_e32 v3, 0x7f800000, v2
	v_mov_b32_e32 v4, v33
	v_cmp_ne_u64_e32 vcc, s[76:77], v[3:4]
	v_and_b32_e32 v0, 0x7fffff, v2
	v_mov_b32_e32 v1, v33
                                        ; implicit-def: $vgpr3
                                        ; kill: killed $vgpr3
	s_and_saveexec_b64 s[26:27], vcc
	s_xor_b64 s[94:95], exec, s[26:27]
	s_cbranch_execz .LBB6_252
; %bb.239:                              ;   in Loop: Header=BB6_138 Depth=3
	v_and_b32_e32 v3, 0x7fffffff, v2
	v_mov_b32_e32 v4, v33
	v_cmp_gt_u64_e32 vcc, s[78:79], v[3:4]
	v_and_b32_sdwa v3, v2, s97 dst_sel:DWORD dst_unused:UNUSED_PAD src0_sel:BYTE_3 src1_sel:DWORD
                                        ; implicit-def: $vgpr4
                                        ; kill: killed $vgpr4
	s_and_saveexec_b64 s[26:27], vcc
	s_xor_b64 s[30:31], exec, s[26:27]
	s_cbranch_execz .LBB6_249
; %bb.240:                              ;   in Loop: Header=BB6_138 Depth=3
	v_mov_b32_e32 v4, 0
	v_cmp_ne_u32_e32 vcc, 0, v2
	buffer_store_dword v4, off, s[0:3], s33 offset:108 ; 4-byte Folded Spill
	s_and_saveexec_b64 s[34:35], vcc
	s_cbranch_execz .LBB6_248
; %bb.241:                              ;   in Loop: Header=BB6_138 Depth=3
	v_bfe_u32 v5, v2, 23, 8
	v_cmp_gt_u32_e64 s[26:27], s47, v5
	v_sub_u32_e32 v2, 0x71, v5
	v_cmp_eq_u32_e32 vcc, 0, v5
	v_cndmask_b32_e64 v2, 0, v2, s[26:27]
	v_mov_b32_e32 v6, 0x70
	v_cndmask_b32_e32 v6, v2, v6, vcc
	v_add_u32_e32 v2, 21, v6
	v_or_b32_e32 v4, 0x800000, v0
	v_lshlrev_b64 v[15:16], v2, -1
	v_cndmask_b32_e32 v0, v4, v0, vcc
	v_add_u32_e32 v2, 20, v6
	v_bfi_b32 v15, v15, 0, v0
	v_lshlrev_b64 v[17:18], v2, 1
	v_lshrrev_b64 v[0:1], v6, v[0:1]
	v_bfi_b32 v16, v16, 0, 0
	v_cmp_eq_u64_e64 s[26:27], v[15:16], v[17:18]
	v_mov_b32_e32 v2, v1
	v_mov_b32_e32 v1, v0
	s_and_saveexec_b64 s[36:37], s[26:27]
; %bb.242:                              ;   in Loop: Header=BB6_138 Depth=3
	v_bfe_u32 v1, v0, 21, 1
	v_add_co_u32_e64 v1, s[26:27], v0, v1
	v_add_co_u32_e64 v1, s[26:27], -1, v1
; %bb.243:                              ;   in Loop: Header=BB6_138 Depth=3
	s_or_b64 exec, exec, s[36:37]
	v_add_u32_e32 v2, 0xffffff81, v5
	v_mov_b32_e32 v4, 0xffffff82
	v_cndmask_b32_e32 v2, v2, v4, vcc
	v_lshrrev_b32_e32 v4, 23, v0
	v_add3_u32 v6, v6, v2, v4
	v_add_u32_e32 v5, 14, v6
	v_and_b32_e32 v1, 0x1fffff, v1
	v_add_u32_e32 v0, v1, v0
	v_mov_b32_e32 v1, v33
	v_cmp_ne_u32_e32 vcc, 0, v5
                                        ; implicit-def: $vgpr2
	s_and_saveexec_b64 s[26:27], vcc
	s_xor_b64 s[26:27], exec, s[26:27]
; %bb.244:                              ;   in Loop: Header=BB6_138 Depth=3
	v_cmp_lt_u64_e32 vcc, s[88:89], v[0:1]
	v_add_u32_e32 v2, 15, v6
	v_cndmask_b32_e64 v4, 0, 1, vcc
	v_cndmask_b32_e32 v2, v5, v2, vcc
	v_lshrrev_b64 v[0:1], v4, v[0:1]
; %bb.245:                              ;   in Loop: Header=BB6_138 Depth=3
	s_andn2_saveexec_b64 s[26:27], s[26:27]
; %bb.246:                              ;   in Loop: Header=BB6_138 Depth=3
	v_bfe_u32 v2, v0, 23, 1
; %bb.247:                              ;   in Loop: Header=BB6_138 Depth=3
	s_or_b64 exec, exec, s[26:27]
	v_lshrrev_b64 v[0:1], 21, v[0:1]
	v_cmp_gt_i32_e32 vcc, 32, v2
	v_cndmask_b32_e32 v1, 0, v1, vcc
	v_cndmask_b32_e32 v0, 3, v0, vcc
	v_cmp_eq_u64_e64 s[26:27], 0, v[0:1]
	v_min_i32_e32 v1, 31, v2
	v_lshlrev_b32_e32 v1, 2, v1
	v_cmp_eq_u32_e32 vcc, 0, v2
	v_and_b32_e32 v1, 0xfc, v1
	v_and_or_b32 v0, v0, 3, v1
	s_and_b64 s[26:27], vcc, s[26:27]
	v_cndmask_b32_e64 v0, v0, 0, s[26:27]
	v_or_b32_e32 v0, v0, v3
	buffer_store_dword v0, off, s[0:3], s33 offset:108 ; 4-byte Folded Spill
.LBB6_248:                              ;   in Loop: Header=BB6_138 Depth=3
	s_or_b64 exec, exec, s[34:35]
                                        ; implicit-def: $vgpr3
.LBB6_249:                              ;   in Loop: Header=BB6_138 Depth=3
	s_andn2_saveexec_b64 s[26:27], s[30:31]
	s_cbranch_execz .LBB6_251
; %bb.250:                              ;   in Loop: Header=BB6_138 Depth=3
	v_or_b32_e32 v0, 0x7b, v3
	buffer_store_dword v0, off, s[0:3], s33 offset:108 ; 4-byte Folded Spill
.LBB6_251:                              ;   in Loop: Header=BB6_138 Depth=3
	s_or_b64 exec, exec, s[26:27]
                                        ; implicit-def: $vgpr2
                                        ; implicit-def: $vgpr0_vgpr1
.LBB6_252:                              ;   in Loop: Header=BB6_138 Depth=3
	s_andn2_saveexec_b64 s[26:27], s[94:95]
	s_cbranch_execz .LBB6_258
; %bb.253:                              ;   in Loop: Header=BB6_138 Depth=3
	v_cmp_ne_u64_e32 vcc, 0, v[0:1]
                                        ; implicit-def: $vgpr0
                                        ; kill: killed $vgpr0
	s_and_saveexec_b64 s[62:63], vcc
	s_xor_b64 s[94:95], exec, s[62:63]
	s_cbranch_execz .LBB6_255
; %bb.254:                              ;   in Loop: Header=BB6_138 Depth=3
	v_or_b32_sdwa v0, v2, s44 dst_sel:DWORD dst_unused:UNUSED_PAD src0_sel:BYTE_3 src1_sel:DWORD
	buffer_store_dword v0, off, s[0:3], s33 offset:108 ; 4-byte Folded Spill
                                        ; implicit-def: $vgpr2
.LBB6_255:                              ;   in Loop: Header=BB6_138 Depth=3
	s_andn2_saveexec_b64 s[94:95], s[94:95]
	s_cbranch_execz .LBB6_257
; %bb.256:                              ;   in Loop: Header=BB6_138 Depth=3
	v_cmp_lt_i32_e32 vcc, -1, v2
	v_bfrev_b32_e32 v0, 0.5
	v_mov_b32_e32 v1, 0x7c
	v_cndmask_b32_e32 v0, v0, v1, vcc
	buffer_store_dword v0, off, s[0:3], s33 offset:108 ; 4-byte Folded Spill
.LBB6_257:                              ;   in Loop: Header=BB6_138 Depth=3
	s_or_b64 exec, exec, s[94:95]
.LBB6_258:                              ;   in Loop: Header=BB6_138 Depth=3
	s_or_b64 exec, exec, s[26:27]
	v_mov_b32_e32 v0, v9
	v_mov_b32_e32 v1, v33
	v_cmp_ne_u16_sdwa s[62:63], v9, v33 src0_sel:BYTE_0 src1_sel:DWORD
	v_mov_b32_e32 v2, 0
	s_and_saveexec_b64 s[26:27], s[62:63]
	s_cbranch_execz .LBB6_266
; %bb.259:                              ;   in Loop: Header=BB6_138 Depth=3
	v_cmp_ne_u16_sdwa s[62:63], v9, s97 src0_sel:BYTE_0 src1_sel:DWORD
	v_bfrev_b32_e32 v2, 1
	s_and_saveexec_b64 s[94:95], s[62:63]
	s_cbranch_execz .LBB6_265
; %bb.260:                              ;   in Loop: Header=BB6_138 Depth=3
	v_and_b32_e32 v2, 0x7c, v9
	v_and_b32_e32 v3, 3, v9
	v_cmp_ne_u32_e32 vcc, s86, v2
                                        ; implicit-def: $vgpr2
	s_and_saveexec_b64 s[62:63], vcc
	s_xor_b64 s[30:31], exec, s[62:63]
	s_cbranch_execz .LBB6_262
; %bb.261:                              ;   in Loop: Header=BB6_138 Depth=3
	v_ffbh_u32_e32 v2, v3
	v_min_u32_e32 v5, 32, v2
	v_subrev_u32_e32 v2, 29, v5
	v_lshlrev_b64 v[1:2], v2, v[0:1]
	v_bfe_u32 v4, v9, 2, 5
	v_and_b32_e32 v1, 3, v1
	v_cmp_eq_u32_e32 vcc, 0, v4
	v_sub_u32_e32 v2, 30, v5
	v_cndmask_b32_e32 v1, v3, v1, vcc
	v_lshlrev_b32_e32 v3, 24, v9
	v_cndmask_b32_e32 v2, v4, v2, vcc
	v_and_b32_e32 v3, 0x80000000, v3
	v_lshl_add_u32 v2, v2, 23, v3
	v_lshl_or_b32 v1, v1, 21, v2
	v_add_u32_e32 v2, 0x38000000, v1
                                        ; implicit-def: $vgpr3
.LBB6_262:                              ;   in Loop: Header=BB6_138 Depth=3
	s_andn2_saveexec_b64 s[30:31], s[30:31]
; %bb.263:                              ;   in Loop: Header=BB6_138 Depth=3
	v_mov_b32_e32 v1, -1
	v_cmp_gt_i16_sdwa vcc, sext(v9), v1 src0_sel:BYTE_0 src1_sel:DWORD
	v_mov_b32_e32 v1, 0xff800000
	v_mov_b32_e32 v2, 0x7f800000
	v_cndmask_b32_e32 v1, v1, v2, vcc
	v_cmp_eq_u32_e32 vcc, 0, v3
	v_mov_b32_e32 v2, 0x7f800001
	v_cndmask_b32_e32 v2, v2, v1, vcc
; %bb.264:                              ;   in Loop: Header=BB6_138 Depth=3
	s_or_b64 exec, exec, s[30:31]
.LBB6_265:                              ;   in Loop: Header=BB6_138 Depth=3
	s_or_b64 exec, exec, s[94:95]
.LBB6_266:                              ;   in Loop: Header=BB6_138 Depth=3
	s_or_b64 exec, exec, s[26:27]
	v_mul_f32_e32 v3, v14, v2
	v_and_b32_e32 v4, 0x7f800000, v3
	v_mov_b32_e32 v5, v33
	v_cmp_ne_u64_e32 vcc, s[76:77], v[4:5]
	v_and_b32_e32 v1, 0x7fffff, v3
	v_mov_b32_e32 v2, v33
                                        ; implicit-def: $vgpr4
                                        ; kill: killed $vgpr4
	s_and_saveexec_b64 s[26:27], vcc
	s_xor_b64 s[94:95], exec, s[26:27]
	s_cbranch_execz .LBB6_280
; %bb.267:                              ;   in Loop: Header=BB6_138 Depth=3
	v_and_b32_e32 v4, 0x7fffffff, v3
	v_mov_b32_e32 v5, v33
	v_cmp_gt_u64_e32 vcc, s[78:79], v[4:5]
	v_and_b32_sdwa v5, v3, s97 dst_sel:DWORD dst_unused:UNUSED_PAD src0_sel:BYTE_3 src1_sel:DWORD
                                        ; implicit-def: $vgpr4
                                        ; kill: killed $vgpr4
	s_and_saveexec_b64 s[26:27], vcc
	s_xor_b64 s[30:31], exec, s[26:27]
	s_cbranch_execz .LBB6_277
; %bb.268:                              ;   in Loop: Header=BB6_138 Depth=3
	v_mov_b32_e32 v4, 0
	v_cmp_ne_u32_e32 vcc, 0, v3
	buffer_store_dword v4, off, s[0:3], s33 offset:116 ; 4-byte Folded Spill
	s_and_saveexec_b64 s[34:35], vcc
	s_cbranch_execz .LBB6_276
; %bb.269:                              ;   in Loop: Header=BB6_138 Depth=3
	v_bfe_u32 v6, v3, 23, 8
	v_cmp_gt_u32_e64 s[26:27], s47, v6
	v_sub_u32_e32 v3, 0x71, v6
	v_cmp_eq_u32_e32 vcc, 0, v6
	v_cndmask_b32_e64 v3, 0, v3, s[26:27]
	v_mov_b32_e32 v7, 0x70
	v_cndmask_b32_e32 v7, v3, v7, vcc
	v_or_b32_e32 v4, 0x800000, v1
	v_add_u32_e32 v3, 21, v7
	v_cndmask_b32_e32 v1, v4, v1, vcc
	v_lshlrev_b64 v[3:4], v3, -1
	v_add_u32_e32 v15, 20, v7
	v_bfi_b32 v3, v3, 0, v1
	v_lshlrev_b64 v[15:16], v15, 1
	v_lshrrev_b64 v[1:2], v7, v[1:2]
	v_bfi_b32 v4, v4, 0, 0
	v_cmp_eq_u64_e64 s[26:27], v[3:4], v[15:16]
	v_mov_b32_e32 v3, v2
	v_mov_b32_e32 v2, v1
	s_and_saveexec_b64 s[36:37], s[26:27]
; %bb.270:                              ;   in Loop: Header=BB6_138 Depth=3
	v_bfe_u32 v2, v1, 21, 1
	v_add_co_u32_e64 v2, s[26:27], v1, v2
	v_add_co_u32_e64 v2, s[26:27], -1, v2
; %bb.271:                              ;   in Loop: Header=BB6_138 Depth=3
	s_or_b64 exec, exec, s[36:37]
	v_add_u32_e32 v3, 0xffffff81, v6
	v_mov_b32_e32 v4, 0xffffff82
	v_cndmask_b32_e32 v3, v3, v4, vcc
	v_lshrrev_b32_e32 v4, 23, v1
	v_add3_u32 v7, v7, v3, v4
	v_add_u32_e32 v6, 14, v7
	v_and_b32_e32 v2, 0x1fffff, v2
	v_add_u32_e32 v1, v2, v1
	v_mov_b32_e32 v2, v33
	v_cmp_ne_u32_e32 vcc, 0, v6
                                        ; implicit-def: $vgpr3
	s_and_saveexec_b64 s[26:27], vcc
	s_xor_b64 s[26:27], exec, s[26:27]
; %bb.272:                              ;   in Loop: Header=BB6_138 Depth=3
	v_cmp_lt_u64_e32 vcc, s[88:89], v[1:2]
	v_add_u32_e32 v3, 15, v7
	v_cndmask_b32_e64 v4, 0, 1, vcc
	v_cndmask_b32_e32 v3, v6, v3, vcc
	v_lshrrev_b64 v[1:2], v4, v[1:2]
; %bb.273:                              ;   in Loop: Header=BB6_138 Depth=3
	s_andn2_saveexec_b64 s[26:27], s[26:27]
; %bb.274:                              ;   in Loop: Header=BB6_138 Depth=3
	v_bfe_u32 v3, v1, 23, 1
; %bb.275:                              ;   in Loop: Header=BB6_138 Depth=3
	s_or_b64 exec, exec, s[26:27]
	v_lshrrev_b64 v[1:2], 21, v[1:2]
	v_cmp_gt_i32_e32 vcc, 32, v3
	v_cndmask_b32_e32 v2, 0, v2, vcc
	v_cndmask_b32_e32 v1, 3, v1, vcc
	v_cmp_eq_u64_e64 s[26:27], 0, v[1:2]
	v_min_i32_e32 v2, 31, v3
	v_lshlrev_b32_e32 v2, 2, v2
	v_cmp_eq_u32_e32 vcc, 0, v3
	v_and_b32_e32 v2, 0xfc, v2
	v_and_or_b32 v1, v1, 3, v2
	s_and_b64 s[26:27], vcc, s[26:27]
	v_cndmask_b32_e64 v1, v1, 0, s[26:27]
	v_or_b32_e32 v1, v1, v5
	buffer_store_dword v1, off, s[0:3], s33 offset:116 ; 4-byte Folded Spill
.LBB6_276:                              ;   in Loop: Header=BB6_138 Depth=3
	s_or_b64 exec, exec, s[34:35]
                                        ; implicit-def: $vgpr5
.LBB6_277:                              ;   in Loop: Header=BB6_138 Depth=3
	s_andn2_saveexec_b64 s[26:27], s[30:31]
	s_cbranch_execz .LBB6_279
; %bb.278:                              ;   in Loop: Header=BB6_138 Depth=3
	v_or_b32_e32 v1, 0x7b, v5
	buffer_store_dword v1, off, s[0:3], s33 offset:116 ; 4-byte Folded Spill
.LBB6_279:                              ;   in Loop: Header=BB6_138 Depth=3
	s_or_b64 exec, exec, s[26:27]
                                        ; implicit-def: $vgpr3
                                        ; implicit-def: $vgpr1_vgpr2
.LBB6_280:                              ;   in Loop: Header=BB6_138 Depth=3
	s_andn2_saveexec_b64 s[26:27], s[94:95]
	s_cbranch_execz .LBB6_286
; %bb.281:                              ;   in Loop: Header=BB6_138 Depth=3
	v_cmp_ne_u64_e32 vcc, 0, v[1:2]
                                        ; implicit-def: $vgpr1
                                        ; kill: killed $vgpr1
	s_and_saveexec_b64 s[62:63], vcc
	s_xor_b64 s[94:95], exec, s[62:63]
	s_cbranch_execz .LBB6_283
; %bb.282:                              ;   in Loop: Header=BB6_138 Depth=3
	v_or_b32_sdwa v1, v3, s44 dst_sel:DWORD dst_unused:UNUSED_PAD src0_sel:BYTE_3 src1_sel:DWORD
	buffer_store_dword v1, off, s[0:3], s33 offset:116 ; 4-byte Folded Spill
                                        ; implicit-def: $vgpr3
.LBB6_283:                              ;   in Loop: Header=BB6_138 Depth=3
	s_andn2_saveexec_b64 s[94:95], s[94:95]
	s_cbranch_execz .LBB6_285
; %bb.284:                              ;   in Loop: Header=BB6_138 Depth=3
	v_cmp_lt_i32_e32 vcc, -1, v3
	v_bfrev_b32_e32 v1, 0.5
	v_mov_b32_e32 v2, 0x7c
	v_cndmask_b32_e32 v1, v1, v2, vcc
	buffer_store_dword v1, off, s[0:3], s33 offset:116 ; 4-byte Folded Spill
.LBB6_285:                              ;   in Loop: Header=BB6_138 Depth=3
	s_or_b64 exec, exec, s[94:95]
.LBB6_286:                              ;   in Loop: Header=BB6_138 Depth=3
	s_or_b64 exec, exec, s[26:27]
	v_lshrrev_b16_e32 v1, 8, v0
	v_cmp_ne_u16_e32 vcc, 0, v1
	v_mov_b32_e32 v2, 0
	s_and_saveexec_b64 s[26:27], vcc
	s_cbranch_execz .LBB6_294
; %bb.287:                              ;   in Loop: Header=BB6_138 Depth=3
	v_cmp_ne_u16_e32 vcc, s97, v1
	v_bfrev_b32_e32 v2, 1
	s_and_saveexec_b64 s[94:95], vcc
	s_cbranch_execz .LBB6_293
; %bb.288:                              ;   in Loop: Header=BB6_138 Depth=3
	v_and_b32_e32 v2, 0x7c, v1
	v_and_b32_e32 v3, 3, v1
	v_cmp_ne_u32_e32 vcc, s86, v2
                                        ; implicit-def: $vgpr2
	s_and_saveexec_b64 s[62:63], vcc
	s_xor_b64 s[30:31], exec, s[62:63]
	s_cbranch_execz .LBB6_290
; %bb.289:                              ;   in Loop: Header=BB6_138 Depth=3
	v_ffbh_u32_e32 v5, v3
	v_min_u32_e32 v5, 32, v5
	v_mov_b32_e32 v2, v33
	v_subrev_u32_e32 v6, 29, v5
	v_bfe_u32 v4, v1, 2, 5
	v_lshlrev_b64 v[1:2], v6, v[1:2]
	v_sub_u32_e32 v2, 30, v5
	v_cmp_eq_u32_e32 vcc, 0, v4
	v_lshlrev_b32_e32 v0, 16, v0
	v_and_b32_e32 v1, 3, v1
	v_cndmask_b32_e32 v2, v4, v2, vcc
	v_and_b32_e32 v0, 0x80000000, v0
	v_cndmask_b32_e32 v1, v3, v1, vcc
	v_lshl_add_u32 v0, v2, 23, v0
	v_lshl_or_b32 v0, v1, 21, v0
	v_add_u32_e32 v2, 0x38000000, v0
                                        ; implicit-def: $vgpr3
                                        ; implicit-def: $vgpr0_vgpr1
.LBB6_290:                              ;   in Loop: Header=BB6_138 Depth=3
	s_andn2_saveexec_b64 s[30:31], s[30:31]
; %bb.291:                              ;   in Loop: Header=BB6_138 Depth=3
	v_cmp_lt_i16_e32 vcc, -1, v0
	v_mov_b32_e32 v0, 0xff800000
	v_mov_b32_e32 v1, 0x7f800000
	v_cndmask_b32_e32 v0, v0, v1, vcc
	v_cmp_eq_u32_e32 vcc, 0, v3
	v_mov_b32_e32 v1, 0x7f800001
	v_cndmask_b32_e32 v2, v1, v0, vcc
; %bb.292:                              ;   in Loop: Header=BB6_138 Depth=3
	s_or_b64 exec, exec, s[30:31]
.LBB6_293:                              ;   in Loop: Header=BB6_138 Depth=3
	s_or_b64 exec, exec, s[94:95]
.LBB6_294:                              ;   in Loop: Header=BB6_138 Depth=3
	s_or_b64 exec, exec, s[26:27]
	v_mul_f32_e32 v2, v14, v2
	v_and_b32_e32 v3, 0x7f800000, v2
	v_mov_b32_e32 v4, v33
	v_cmp_ne_u64_e32 vcc, s[76:77], v[3:4]
	v_and_b32_e32 v0, 0x7fffff, v2
	v_mov_b32_e32 v1, v33
                                        ; implicit-def: $vgpr3
                                        ; kill: killed $vgpr3
	s_and_saveexec_b64 s[26:27], vcc
	s_xor_b64 s[94:95], exec, s[26:27]
	s_cbranch_execz .LBB6_308
; %bb.295:                              ;   in Loop: Header=BB6_138 Depth=3
	v_and_b32_e32 v3, 0x7fffffff, v2
	v_mov_b32_e32 v4, v33
	v_cmp_gt_u64_e32 vcc, s[78:79], v[3:4]
	v_and_b32_sdwa v3, v2, s97 dst_sel:DWORD dst_unused:UNUSED_PAD src0_sel:BYTE_3 src1_sel:DWORD
                                        ; implicit-def: $vgpr4
                                        ; kill: killed $vgpr4
	s_and_saveexec_b64 s[26:27], vcc
	s_xor_b64 s[30:31], exec, s[26:27]
	s_cbranch_execz .LBB6_305
; %bb.296:                              ;   in Loop: Header=BB6_138 Depth=3
	v_mov_b32_e32 v4, 0
	v_cmp_ne_u32_e32 vcc, 0, v2
	buffer_store_dword v4, off, s[0:3], s33 offset:124 ; 4-byte Folded Spill
	s_and_saveexec_b64 s[34:35], vcc
	s_cbranch_execz .LBB6_304
; %bb.297:                              ;   in Loop: Header=BB6_138 Depth=3
	v_bfe_u32 v5, v2, 23, 8
	v_cmp_gt_u32_e64 s[26:27], s47, v5
	v_sub_u32_e32 v2, 0x71, v5
	v_cmp_eq_u32_e32 vcc, 0, v5
	v_cndmask_b32_e64 v2, 0, v2, s[26:27]
	v_mov_b32_e32 v6, 0x70
	v_cndmask_b32_e32 v6, v2, v6, vcc
	v_add_u32_e32 v2, 21, v6
	v_or_b32_e32 v4, 0x800000, v0
	v_lshlrev_b64 v[15:16], v2, -1
	v_cndmask_b32_e32 v0, v4, v0, vcc
	v_add_u32_e32 v2, 20, v6
	v_bfi_b32 v15, v15, 0, v0
	v_lshlrev_b64 v[17:18], v2, 1
	v_lshrrev_b64 v[0:1], v6, v[0:1]
	v_bfi_b32 v16, v16, 0, 0
	v_cmp_eq_u64_e64 s[26:27], v[15:16], v[17:18]
	v_mov_b32_e32 v2, v1
	v_mov_b32_e32 v1, v0
	s_and_saveexec_b64 s[36:37], s[26:27]
; %bb.298:                              ;   in Loop: Header=BB6_138 Depth=3
	v_bfe_u32 v1, v0, 21, 1
	v_add_co_u32_e64 v1, s[26:27], v0, v1
	v_add_co_u32_e64 v1, s[26:27], -1, v1
; %bb.299:                              ;   in Loop: Header=BB6_138 Depth=3
	s_or_b64 exec, exec, s[36:37]
	v_add_u32_e32 v2, 0xffffff81, v5
	v_mov_b32_e32 v4, 0xffffff82
	v_cndmask_b32_e32 v2, v2, v4, vcc
	v_lshrrev_b32_e32 v4, 23, v0
	v_add3_u32 v6, v6, v2, v4
	v_add_u32_e32 v5, 14, v6
	v_and_b32_e32 v1, 0x1fffff, v1
	v_add_u32_e32 v0, v1, v0
	v_mov_b32_e32 v1, v33
	v_cmp_ne_u32_e32 vcc, 0, v5
                                        ; implicit-def: $vgpr2
	s_and_saveexec_b64 s[26:27], vcc
	s_xor_b64 s[26:27], exec, s[26:27]
; %bb.300:                              ;   in Loop: Header=BB6_138 Depth=3
	v_cmp_lt_u64_e32 vcc, s[88:89], v[0:1]
	v_add_u32_e32 v2, 15, v6
	v_cndmask_b32_e64 v4, 0, 1, vcc
	v_cndmask_b32_e32 v2, v5, v2, vcc
	v_lshrrev_b64 v[0:1], v4, v[0:1]
; %bb.301:                              ;   in Loop: Header=BB6_138 Depth=3
	s_andn2_saveexec_b64 s[26:27], s[26:27]
; %bb.302:                              ;   in Loop: Header=BB6_138 Depth=3
	v_bfe_u32 v2, v0, 23, 1
; %bb.303:                              ;   in Loop: Header=BB6_138 Depth=3
	s_or_b64 exec, exec, s[26:27]
	v_lshrrev_b64 v[0:1], 21, v[0:1]
	v_cmp_gt_i32_e32 vcc, 32, v2
	v_cndmask_b32_e32 v1, 0, v1, vcc
	v_cndmask_b32_e32 v0, 3, v0, vcc
	v_cmp_eq_u64_e64 s[26:27], 0, v[0:1]
	v_min_i32_e32 v1, 31, v2
	v_lshlrev_b32_e32 v1, 2, v1
	v_cmp_eq_u32_e32 vcc, 0, v2
	v_and_b32_e32 v1, 0xfc, v1
	v_and_or_b32 v0, v0, 3, v1
	s_and_b64 s[26:27], vcc, s[26:27]
	v_cndmask_b32_e64 v0, v0, 0, s[26:27]
	v_or_b32_e32 v0, v0, v3
	buffer_store_dword v0, off, s[0:3], s33 offset:124 ; 4-byte Folded Spill
.LBB6_304:                              ;   in Loop: Header=BB6_138 Depth=3
	s_or_b64 exec, exec, s[34:35]
                                        ; implicit-def: $vgpr3
.LBB6_305:                              ;   in Loop: Header=BB6_138 Depth=3
	s_andn2_saveexec_b64 s[26:27], s[30:31]
	s_cbranch_execz .LBB6_307
; %bb.306:                              ;   in Loop: Header=BB6_138 Depth=3
	v_or_b32_e32 v0, 0x7b, v3
	buffer_store_dword v0, off, s[0:3], s33 offset:124 ; 4-byte Folded Spill
.LBB6_307:                              ;   in Loop: Header=BB6_138 Depth=3
	s_or_b64 exec, exec, s[26:27]
                                        ; implicit-def: $vgpr2
                                        ; implicit-def: $vgpr0_vgpr1
.LBB6_308:                              ;   in Loop: Header=BB6_138 Depth=3
	s_andn2_saveexec_b64 s[26:27], s[94:95]
	s_cbranch_execz .LBB6_314
; %bb.309:                              ;   in Loop: Header=BB6_138 Depth=3
	v_cmp_ne_u64_e32 vcc, 0, v[0:1]
                                        ; implicit-def: $vgpr0
                                        ; kill: killed $vgpr0
	s_and_saveexec_b64 s[62:63], vcc
	s_xor_b64 s[94:95], exec, s[62:63]
	s_cbranch_execz .LBB6_311
; %bb.310:                              ;   in Loop: Header=BB6_138 Depth=3
	v_or_b32_sdwa v0, v2, s44 dst_sel:DWORD dst_unused:UNUSED_PAD src0_sel:BYTE_3 src1_sel:DWORD
	buffer_store_dword v0, off, s[0:3], s33 offset:124 ; 4-byte Folded Spill
                                        ; implicit-def: $vgpr2
.LBB6_311:                              ;   in Loop: Header=BB6_138 Depth=3
	s_andn2_saveexec_b64 s[94:95], s[94:95]
	s_cbranch_execz .LBB6_313
; %bb.312:                              ;   in Loop: Header=BB6_138 Depth=3
	v_cmp_lt_i32_e32 vcc, -1, v2
	v_bfrev_b32_e32 v0, 0.5
	v_mov_b32_e32 v1, 0x7c
	v_cndmask_b32_e32 v0, v0, v1, vcc
	buffer_store_dword v0, off, s[0:3], s33 offset:124 ; 4-byte Folded Spill
.LBB6_313:                              ;   in Loop: Header=BB6_138 Depth=3
	s_or_b64 exec, exec, s[94:95]
.LBB6_314:                              ;   in Loop: Header=BB6_138 Depth=3
	s_or_b64 exec, exec, s[26:27]
	v_lshrrev_b32_e32 v0, 16, v9
	v_cmp_ne_u16_sdwa s[62:63], v0, v33 src0_sel:BYTE_0 src1_sel:DWORD
	v_mov_b32_e32 v1, 0
	s_and_saveexec_b64 s[26:27], s[62:63]
	s_cbranch_execz .LBB6_322
; %bb.315:                              ;   in Loop: Header=BB6_138 Depth=3
	v_cmp_ne_u16_sdwa s[62:63], v0, s97 src0_sel:BYTE_0 src1_sel:DWORD
	v_bfrev_b32_e32 v1, 1
	s_and_saveexec_b64 s[94:95], s[62:63]
	s_cbranch_execz .LBB6_321
; %bb.316:                              ;   in Loop: Header=BB6_138 Depth=3
	v_and_b32_e32 v1, 0x7c0000, v9
	v_bfe_u32 v2, v9, 16, 2
	v_cmp_ne_u32_e32 vcc, s45, v1
                                        ; implicit-def: $vgpr1
	s_and_saveexec_b64 s[62:63], vcc
	s_xor_b64 s[30:31], exec, s[62:63]
	s_cbranch_execz .LBB6_318
; %bb.317:                              ;   in Loop: Header=BB6_138 Depth=3
	v_ffbh_u32_e32 v1, v2
	v_min_u32_e32 v4, 32, v1
	v_subrev_u32_e32 v1, 29, v4
	v_lshlrev_b64 v[0:1], v1, v[0:1]
	v_bfe_u32 v3, v9, 18, 5
	v_and_b32_e32 v0, 3, v0
	v_cmp_eq_u32_e32 vcc, 0, v3
	v_sub_u32_e32 v1, 30, v4
	v_cndmask_b32_e32 v0, v2, v0, vcc
	v_lshlrev_b32_e32 v2, 8, v9
	v_cndmask_b32_e32 v1, v3, v1, vcc
	v_and_b32_e32 v2, 0x80000000, v2
	v_lshl_add_u32 v1, v1, 23, v2
	v_lshl_or_b32 v0, v0, 21, v1
	v_add_u32_e32 v1, 0x38000000, v0
                                        ; implicit-def: $vgpr2
                                        ; implicit-def: $vgpr0
.LBB6_318:                              ;   in Loop: Header=BB6_138 Depth=3
	s_andn2_saveexec_b64 s[30:31], s[30:31]
; %bb.319:                              ;   in Loop: Header=BB6_138 Depth=3
	v_mov_b32_e32 v1, -1
	v_cmp_gt_i16_sdwa vcc, sext(v0), v1 src0_sel:BYTE_0 src1_sel:DWORD
	v_mov_b32_e32 v0, 0xff800000
	v_mov_b32_e32 v1, 0x7f800000
	v_cndmask_b32_e32 v0, v0, v1, vcc
	v_cmp_eq_u32_e32 vcc, 0, v2
	v_mov_b32_e32 v1, 0x7f800001
	v_cndmask_b32_e32 v1, v1, v0, vcc
; %bb.320:                              ;   in Loop: Header=BB6_138 Depth=3
	s_or_b64 exec, exec, s[30:31]
.LBB6_321:                              ;   in Loop: Header=BB6_138 Depth=3
	s_or_b64 exec, exec, s[94:95]
.LBB6_322:                              ;   in Loop: Header=BB6_138 Depth=3
	s_or_b64 exec, exec, s[26:27]
	v_mul_f32_e32 v2, v14, v1
	v_and_b32_e32 v3, 0x7f800000, v2
	v_mov_b32_e32 v4, v33
	v_cmp_ne_u64_e32 vcc, s[76:77], v[3:4]
	v_and_b32_e32 v0, 0x7fffff, v2
	v_mov_b32_e32 v1, v33
                                        ; implicit-def: $vgpr3
                                        ; kill: killed $vgpr3
	s_and_saveexec_b64 s[26:27], vcc
	s_xor_b64 s[94:95], exec, s[26:27]
	s_cbranch_execz .LBB6_336
; %bb.323:                              ;   in Loop: Header=BB6_138 Depth=3
	v_and_b32_e32 v3, 0x7fffffff, v2
	v_mov_b32_e32 v4, v33
	v_cmp_gt_u64_e32 vcc, s[78:79], v[3:4]
	v_and_b32_sdwa v3, v2, s97 dst_sel:DWORD dst_unused:UNUSED_PAD src0_sel:BYTE_3 src1_sel:DWORD
                                        ; implicit-def: $vgpr4
                                        ; kill: killed $vgpr4
	s_and_saveexec_b64 s[26:27], vcc
	s_xor_b64 s[30:31], exec, s[26:27]
	s_cbranch_execz .LBB6_333
; %bb.324:                              ;   in Loop: Header=BB6_138 Depth=3
	v_mov_b32_e32 v4, 0
	v_cmp_ne_u32_e32 vcc, 0, v2
	buffer_store_dword v4, off, s[0:3], s33 offset:132 ; 4-byte Folded Spill
	s_and_saveexec_b64 s[34:35], vcc
	s_cbranch_execz .LBB6_332
; %bb.325:                              ;   in Loop: Header=BB6_138 Depth=3
	v_bfe_u32 v5, v2, 23, 8
	v_cmp_gt_u32_e64 s[26:27], s47, v5
	v_sub_u32_e32 v2, 0x71, v5
	v_cmp_eq_u32_e32 vcc, 0, v5
	v_cndmask_b32_e64 v2, 0, v2, s[26:27]
	v_mov_b32_e32 v6, 0x70
	v_cndmask_b32_e32 v6, v2, v6, vcc
	v_add_u32_e32 v2, 21, v6
	v_or_b32_e32 v4, 0x800000, v0
	v_lshlrev_b64 v[15:16], v2, -1
	v_cndmask_b32_e32 v0, v4, v0, vcc
	v_add_u32_e32 v2, 20, v6
	v_bfi_b32 v15, v15, 0, v0
	v_lshlrev_b64 v[17:18], v2, 1
	v_lshrrev_b64 v[0:1], v6, v[0:1]
	v_bfi_b32 v16, v16, 0, 0
	v_cmp_eq_u64_e64 s[26:27], v[15:16], v[17:18]
	v_mov_b32_e32 v2, v1
	v_mov_b32_e32 v1, v0
	s_and_saveexec_b64 s[36:37], s[26:27]
; %bb.326:                              ;   in Loop: Header=BB6_138 Depth=3
	v_bfe_u32 v1, v0, 21, 1
	v_add_co_u32_e64 v1, s[26:27], v0, v1
	v_add_co_u32_e64 v1, s[26:27], -1, v1
; %bb.327:                              ;   in Loop: Header=BB6_138 Depth=3
	s_or_b64 exec, exec, s[36:37]
	v_add_u32_e32 v2, 0xffffff81, v5
	v_mov_b32_e32 v4, 0xffffff82
	v_cndmask_b32_e32 v2, v2, v4, vcc
	v_lshrrev_b32_e32 v4, 23, v0
	v_add3_u32 v6, v6, v2, v4
	v_add_u32_e32 v5, 14, v6
	v_and_b32_e32 v1, 0x1fffff, v1
	v_add_u32_e32 v0, v1, v0
	v_mov_b32_e32 v1, v33
	v_cmp_ne_u32_e32 vcc, 0, v5
                                        ; implicit-def: $vgpr2
	s_and_saveexec_b64 s[26:27], vcc
	s_xor_b64 s[26:27], exec, s[26:27]
; %bb.328:                              ;   in Loop: Header=BB6_138 Depth=3
	v_cmp_lt_u64_e32 vcc, s[88:89], v[0:1]
	v_add_u32_e32 v2, 15, v6
	v_cndmask_b32_e64 v4, 0, 1, vcc
	v_cndmask_b32_e32 v2, v5, v2, vcc
	v_lshrrev_b64 v[0:1], v4, v[0:1]
; %bb.329:                              ;   in Loop: Header=BB6_138 Depth=3
	s_andn2_saveexec_b64 s[26:27], s[26:27]
; %bb.330:                              ;   in Loop: Header=BB6_138 Depth=3
	v_bfe_u32 v2, v0, 23, 1
; %bb.331:                              ;   in Loop: Header=BB6_138 Depth=3
	s_or_b64 exec, exec, s[26:27]
	v_lshrrev_b64 v[0:1], 21, v[0:1]
	v_cmp_gt_i32_e32 vcc, 32, v2
	v_cndmask_b32_e32 v1, 0, v1, vcc
	v_cndmask_b32_e32 v0, 3, v0, vcc
	v_cmp_eq_u64_e64 s[26:27], 0, v[0:1]
	v_min_i32_e32 v1, 31, v2
	v_lshlrev_b32_e32 v1, 2, v1
	v_cmp_eq_u32_e32 vcc, 0, v2
	v_and_b32_e32 v1, 0xfc, v1
	v_and_or_b32 v0, v0, 3, v1
	s_and_b64 s[26:27], vcc, s[26:27]
	v_cndmask_b32_e64 v0, v0, 0, s[26:27]
	v_or_b32_e32 v0, v0, v3
	buffer_store_dword v0, off, s[0:3], s33 offset:132 ; 4-byte Folded Spill
.LBB6_332:                              ;   in Loop: Header=BB6_138 Depth=3
	s_or_b64 exec, exec, s[34:35]
                                        ; implicit-def: $vgpr3
.LBB6_333:                              ;   in Loop: Header=BB6_138 Depth=3
	s_andn2_saveexec_b64 s[26:27], s[30:31]
	s_cbranch_execz .LBB6_335
; %bb.334:                              ;   in Loop: Header=BB6_138 Depth=3
	v_or_b32_e32 v0, 0x7b, v3
	buffer_store_dword v0, off, s[0:3], s33 offset:132 ; 4-byte Folded Spill
.LBB6_335:                              ;   in Loop: Header=BB6_138 Depth=3
	s_or_b64 exec, exec, s[26:27]
                                        ; implicit-def: $vgpr2
                                        ; implicit-def: $vgpr0_vgpr1
.LBB6_336:                              ;   in Loop: Header=BB6_138 Depth=3
	s_andn2_saveexec_b64 s[26:27], s[94:95]
	s_cbranch_execz .LBB6_342
; %bb.337:                              ;   in Loop: Header=BB6_138 Depth=3
	v_cmp_ne_u64_e32 vcc, 0, v[0:1]
                                        ; implicit-def: $vgpr0
                                        ; kill: killed $vgpr0
	s_and_saveexec_b64 s[62:63], vcc
	s_xor_b64 s[94:95], exec, s[62:63]
	s_cbranch_execz .LBB6_339
; %bb.338:                              ;   in Loop: Header=BB6_138 Depth=3
	v_or_b32_sdwa v0, v2, s44 dst_sel:DWORD dst_unused:UNUSED_PAD src0_sel:BYTE_3 src1_sel:DWORD
	buffer_store_dword v0, off, s[0:3], s33 offset:132 ; 4-byte Folded Spill
                                        ; implicit-def: $vgpr2
.LBB6_339:                              ;   in Loop: Header=BB6_138 Depth=3
	s_andn2_saveexec_b64 s[94:95], s[94:95]
	s_cbranch_execz .LBB6_341
; %bb.340:                              ;   in Loop: Header=BB6_138 Depth=3
	v_cmp_lt_i32_e32 vcc, -1, v2
	v_bfrev_b32_e32 v0, 0.5
	v_mov_b32_e32 v1, 0x7c
	v_cndmask_b32_e32 v0, v0, v1, vcc
	buffer_store_dword v0, off, s[0:3], s33 offset:132 ; 4-byte Folded Spill
.LBB6_341:                              ;   in Loop: Header=BB6_138 Depth=3
	s_or_b64 exec, exec, s[94:95]
.LBB6_342:                              ;   in Loop: Header=BB6_138 Depth=3
	s_or_b64 exec, exec, s[26:27]
	v_cmp_lt_u64_e32 vcc, s[56:57], v[8:9]
	v_mov_b32_e32 v1, 0
	s_and_saveexec_b64 s[26:27], vcc
	s_cbranch_execz .LBB6_350
; %bb.343:                              ;   in Loop: Header=BB6_138 Depth=3
	v_lshrrev_b32_e32 v0, 24, v9
	v_cmp_ne_u32_e32 vcc, s97, v0
	v_bfrev_b32_e32 v1, 1
	s_and_saveexec_b64 s[94:95], vcc
	s_cbranch_execz .LBB6_349
; %bb.344:                              ;   in Loop: Header=BB6_138 Depth=3
	v_and_b32_e32 v1, 0x7c000000, v9
	v_bfe_u32 v2, v9, 24, 2
	v_cmp_ne_u32_e32 vcc, s68, v1
                                        ; implicit-def: $vgpr1
	s_and_saveexec_b64 s[62:63], vcc
	s_xor_b64 s[30:31], exec, s[62:63]
	s_cbranch_execz .LBB6_346
; %bb.345:                              ;   in Loop: Header=BB6_138 Depth=3
	v_ffbh_u32_e32 v1, v2
	v_min_u32_e32 v4, 32, v1
	v_subrev_u32_e32 v1, 29, v4
	v_lshlrev_b64 v[0:1], v1, v[0:1]
	v_bfe_u32 v3, v9, 26, 5
	v_sub_u32_e32 v1, 30, v4
	v_and_b32_e32 v0, 3, v0
	v_cmp_eq_u32_e32 vcc, 0, v3
	v_cndmask_b32_e32 v1, v3, v1, vcc
	v_cndmask_b32_e32 v0, v2, v0, vcc
	v_and_b32_e32 v2, 0x80000000, v9
	v_lshl_add_u32 v1, v1, 23, v2
	v_lshl_or_b32 v0, v0, 21, v1
	v_add_u32_e32 v1, 0x38000000, v0
                                        ; implicit-def: $vgpr2
.LBB6_346:                              ;   in Loop: Header=BB6_138 Depth=3
	s_andn2_saveexec_b64 s[30:31], s[30:31]
; %bb.347:                              ;   in Loop: Header=BB6_138 Depth=3
	v_cmp_lt_i64_e32 vcc, -1, v[8:9]
	v_mov_b32_e32 v0, 0xff800000
	v_mov_b32_e32 v1, 0x7f800000
	v_cndmask_b32_e32 v0, v0, v1, vcc
	v_cmp_eq_u32_e32 vcc, 0, v2
	v_mov_b32_e32 v1, 0x7f800001
	v_cndmask_b32_e32 v1, v1, v0, vcc
; %bb.348:                              ;   in Loop: Header=BB6_138 Depth=3
	s_or_b64 exec, exec, s[30:31]
.LBB6_349:                              ;   in Loop: Header=BB6_138 Depth=3
	s_or_b64 exec, exec, s[94:95]
.LBB6_350:                              ;   in Loop: Header=BB6_138 Depth=3
	s_or_b64 exec, exec, s[26:27]
	v_mul_f32_e32 v2, v14, v1
	v_and_b32_e32 v3, 0x7f800000, v2
	v_mov_b32_e32 v4, v33
	v_cmp_ne_u64_e32 vcc, s[76:77], v[3:4]
	v_and_b32_e32 v0, 0x7fffff, v2
	v_mov_b32_e32 v1, v33
                                        ; implicit-def: $vgpr3
                                        ; kill: killed $vgpr3
	s_and_saveexec_b64 s[26:27], vcc
	s_xor_b64 s[94:95], exec, s[26:27]
	s_cbranch_execz .LBB6_364
; %bb.351:                              ;   in Loop: Header=BB6_138 Depth=3
	v_and_b32_e32 v3, 0x7fffffff, v2
	v_mov_b32_e32 v4, v33
	v_cmp_gt_u64_e32 vcc, s[78:79], v[3:4]
	v_and_b32_sdwa v3, v2, s97 dst_sel:DWORD dst_unused:UNUSED_PAD src0_sel:BYTE_3 src1_sel:DWORD
                                        ; implicit-def: $vgpr4
                                        ; kill: killed $vgpr4
	s_and_saveexec_b64 s[26:27], vcc
	s_xor_b64 s[30:31], exec, s[26:27]
	s_cbranch_execz .LBB6_361
; %bb.352:                              ;   in Loop: Header=BB6_138 Depth=3
	v_mov_b32_e32 v4, 0
	v_cmp_ne_u32_e32 vcc, 0, v2
	buffer_store_dword v4, off, s[0:3], s33 offset:140 ; 4-byte Folded Spill
	s_and_saveexec_b64 s[34:35], vcc
	s_cbranch_execz .LBB6_360
; %bb.353:                              ;   in Loop: Header=BB6_138 Depth=3
	v_bfe_u32 v5, v2, 23, 8
	v_cmp_gt_u32_e64 s[26:27], s47, v5
	v_sub_u32_e32 v2, 0x71, v5
	v_cmp_eq_u32_e32 vcc, 0, v5
	v_cndmask_b32_e64 v2, 0, v2, s[26:27]
	v_mov_b32_e32 v6, 0x70
	v_cndmask_b32_e32 v6, v2, v6, vcc
	v_add_u32_e32 v2, 21, v6
	v_or_b32_e32 v4, 0x800000, v0
	v_lshlrev_b64 v[7:8], v2, -1
	v_cndmask_b32_e32 v0, v4, v0, vcc
	v_add_u32_e32 v2, 20, v6
	v_bfi_b32 v7, v7, 0, v0
	v_lshlrev_b64 v[15:16], v2, 1
	v_lshrrev_b64 v[0:1], v6, v[0:1]
	v_bfi_b32 v8, v8, 0, 0
	v_cmp_eq_u64_e64 s[26:27], v[7:8], v[15:16]
	v_mov_b32_e32 v2, v1
	v_mov_b32_e32 v1, v0
	s_and_saveexec_b64 s[36:37], s[26:27]
; %bb.354:                              ;   in Loop: Header=BB6_138 Depth=3
	v_bfe_u32 v1, v0, 21, 1
	v_add_co_u32_e64 v1, s[26:27], v0, v1
	v_add_co_u32_e64 v1, s[26:27], -1, v1
; %bb.355:                              ;   in Loop: Header=BB6_138 Depth=3
	s_or_b64 exec, exec, s[36:37]
	v_add_u32_e32 v2, 0xffffff81, v5
	v_mov_b32_e32 v4, 0xffffff82
	v_cndmask_b32_e32 v2, v2, v4, vcc
	v_lshrrev_b32_e32 v4, 23, v0
	v_add3_u32 v6, v6, v2, v4
	v_add_u32_e32 v5, 14, v6
	v_and_b32_e32 v1, 0x1fffff, v1
	v_add_u32_e32 v0, v1, v0
	v_mov_b32_e32 v1, v33
	v_cmp_ne_u32_e32 vcc, 0, v5
                                        ; implicit-def: $vgpr2
	s_and_saveexec_b64 s[26:27], vcc
	s_xor_b64 s[26:27], exec, s[26:27]
; %bb.356:                              ;   in Loop: Header=BB6_138 Depth=3
	v_cmp_lt_u64_e32 vcc, s[88:89], v[0:1]
	v_add_u32_e32 v2, 15, v6
	v_cndmask_b32_e64 v4, 0, 1, vcc
	v_cndmask_b32_e32 v2, v5, v2, vcc
	v_lshrrev_b64 v[0:1], v4, v[0:1]
; %bb.357:                              ;   in Loop: Header=BB6_138 Depth=3
	s_andn2_saveexec_b64 s[26:27], s[26:27]
; %bb.358:                              ;   in Loop: Header=BB6_138 Depth=3
	v_bfe_u32 v2, v0, 23, 1
; %bb.359:                              ;   in Loop: Header=BB6_138 Depth=3
	s_or_b64 exec, exec, s[26:27]
	v_lshrrev_b64 v[0:1], 21, v[0:1]
	v_cmp_gt_i32_e32 vcc, 32, v2
	v_cndmask_b32_e32 v1, 0, v1, vcc
	v_cndmask_b32_e32 v0, 3, v0, vcc
	v_cmp_eq_u64_e64 s[26:27], 0, v[0:1]
	v_min_i32_e32 v1, 31, v2
	v_lshlrev_b32_e32 v1, 2, v1
	v_cmp_eq_u32_e32 vcc, 0, v2
	v_and_b32_e32 v1, 0xfc, v1
	v_and_or_b32 v0, v0, 3, v1
	s_and_b64 s[26:27], vcc, s[26:27]
	v_cndmask_b32_e64 v0, v0, 0, s[26:27]
	v_or_b32_e32 v0, v0, v3
	buffer_store_dword v0, off, s[0:3], s33 offset:140 ; 4-byte Folded Spill
.LBB6_360:                              ;   in Loop: Header=BB6_138 Depth=3
	s_or_b64 exec, exec, s[34:35]
                                        ; implicit-def: $vgpr3
.LBB6_361:                              ;   in Loop: Header=BB6_138 Depth=3
	s_andn2_saveexec_b64 s[26:27], s[30:31]
	s_cbranch_execz .LBB6_363
; %bb.362:                              ;   in Loop: Header=BB6_138 Depth=3
	v_or_b32_e32 v0, 0x7b, v3
	buffer_store_dword v0, off, s[0:3], s33 offset:140 ; 4-byte Folded Spill
.LBB6_363:                              ;   in Loop: Header=BB6_138 Depth=3
	s_or_b64 exec, exec, s[26:27]
                                        ; implicit-def: $vgpr2
                                        ; implicit-def: $vgpr0_vgpr1
.LBB6_364:                              ;   in Loop: Header=BB6_138 Depth=3
	s_andn2_saveexec_b64 s[26:27], s[94:95]
	s_cbranch_execz .LBB6_370
; %bb.365:                              ;   in Loop: Header=BB6_138 Depth=3
	v_cmp_ne_u64_e32 vcc, 0, v[0:1]
                                        ; implicit-def: $vgpr0
                                        ; kill: killed $vgpr0
	s_and_saveexec_b64 s[62:63], vcc
	s_xor_b64 s[94:95], exec, s[62:63]
	s_cbranch_execz .LBB6_367
; %bb.366:                              ;   in Loop: Header=BB6_138 Depth=3
	v_or_b32_sdwa v0, v2, s44 dst_sel:DWORD dst_unused:UNUSED_PAD src0_sel:BYTE_3 src1_sel:DWORD
	buffer_store_dword v0, off, s[0:3], s33 offset:140 ; 4-byte Folded Spill
                                        ; implicit-def: $vgpr2
.LBB6_367:                              ;   in Loop: Header=BB6_138 Depth=3
	s_andn2_saveexec_b64 s[94:95], s[94:95]
	s_cbranch_execz .LBB6_369
; %bb.368:                              ;   in Loop: Header=BB6_138 Depth=3
	v_cmp_lt_i32_e32 vcc, -1, v2
	v_bfrev_b32_e32 v0, 0.5
	v_mov_b32_e32 v1, 0x7c
	v_cndmask_b32_e32 v0, v0, v1, vcc
	buffer_store_dword v0, off, s[0:3], s33 offset:140 ; 4-byte Folded Spill
.LBB6_369:                              ;   in Loop: Header=BB6_138 Depth=3
	s_or_b64 exec, exec, s[94:95]
.LBB6_370:                              ;   in Loop: Header=BB6_138 Depth=3
	s_or_b64 exec, exec, s[26:27]
	v_cmp_ne_u16_sdwa s[62:63], v10, v33 src0_sel:BYTE_0 src1_sel:DWORD
	v_mov_b32_e32 v0, 0
	s_and_saveexec_b64 s[26:27], s[62:63]
	s_cbranch_execz .LBB6_378
; %bb.371:                              ;   in Loop: Header=BB6_138 Depth=3
	v_cmp_ne_u16_sdwa s[62:63], sext(v10), s46 src0_sel:BYTE_0 src1_sel:DWORD
	v_bfrev_b32_e32 v0, 1
	s_and_saveexec_b64 s[94:95], s[62:63]
	s_cbranch_execz .LBB6_377
; %bb.372:                              ;   in Loop: Header=BB6_138 Depth=3
	v_and_b32_e32 v0, 0x7c, v10
	v_and_b32_e32 v1, 3, v10
	v_cmp_ne_u32_e32 vcc, s86, v0
                                        ; implicit-def: $vgpr0
	s_and_saveexec_b64 s[62:63], vcc
	s_xor_b64 s[30:31], exec, s[62:63]
	s_cbranch_execz .LBB6_374
; %bb.373:                              ;   in Loop: Header=BB6_138 Depth=3
	v_ffbh_u32_e32 v2, v1
	v_min_u32_e32 v4, 32, v2
	v_subrev_u32_e32 v2, 29, v4
	v_lshlrev_b64 v[2:3], v2, v[10:11]
	v_bfe_u32 v0, v10, 2, 5
	v_and_b32_e32 v2, 3, v2
	v_cmp_eq_u32_e32 vcc, 0, v0
	v_sub_u32_e32 v3, 30, v4
	v_cndmask_b32_e32 v1, v1, v2, vcc
	v_lshlrev_b32_e32 v2, 24, v10
	v_cndmask_b32_e32 v0, v0, v3, vcc
	v_and_b32_e32 v2, 0x80000000, v2
	v_lshl_add_u32 v0, v0, 23, v2
	v_lshl_or_b32 v0, v1, 21, v0
	v_add_u32_e32 v0, 0x38000000, v0
                                        ; implicit-def: $vgpr1
.LBB6_374:                              ;   in Loop: Header=BB6_138 Depth=3
	s_andn2_saveexec_b64 s[30:31], s[30:31]
; %bb.375:                              ;   in Loop: Header=BB6_138 Depth=3
	v_mov_b32_e32 v0, -1
	v_cmp_gt_i16_sdwa vcc, sext(v10), v0 src0_sel:BYTE_0 src1_sel:DWORD
	v_mov_b32_e32 v0, 0xff800000
	v_mov_b32_e32 v2, 0x7f800000
	v_cndmask_b32_e32 v0, v0, v2, vcc
	v_cmp_eq_u32_e32 vcc, 0, v1
	v_mov_b32_e32 v1, 0x7f800001
	v_cndmask_b32_e32 v0, v1, v0, vcc
; %bb.376:                              ;   in Loop: Header=BB6_138 Depth=3
	s_or_b64 exec, exec, s[30:31]
.LBB6_377:                              ;   in Loop: Header=BB6_138 Depth=3
	s_or_b64 exec, exec, s[94:95]
.LBB6_378:                              ;   in Loop: Header=BB6_138 Depth=3
	s_or_b64 exec, exec, s[26:27]
	v_mul_f32_e32 v2, v14, v0
	v_and_b32_e32 v3, 0x7f800000, v2
	v_mov_b32_e32 v4, v33
	v_cmp_ne_u64_e32 vcc, s[76:77], v[3:4]
	v_and_b32_e32 v0, 0x7fffff, v2
	v_mov_b32_e32 v1, v33
                                        ; implicit-def: $vgpr3
                                        ; kill: killed $vgpr3
	s_and_saveexec_b64 s[26:27], vcc
	s_xor_b64 s[94:95], exec, s[26:27]
	s_cbranch_execz .LBB6_392
; %bb.379:                              ;   in Loop: Header=BB6_138 Depth=3
	v_and_b32_e32 v3, 0x7fffffff, v2
	v_mov_b32_e32 v4, v33
	v_cmp_gt_u64_e32 vcc, s[78:79], v[3:4]
	v_and_b32_sdwa v3, v2, s97 dst_sel:DWORD dst_unused:UNUSED_PAD src0_sel:BYTE_3 src1_sel:DWORD
                                        ; implicit-def: $vgpr4
                                        ; kill: killed $vgpr4
	s_and_saveexec_b64 s[26:27], vcc
	s_xor_b64 s[30:31], exec, s[26:27]
	s_cbranch_execz .LBB6_389
; %bb.380:                              ;   in Loop: Header=BB6_138 Depth=3
	v_mov_b32_e32 v4, 0
	v_cmp_ne_u32_e32 vcc, 0, v2
	buffer_store_dword v4, off, s[0:3], s33 offset:148 ; 4-byte Folded Spill
	s_and_saveexec_b64 s[34:35], vcc
	s_cbranch_execz .LBB6_388
; %bb.381:                              ;   in Loop: Header=BB6_138 Depth=3
	v_bfe_u32 v5, v2, 23, 8
	v_cmp_gt_u32_e64 s[26:27], s47, v5
	v_sub_u32_e32 v2, 0x71, v5
	v_cmp_eq_u32_e32 vcc, 0, v5
	v_cndmask_b32_e64 v2, 0, v2, s[26:27]
	v_mov_b32_e32 v6, 0x70
	v_cndmask_b32_e32 v6, v2, v6, vcc
	v_add_u32_e32 v2, 21, v6
	v_or_b32_e32 v4, 0x800000, v0
	v_lshlrev_b64 v[7:8], v2, -1
	v_cndmask_b32_e32 v0, v4, v0, vcc
	v_add_u32_e32 v2, 20, v6
	v_bfi_b32 v7, v7, 0, v0
	v_lshlrev_b64 v[15:16], v2, 1
	v_lshrrev_b64 v[0:1], v6, v[0:1]
	v_bfi_b32 v8, v8, 0, 0
	v_cmp_eq_u64_e64 s[26:27], v[7:8], v[15:16]
	v_mov_b32_e32 v2, v1
	v_mov_b32_e32 v1, v0
	s_and_saveexec_b64 s[36:37], s[26:27]
; %bb.382:                              ;   in Loop: Header=BB6_138 Depth=3
	v_bfe_u32 v1, v0, 21, 1
	v_add_co_u32_e64 v1, s[26:27], v0, v1
	v_add_co_u32_e64 v1, s[26:27], -1, v1
; %bb.383:                              ;   in Loop: Header=BB6_138 Depth=3
	s_or_b64 exec, exec, s[36:37]
	v_add_u32_e32 v2, 0xffffff81, v5
	v_mov_b32_e32 v4, 0xffffff82
	v_cndmask_b32_e32 v2, v2, v4, vcc
	v_lshrrev_b32_e32 v4, 23, v0
	v_add3_u32 v6, v6, v2, v4
	v_add_u32_e32 v5, 14, v6
	v_and_b32_e32 v1, 0x1fffff, v1
	v_add_u32_e32 v0, v1, v0
	v_mov_b32_e32 v1, v33
	v_cmp_ne_u32_e32 vcc, 0, v5
                                        ; implicit-def: $vgpr2
	s_and_saveexec_b64 s[26:27], vcc
	s_xor_b64 s[26:27], exec, s[26:27]
; %bb.384:                              ;   in Loop: Header=BB6_138 Depth=3
	v_cmp_lt_u64_e32 vcc, s[88:89], v[0:1]
	v_add_u32_e32 v2, 15, v6
	v_cndmask_b32_e64 v4, 0, 1, vcc
	v_cndmask_b32_e32 v2, v5, v2, vcc
	v_lshrrev_b64 v[0:1], v4, v[0:1]
; %bb.385:                              ;   in Loop: Header=BB6_138 Depth=3
	s_andn2_saveexec_b64 s[26:27], s[26:27]
; %bb.386:                              ;   in Loop: Header=BB6_138 Depth=3
	v_bfe_u32 v2, v0, 23, 1
; %bb.387:                              ;   in Loop: Header=BB6_138 Depth=3
	s_or_b64 exec, exec, s[26:27]
	v_lshrrev_b64 v[0:1], 21, v[0:1]
	v_cmp_gt_i32_e32 vcc, 32, v2
	v_cndmask_b32_e32 v1, 0, v1, vcc
	v_cndmask_b32_e32 v0, 3, v0, vcc
	v_cmp_eq_u64_e64 s[26:27], 0, v[0:1]
	v_min_i32_e32 v1, 31, v2
	v_lshlrev_b32_e32 v1, 2, v1
	v_cmp_eq_u32_e32 vcc, 0, v2
	v_and_b32_e32 v1, 0xfc, v1
	v_and_or_b32 v0, v0, 3, v1
	s_and_b64 s[26:27], vcc, s[26:27]
	v_cndmask_b32_e64 v0, v0, 0, s[26:27]
	v_or_b32_e32 v0, v0, v3
	buffer_store_dword v0, off, s[0:3], s33 offset:148 ; 4-byte Folded Spill
.LBB6_388:                              ;   in Loop: Header=BB6_138 Depth=3
	s_or_b64 exec, exec, s[34:35]
                                        ; implicit-def: $vgpr3
.LBB6_389:                              ;   in Loop: Header=BB6_138 Depth=3
	s_andn2_saveexec_b64 s[26:27], s[30:31]
	s_cbranch_execz .LBB6_391
; %bb.390:                              ;   in Loop: Header=BB6_138 Depth=3
	v_or_b32_e32 v0, 0x7b, v3
	buffer_store_dword v0, off, s[0:3], s33 offset:148 ; 4-byte Folded Spill
.LBB6_391:                              ;   in Loop: Header=BB6_138 Depth=3
	s_or_b64 exec, exec, s[26:27]
                                        ; implicit-def: $vgpr2
                                        ; implicit-def: $vgpr0_vgpr1
.LBB6_392:                              ;   in Loop: Header=BB6_138 Depth=3
	s_andn2_saveexec_b64 s[26:27], s[94:95]
	s_cbranch_execz .LBB6_398
; %bb.393:                              ;   in Loop: Header=BB6_138 Depth=3
	v_cmp_ne_u64_e32 vcc, 0, v[0:1]
                                        ; implicit-def: $vgpr0
                                        ; kill: killed $vgpr0
	s_and_saveexec_b64 s[62:63], vcc
	s_xor_b64 s[94:95], exec, s[62:63]
	s_cbranch_execz .LBB6_395
; %bb.394:                              ;   in Loop: Header=BB6_138 Depth=3
	v_or_b32_sdwa v0, v2, s44 dst_sel:DWORD dst_unused:UNUSED_PAD src0_sel:BYTE_3 src1_sel:DWORD
	buffer_store_dword v0, off, s[0:3], s33 offset:148 ; 4-byte Folded Spill
                                        ; implicit-def: $vgpr2
.LBB6_395:                              ;   in Loop: Header=BB6_138 Depth=3
	s_andn2_saveexec_b64 s[94:95], s[94:95]
	s_cbranch_execz .LBB6_397
; %bb.396:                              ;   in Loop: Header=BB6_138 Depth=3
	v_cmp_lt_i32_e32 vcc, -1, v2
	v_bfrev_b32_e32 v0, 0.5
	v_mov_b32_e32 v1, 0x7c
	v_cndmask_b32_e32 v0, v0, v1, vcc
	buffer_store_dword v0, off, s[0:3], s33 offset:148 ; 4-byte Folded Spill
.LBB6_397:                              ;   in Loop: Header=BB6_138 Depth=3
	s_or_b64 exec, exec, s[94:95]
.LBB6_398:                              ;   in Loop: Header=BB6_138 Depth=3
	s_or_b64 exec, exec, s[26:27]
	v_lshrrev_b16_e32 v0, 8, v10
	v_cmp_ne_u16_e32 vcc, 0, v0
	v_mov_b32_e32 v1, 0
	s_and_saveexec_b64 s[26:27], vcc
	s_cbranch_execz .LBB6_406
; %bb.399:                              ;   in Loop: Header=BB6_138 Depth=3
	v_cmp_ne_u16_e32 vcc, s97, v0
	v_bfrev_b32_e32 v1, 1
	s_and_saveexec_b64 s[94:95], vcc
	s_cbranch_execz .LBB6_405
; %bb.400:                              ;   in Loop: Header=BB6_138 Depth=3
	v_and_b32_e32 v1, 0x7c, v0
	v_and_b32_e32 v2, 3, v0
	v_cmp_ne_u32_e32 vcc, s86, v1
                                        ; implicit-def: $vgpr1
	s_and_saveexec_b64 s[62:63], vcc
	s_xor_b64 s[30:31], exec, s[62:63]
	s_cbranch_execz .LBB6_402
; %bb.401:                              ;   in Loop: Header=BB6_138 Depth=3
	v_ffbh_u32_e32 v4, v2
	v_min_u32_e32 v4, 32, v4
	v_mov_b32_e32 v1, v33
	v_subrev_u32_e32 v5, 29, v4
	v_bfe_u32 v3, v0, 2, 5
	v_lshlrev_b64 v[0:1], v5, v[0:1]
	v_cmp_eq_u32_e32 vcc, 0, v3
	v_and_b32_e32 v0, 3, v0
	v_sub_u32_e32 v1, 30, v4
	v_cndmask_b32_e32 v0, v2, v0, vcc
	v_lshlrev_b32_e32 v2, 16, v10
	v_cndmask_b32_e32 v1, v3, v1, vcc
	v_and_b32_e32 v2, 0x80000000, v2
	v_lshl_add_u32 v1, v1, 23, v2
	v_lshl_or_b32 v0, v0, 21, v1
	v_add_u32_e32 v1, 0x38000000, v0
                                        ; implicit-def: $vgpr2
.LBB6_402:                              ;   in Loop: Header=BB6_138 Depth=3
	s_andn2_saveexec_b64 s[30:31], s[30:31]
; %bb.403:                              ;   in Loop: Header=BB6_138 Depth=3
	v_cmp_lt_i16_e32 vcc, -1, v10
	v_mov_b32_e32 v0, 0xff800000
	v_mov_b32_e32 v1, 0x7f800000
	v_cndmask_b32_e32 v0, v0, v1, vcc
	v_cmp_eq_u32_e32 vcc, 0, v2
	v_mov_b32_e32 v1, 0x7f800001
	v_cndmask_b32_e32 v1, v1, v0, vcc
; %bb.404:                              ;   in Loop: Header=BB6_138 Depth=3
	s_or_b64 exec, exec, s[30:31]
.LBB6_405:                              ;   in Loop: Header=BB6_138 Depth=3
	s_or_b64 exec, exec, s[94:95]
.LBB6_406:                              ;   in Loop: Header=BB6_138 Depth=3
	s_or_b64 exec, exec, s[26:27]
	v_mul_f32_e32 v2, v14, v1
	v_and_b32_e32 v3, 0x7f800000, v2
	v_mov_b32_e32 v4, v33
	v_cmp_ne_u64_e32 vcc, s[76:77], v[3:4]
	v_and_b32_e32 v0, 0x7fffff, v2
	v_mov_b32_e32 v1, v33
                                        ; implicit-def: $vgpr3
                                        ; kill: killed $vgpr3
	s_and_saveexec_b64 s[26:27], vcc
	s_xor_b64 s[94:95], exec, s[26:27]
	s_cbranch_execz .LBB6_420
; %bb.407:                              ;   in Loop: Header=BB6_138 Depth=3
	v_and_b32_e32 v3, 0x7fffffff, v2
	v_mov_b32_e32 v4, v33
	v_cmp_gt_u64_e32 vcc, s[78:79], v[3:4]
	v_and_b32_sdwa v3, v2, s97 dst_sel:DWORD dst_unused:UNUSED_PAD src0_sel:BYTE_3 src1_sel:DWORD
                                        ; implicit-def: $vgpr4
                                        ; kill: killed $vgpr4
	s_and_saveexec_b64 s[26:27], vcc
	s_xor_b64 s[30:31], exec, s[26:27]
	s_cbranch_execz .LBB6_417
; %bb.408:                              ;   in Loop: Header=BB6_138 Depth=3
	v_mov_b32_e32 v4, 0
	v_cmp_ne_u32_e32 vcc, 0, v2
	buffer_store_dword v4, off, s[0:3], s33 offset:156 ; 4-byte Folded Spill
	s_and_saveexec_b64 s[34:35], vcc
	s_cbranch_execz .LBB6_416
; %bb.409:                              ;   in Loop: Header=BB6_138 Depth=3
	v_bfe_u32 v5, v2, 23, 8
	v_cmp_gt_u32_e64 s[26:27], s47, v5
	v_sub_u32_e32 v2, 0x71, v5
	v_cmp_eq_u32_e32 vcc, 0, v5
	v_cndmask_b32_e64 v2, 0, v2, s[26:27]
	v_mov_b32_e32 v6, 0x70
	v_cndmask_b32_e32 v6, v2, v6, vcc
	v_add_u32_e32 v2, 21, v6
	v_or_b32_e32 v4, 0x800000, v0
	v_lshlrev_b64 v[7:8], v2, -1
	v_cndmask_b32_e32 v0, v4, v0, vcc
	v_add_u32_e32 v2, 20, v6
	v_bfi_b32 v7, v7, 0, v0
	v_lshlrev_b64 v[15:16], v2, 1
	v_lshrrev_b64 v[0:1], v6, v[0:1]
	v_bfi_b32 v8, v8, 0, 0
	v_cmp_eq_u64_e64 s[26:27], v[7:8], v[15:16]
	v_mov_b32_e32 v2, v1
	v_mov_b32_e32 v1, v0
	s_and_saveexec_b64 s[36:37], s[26:27]
; %bb.410:                              ;   in Loop: Header=BB6_138 Depth=3
	v_bfe_u32 v1, v0, 21, 1
	v_add_co_u32_e64 v1, s[26:27], v0, v1
	v_add_co_u32_e64 v1, s[26:27], -1, v1
; %bb.411:                              ;   in Loop: Header=BB6_138 Depth=3
	s_or_b64 exec, exec, s[36:37]
	v_add_u32_e32 v2, 0xffffff81, v5
	v_mov_b32_e32 v4, 0xffffff82
	v_cndmask_b32_e32 v2, v2, v4, vcc
	v_lshrrev_b32_e32 v4, 23, v0
	v_add3_u32 v6, v6, v2, v4
	v_add_u32_e32 v5, 14, v6
	v_and_b32_e32 v1, 0x1fffff, v1
	v_add_u32_e32 v0, v1, v0
	v_mov_b32_e32 v1, v33
	v_cmp_ne_u32_e32 vcc, 0, v5
                                        ; implicit-def: $vgpr2
	s_and_saveexec_b64 s[26:27], vcc
	s_xor_b64 s[26:27], exec, s[26:27]
; %bb.412:                              ;   in Loop: Header=BB6_138 Depth=3
	v_cmp_lt_u64_e32 vcc, s[88:89], v[0:1]
	v_add_u32_e32 v2, 15, v6
	v_cndmask_b32_e64 v4, 0, 1, vcc
	v_cndmask_b32_e32 v2, v5, v2, vcc
	v_lshrrev_b64 v[0:1], v4, v[0:1]
; %bb.413:                              ;   in Loop: Header=BB6_138 Depth=3
	s_andn2_saveexec_b64 s[26:27], s[26:27]
; %bb.414:                              ;   in Loop: Header=BB6_138 Depth=3
	v_bfe_u32 v2, v0, 23, 1
; %bb.415:                              ;   in Loop: Header=BB6_138 Depth=3
	s_or_b64 exec, exec, s[26:27]
	v_lshrrev_b64 v[0:1], 21, v[0:1]
	v_cmp_gt_i32_e32 vcc, 32, v2
	v_cndmask_b32_e32 v1, 0, v1, vcc
	v_cndmask_b32_e32 v0, 3, v0, vcc
	v_cmp_eq_u64_e64 s[26:27], 0, v[0:1]
	v_min_i32_e32 v1, 31, v2
	v_lshlrev_b32_e32 v1, 2, v1
	v_cmp_eq_u32_e32 vcc, 0, v2
	v_and_b32_e32 v1, 0xfc, v1
	v_and_or_b32 v0, v0, 3, v1
	s_and_b64 s[26:27], vcc, s[26:27]
	v_cndmask_b32_e64 v0, v0, 0, s[26:27]
	v_or_b32_e32 v0, v0, v3
	buffer_store_dword v0, off, s[0:3], s33 offset:156 ; 4-byte Folded Spill
.LBB6_416:                              ;   in Loop: Header=BB6_138 Depth=3
	s_or_b64 exec, exec, s[34:35]
                                        ; implicit-def: $vgpr3
.LBB6_417:                              ;   in Loop: Header=BB6_138 Depth=3
	s_andn2_saveexec_b64 s[26:27], s[30:31]
	s_cbranch_execz .LBB6_419
; %bb.418:                              ;   in Loop: Header=BB6_138 Depth=3
	v_or_b32_e32 v0, 0x7b, v3
	buffer_store_dword v0, off, s[0:3], s33 offset:156 ; 4-byte Folded Spill
.LBB6_419:                              ;   in Loop: Header=BB6_138 Depth=3
	s_or_b64 exec, exec, s[26:27]
                                        ; implicit-def: $vgpr2
                                        ; implicit-def: $vgpr0_vgpr1
.LBB6_420:                              ;   in Loop: Header=BB6_138 Depth=3
	s_andn2_saveexec_b64 s[26:27], s[94:95]
	s_cbranch_execz .LBB6_426
; %bb.421:                              ;   in Loop: Header=BB6_138 Depth=3
	v_cmp_ne_u64_e32 vcc, 0, v[0:1]
                                        ; implicit-def: $vgpr0
                                        ; kill: killed $vgpr0
	s_and_saveexec_b64 s[62:63], vcc
	s_xor_b64 s[94:95], exec, s[62:63]
	s_cbranch_execz .LBB6_423
; %bb.422:                              ;   in Loop: Header=BB6_138 Depth=3
	v_or_b32_sdwa v0, v2, s44 dst_sel:DWORD dst_unused:UNUSED_PAD src0_sel:BYTE_3 src1_sel:DWORD
	buffer_store_dword v0, off, s[0:3], s33 offset:156 ; 4-byte Folded Spill
                                        ; implicit-def: $vgpr2
.LBB6_423:                              ;   in Loop: Header=BB6_138 Depth=3
	s_andn2_saveexec_b64 s[94:95], s[94:95]
	s_cbranch_execz .LBB6_425
; %bb.424:                              ;   in Loop: Header=BB6_138 Depth=3
	v_cmp_lt_i32_e32 vcc, -1, v2
	v_bfrev_b32_e32 v0, 0.5
	v_mov_b32_e32 v1, 0x7c
	v_cndmask_b32_e32 v0, v0, v1, vcc
	buffer_store_dword v0, off, s[0:3], s33 offset:156 ; 4-byte Folded Spill
.LBB6_425:                              ;   in Loop: Header=BB6_138 Depth=3
	s_or_b64 exec, exec, s[94:95]
.LBB6_426:                              ;   in Loop: Header=BB6_138 Depth=3
	s_or_b64 exec, exec, s[26:27]
	v_lshrrev_b32_e32 v0, 16, v10
	v_cmp_ne_u16_sdwa s[62:63], v0, v33 src0_sel:BYTE_0 src1_sel:DWORD
	v_mov_b32_e32 v1, 0
	s_and_saveexec_b64 s[26:27], s[62:63]
	s_cbranch_execz .LBB6_434
; %bb.427:                              ;   in Loop: Header=BB6_138 Depth=3
	v_cmp_ne_u16_sdwa s[62:63], v0, s97 src0_sel:BYTE_0 src1_sel:DWORD
	v_bfrev_b32_e32 v1, 1
	s_and_saveexec_b64 s[94:95], s[62:63]
	s_cbranch_execz .LBB6_433
; %bb.428:                              ;   in Loop: Header=BB6_138 Depth=3
	v_and_b32_e32 v1, 0x7c0000, v10
	v_bfe_u32 v2, v10, 16, 2
	v_cmp_ne_u32_e32 vcc, s45, v1
                                        ; implicit-def: $vgpr1
	s_and_saveexec_b64 s[62:63], vcc
	s_xor_b64 s[30:31], exec, s[62:63]
	s_cbranch_execz .LBB6_430
; %bb.429:                              ;   in Loop: Header=BB6_138 Depth=3
	v_ffbh_u32_e32 v1, v2
	v_min_u32_e32 v4, 32, v1
	v_subrev_u32_e32 v1, 29, v4
	v_lshlrev_b64 v[0:1], v1, v[0:1]
	v_bfe_u32 v3, v10, 18, 5
	v_and_b32_e32 v0, 3, v0
	v_cmp_eq_u32_e32 vcc, 0, v3
	v_sub_u32_e32 v1, 30, v4
	v_cndmask_b32_e32 v0, v2, v0, vcc
	v_lshlrev_b32_e32 v2, 8, v10
	v_cndmask_b32_e32 v1, v3, v1, vcc
	v_and_b32_e32 v2, 0x80000000, v2
	v_lshl_add_u32 v1, v1, 23, v2
	v_lshl_or_b32 v0, v0, 21, v1
	v_add_u32_e32 v1, 0x38000000, v0
                                        ; implicit-def: $vgpr2
                                        ; implicit-def: $vgpr0
.LBB6_430:                              ;   in Loop: Header=BB6_138 Depth=3
	s_andn2_saveexec_b64 s[30:31], s[30:31]
; %bb.431:                              ;   in Loop: Header=BB6_138 Depth=3
	v_mov_b32_e32 v1, -1
	v_cmp_gt_i16_sdwa vcc, sext(v0), v1 src0_sel:BYTE_0 src1_sel:DWORD
	v_mov_b32_e32 v0, 0xff800000
	v_mov_b32_e32 v1, 0x7f800000
	v_cndmask_b32_e32 v0, v0, v1, vcc
	v_cmp_eq_u32_e32 vcc, 0, v2
	v_mov_b32_e32 v1, 0x7f800001
	v_cndmask_b32_e32 v1, v1, v0, vcc
; %bb.432:                              ;   in Loop: Header=BB6_138 Depth=3
	s_or_b64 exec, exec, s[30:31]
.LBB6_433:                              ;   in Loop: Header=BB6_138 Depth=3
	s_or_b64 exec, exec, s[94:95]
.LBB6_434:                              ;   in Loop: Header=BB6_138 Depth=3
	s_or_b64 exec, exec, s[26:27]
	v_mul_f32_e32 v2, v14, v1
	v_and_b32_e32 v3, 0x7f800000, v2
	v_mov_b32_e32 v4, v33
	v_cmp_ne_u64_e32 vcc, s[76:77], v[3:4]
	v_and_b32_e32 v0, 0x7fffff, v2
	v_mov_b32_e32 v1, v33
                                        ; implicit-def: $vgpr3
                                        ; kill: killed $vgpr3
	s_and_saveexec_b64 s[26:27], vcc
	s_xor_b64 s[94:95], exec, s[26:27]
	s_cbranch_execz .LBB6_448
; %bb.435:                              ;   in Loop: Header=BB6_138 Depth=3
	v_and_b32_e32 v3, 0x7fffffff, v2
	v_mov_b32_e32 v4, v33
	v_cmp_gt_u64_e32 vcc, s[78:79], v[3:4]
	v_and_b32_sdwa v3, v2, s97 dst_sel:DWORD dst_unused:UNUSED_PAD src0_sel:BYTE_3 src1_sel:DWORD
                                        ; implicit-def: $vgpr4
                                        ; kill: killed $vgpr4
	s_and_saveexec_b64 s[26:27], vcc
	s_xor_b64 s[30:31], exec, s[26:27]
	s_cbranch_execz .LBB6_445
; %bb.436:                              ;   in Loop: Header=BB6_138 Depth=3
	v_mov_b32_e32 v4, 0
	v_cmp_ne_u32_e32 vcc, 0, v2
	buffer_store_dword v4, off, s[0:3], s33 offset:164 ; 4-byte Folded Spill
	s_and_saveexec_b64 s[34:35], vcc
	s_cbranch_execz .LBB6_444
; %bb.437:                              ;   in Loop: Header=BB6_138 Depth=3
	v_bfe_u32 v5, v2, 23, 8
	v_cmp_gt_u32_e64 s[26:27], s47, v5
	v_sub_u32_e32 v2, 0x71, v5
	v_cmp_eq_u32_e32 vcc, 0, v5
	v_cndmask_b32_e64 v2, 0, v2, s[26:27]
	v_mov_b32_e32 v6, 0x70
	v_cndmask_b32_e32 v6, v2, v6, vcc
	v_add_u32_e32 v2, 21, v6
	v_or_b32_e32 v4, 0x800000, v0
	v_lshlrev_b64 v[7:8], v2, -1
	v_cndmask_b32_e32 v0, v4, v0, vcc
	v_add_u32_e32 v2, 20, v6
	v_bfi_b32 v7, v7, 0, v0
	v_lshlrev_b64 v[15:16], v2, 1
	v_lshrrev_b64 v[0:1], v6, v[0:1]
	v_bfi_b32 v8, v8, 0, 0
	v_cmp_eq_u64_e64 s[26:27], v[7:8], v[15:16]
	v_mov_b32_e32 v2, v1
	v_mov_b32_e32 v1, v0
	s_and_saveexec_b64 s[36:37], s[26:27]
; %bb.438:                              ;   in Loop: Header=BB6_138 Depth=3
	v_bfe_u32 v1, v0, 21, 1
	v_add_co_u32_e64 v1, s[26:27], v0, v1
	v_add_co_u32_e64 v1, s[26:27], -1, v1
; %bb.439:                              ;   in Loop: Header=BB6_138 Depth=3
	s_or_b64 exec, exec, s[36:37]
	v_add_u32_e32 v2, 0xffffff81, v5
	v_mov_b32_e32 v4, 0xffffff82
	v_cndmask_b32_e32 v2, v2, v4, vcc
	v_lshrrev_b32_e32 v4, 23, v0
	v_add3_u32 v6, v6, v2, v4
	v_add_u32_e32 v5, 14, v6
	v_and_b32_e32 v1, 0x1fffff, v1
	v_add_u32_e32 v0, v1, v0
	v_mov_b32_e32 v1, v33
	v_cmp_ne_u32_e32 vcc, 0, v5
                                        ; implicit-def: $vgpr2
	s_and_saveexec_b64 s[26:27], vcc
	s_xor_b64 s[26:27], exec, s[26:27]
; %bb.440:                              ;   in Loop: Header=BB6_138 Depth=3
	v_cmp_lt_u64_e32 vcc, s[88:89], v[0:1]
	v_add_u32_e32 v2, 15, v6
	v_cndmask_b32_e64 v4, 0, 1, vcc
	v_cndmask_b32_e32 v2, v5, v2, vcc
	v_lshrrev_b64 v[0:1], v4, v[0:1]
; %bb.441:                              ;   in Loop: Header=BB6_138 Depth=3
	s_andn2_saveexec_b64 s[26:27], s[26:27]
; %bb.442:                              ;   in Loop: Header=BB6_138 Depth=3
	v_bfe_u32 v2, v0, 23, 1
; %bb.443:                              ;   in Loop: Header=BB6_138 Depth=3
	s_or_b64 exec, exec, s[26:27]
	v_lshrrev_b64 v[0:1], 21, v[0:1]
	v_cmp_gt_i32_e32 vcc, 32, v2
	v_cndmask_b32_e32 v1, 0, v1, vcc
	v_cndmask_b32_e32 v0, 3, v0, vcc
	v_cmp_eq_u64_e64 s[26:27], 0, v[0:1]
	v_min_i32_e32 v1, 31, v2
	v_lshlrev_b32_e32 v1, 2, v1
	v_cmp_eq_u32_e32 vcc, 0, v2
	v_and_b32_e32 v1, 0xfc, v1
	v_and_or_b32 v0, v0, 3, v1
	s_and_b64 s[26:27], vcc, s[26:27]
	v_cndmask_b32_e64 v0, v0, 0, s[26:27]
	v_or_b32_e32 v0, v0, v3
	buffer_store_dword v0, off, s[0:3], s33 offset:164 ; 4-byte Folded Spill
.LBB6_444:                              ;   in Loop: Header=BB6_138 Depth=3
	s_or_b64 exec, exec, s[34:35]
                                        ; implicit-def: $vgpr3
.LBB6_445:                              ;   in Loop: Header=BB6_138 Depth=3
	s_andn2_saveexec_b64 s[26:27], s[30:31]
	s_cbranch_execz .LBB6_447
; %bb.446:                              ;   in Loop: Header=BB6_138 Depth=3
	v_or_b32_e32 v0, 0x7b, v3
	buffer_store_dword v0, off, s[0:3], s33 offset:164 ; 4-byte Folded Spill
.LBB6_447:                              ;   in Loop: Header=BB6_138 Depth=3
	s_or_b64 exec, exec, s[26:27]
                                        ; implicit-def: $vgpr2
                                        ; implicit-def: $vgpr0_vgpr1
.LBB6_448:                              ;   in Loop: Header=BB6_138 Depth=3
	s_andn2_saveexec_b64 s[26:27], s[94:95]
	s_cbranch_execz .LBB6_454
; %bb.449:                              ;   in Loop: Header=BB6_138 Depth=3
	v_cmp_ne_u64_e32 vcc, 0, v[0:1]
                                        ; implicit-def: $vgpr0
                                        ; kill: killed $vgpr0
	s_and_saveexec_b64 s[62:63], vcc
	s_xor_b64 s[94:95], exec, s[62:63]
	s_cbranch_execz .LBB6_451
; %bb.450:                              ;   in Loop: Header=BB6_138 Depth=3
	v_or_b32_sdwa v0, v2, s44 dst_sel:DWORD dst_unused:UNUSED_PAD src0_sel:BYTE_3 src1_sel:DWORD
	buffer_store_dword v0, off, s[0:3], s33 offset:164 ; 4-byte Folded Spill
                                        ; implicit-def: $vgpr2
.LBB6_451:                              ;   in Loop: Header=BB6_138 Depth=3
	s_andn2_saveexec_b64 s[94:95], s[94:95]
	s_cbranch_execz .LBB6_453
; %bb.452:                              ;   in Loop: Header=BB6_138 Depth=3
	v_cmp_lt_i32_e32 vcc, -1, v2
	v_bfrev_b32_e32 v0, 0.5
	v_mov_b32_e32 v1, 0x7c
	v_cndmask_b32_e32 v0, v0, v1, vcc
	buffer_store_dword v0, off, s[0:3], s33 offset:164 ; 4-byte Folded Spill
.LBB6_453:                              ;   in Loop: Header=BB6_138 Depth=3
	s_or_b64 exec, exec, s[94:95]
.LBB6_454:                              ;   in Loop: Header=BB6_138 Depth=3
	s_or_b64 exec, exec, s[26:27]
	v_cmp_lt_u32_e32 vcc, s57, v10
	v_mov_b32_e32 v1, 0
	s_and_saveexec_b64 s[26:27], vcc
	s_cbranch_execz .LBB6_462
; %bb.455:                              ;   in Loop: Header=BB6_138 Depth=3
	v_lshrrev_b32_e32 v0, 24, v10
	v_cmp_ne_u32_e32 vcc, s97, v0
	v_bfrev_b32_e32 v1, 1
	s_and_saveexec_b64 s[94:95], vcc
	s_cbranch_execz .LBB6_461
; %bb.456:                              ;   in Loop: Header=BB6_138 Depth=3
	v_and_b32_e32 v1, 0x7c000000, v10
	v_bfe_u32 v2, v10, 24, 2
	v_cmp_ne_u32_e32 vcc, s68, v1
                                        ; implicit-def: $vgpr1
	s_and_saveexec_b64 s[62:63], vcc
	s_xor_b64 s[30:31], exec, s[62:63]
	s_cbranch_execz .LBB6_458
; %bb.457:                              ;   in Loop: Header=BB6_138 Depth=3
	v_ffbh_u32_e32 v1, v2
	v_min_u32_e32 v4, 32, v1
	v_subrev_u32_e32 v1, 29, v4
	v_lshlrev_b64 v[0:1], v1, v[0:1]
	v_bfe_u32 v3, v10, 26, 5
	v_sub_u32_e32 v1, 30, v4
	v_and_b32_e32 v0, 3, v0
	v_cmp_eq_u32_e32 vcc, 0, v3
	v_cndmask_b32_e32 v1, v3, v1, vcc
	v_cndmask_b32_e32 v0, v2, v0, vcc
	v_and_b32_e32 v2, 0x80000000, v10
	v_lshl_add_u32 v1, v1, 23, v2
	v_lshl_or_b32 v0, v0, 21, v1
	v_add_u32_e32 v1, 0x38000000, v0
                                        ; implicit-def: $vgpr2
.LBB6_458:                              ;   in Loop: Header=BB6_138 Depth=3
	s_andn2_saveexec_b64 s[30:31], s[30:31]
; %bb.459:                              ;   in Loop: Header=BB6_138 Depth=3
	v_cmp_lt_i32_e32 vcc, -1, v10
	v_mov_b32_e32 v0, 0xff800000
	v_mov_b32_e32 v1, 0x7f800000
	v_cndmask_b32_e32 v0, v0, v1, vcc
	v_cmp_eq_u32_e32 vcc, 0, v2
	v_mov_b32_e32 v1, 0x7f800001
	v_cndmask_b32_e32 v1, v1, v0, vcc
; %bb.460:                              ;   in Loop: Header=BB6_138 Depth=3
	s_or_b64 exec, exec, s[30:31]
.LBB6_461:                              ;   in Loop: Header=BB6_138 Depth=3
	s_or_b64 exec, exec, s[94:95]
.LBB6_462:                              ;   in Loop: Header=BB6_138 Depth=3
	s_or_b64 exec, exec, s[26:27]
	v_mul_f32_e32 v2, v14, v1
	v_and_b32_e32 v3, 0x7f800000, v2
	v_mov_b32_e32 v4, v33
	v_cmp_ne_u64_e32 vcc, s[76:77], v[3:4]
	v_and_b32_e32 v0, 0x7fffff, v2
	v_mov_b32_e32 v1, v33
                                        ; implicit-def: $vgpr3
                                        ; kill: killed $vgpr3
	s_and_saveexec_b64 s[26:27], vcc
	s_xor_b64 s[94:95], exec, s[26:27]
	s_cbranch_execz .LBB6_476
; %bb.463:                              ;   in Loop: Header=BB6_138 Depth=3
	v_and_b32_e32 v3, 0x7fffffff, v2
	v_mov_b32_e32 v4, v33
	v_cmp_gt_u64_e32 vcc, s[78:79], v[3:4]
	v_and_b32_sdwa v3, v2, s97 dst_sel:DWORD dst_unused:UNUSED_PAD src0_sel:BYTE_3 src1_sel:DWORD
                                        ; implicit-def: $vgpr4
                                        ; kill: killed $vgpr4
	s_and_saveexec_b64 s[26:27], vcc
	s_xor_b64 s[30:31], exec, s[26:27]
	s_cbranch_execz .LBB6_473
; %bb.464:                              ;   in Loop: Header=BB6_138 Depth=3
	v_mov_b32_e32 v4, 0
	v_cmp_ne_u32_e32 vcc, 0, v2
	buffer_store_dword v4, off, s[0:3], s33 offset:172 ; 4-byte Folded Spill
	s_and_saveexec_b64 s[34:35], vcc
	s_cbranch_execz .LBB6_472
; %bb.465:                              ;   in Loop: Header=BB6_138 Depth=3
	v_bfe_u32 v5, v2, 23, 8
	v_cmp_gt_u32_e64 s[26:27], s47, v5
	v_sub_u32_e32 v2, 0x71, v5
	v_cmp_eq_u32_e32 vcc, 0, v5
	v_cndmask_b32_e64 v2, 0, v2, s[26:27]
	v_mov_b32_e32 v6, 0x70
	v_cndmask_b32_e32 v6, v2, v6, vcc
	v_add_u32_e32 v2, 21, v6
	v_or_b32_e32 v4, 0x800000, v0
	v_lshlrev_b64 v[7:8], v2, -1
	v_cndmask_b32_e32 v0, v4, v0, vcc
	v_add_u32_e32 v2, 20, v6
	v_bfi_b32 v7, v7, 0, v0
	v_lshlrev_b64 v[15:16], v2, 1
	v_lshrrev_b64 v[0:1], v6, v[0:1]
	v_bfi_b32 v8, v8, 0, 0
	v_cmp_eq_u64_e64 s[26:27], v[7:8], v[15:16]
	v_mov_b32_e32 v2, v1
	v_mov_b32_e32 v1, v0
	s_and_saveexec_b64 s[36:37], s[26:27]
; %bb.466:                              ;   in Loop: Header=BB6_138 Depth=3
	v_bfe_u32 v1, v0, 21, 1
	v_add_co_u32_e64 v1, s[26:27], v0, v1
	v_add_co_u32_e64 v1, s[26:27], -1, v1
; %bb.467:                              ;   in Loop: Header=BB6_138 Depth=3
	s_or_b64 exec, exec, s[36:37]
	v_add_u32_e32 v2, 0xffffff81, v5
	v_mov_b32_e32 v4, 0xffffff82
	v_cndmask_b32_e32 v2, v2, v4, vcc
	v_lshrrev_b32_e32 v4, 23, v0
	v_add3_u32 v6, v6, v2, v4
	v_add_u32_e32 v5, 14, v6
	v_and_b32_e32 v1, 0x1fffff, v1
	v_add_u32_e32 v0, v1, v0
	v_mov_b32_e32 v1, v33
	v_cmp_ne_u32_e32 vcc, 0, v5
                                        ; implicit-def: $vgpr2
	s_and_saveexec_b64 s[26:27], vcc
	s_xor_b64 s[26:27], exec, s[26:27]
; %bb.468:                              ;   in Loop: Header=BB6_138 Depth=3
	v_cmp_lt_u64_e32 vcc, s[88:89], v[0:1]
	v_add_u32_e32 v2, 15, v6
	v_cndmask_b32_e64 v4, 0, 1, vcc
	v_cndmask_b32_e32 v2, v5, v2, vcc
	v_lshrrev_b64 v[0:1], v4, v[0:1]
; %bb.469:                              ;   in Loop: Header=BB6_138 Depth=3
	s_andn2_saveexec_b64 s[26:27], s[26:27]
; %bb.470:                              ;   in Loop: Header=BB6_138 Depth=3
	v_bfe_u32 v2, v0, 23, 1
; %bb.471:                              ;   in Loop: Header=BB6_138 Depth=3
	s_or_b64 exec, exec, s[26:27]
	v_lshrrev_b64 v[0:1], 21, v[0:1]
	v_cmp_gt_i32_e32 vcc, 32, v2
	v_cndmask_b32_e32 v1, 0, v1, vcc
	v_cndmask_b32_e32 v0, 3, v0, vcc
	v_cmp_eq_u64_e64 s[26:27], 0, v[0:1]
	v_min_i32_e32 v1, 31, v2
	v_lshlrev_b32_e32 v1, 2, v1
	v_cmp_eq_u32_e32 vcc, 0, v2
	v_and_b32_e32 v1, 0xfc, v1
	v_and_or_b32 v0, v0, 3, v1
	s_and_b64 s[26:27], vcc, s[26:27]
	v_cndmask_b32_e64 v0, v0, 0, s[26:27]
	v_or_b32_e32 v0, v0, v3
	buffer_store_dword v0, off, s[0:3], s33 offset:172 ; 4-byte Folded Spill
.LBB6_472:                              ;   in Loop: Header=BB6_138 Depth=3
	s_or_b64 exec, exec, s[34:35]
                                        ; implicit-def: $vgpr3
.LBB6_473:                              ;   in Loop: Header=BB6_138 Depth=3
	s_andn2_saveexec_b64 s[26:27], s[30:31]
	s_cbranch_execz .LBB6_475
; %bb.474:                              ;   in Loop: Header=BB6_138 Depth=3
	v_or_b32_e32 v0, 0x7b, v3
	buffer_store_dword v0, off, s[0:3], s33 offset:172 ; 4-byte Folded Spill
.LBB6_475:                              ;   in Loop: Header=BB6_138 Depth=3
	s_or_b64 exec, exec, s[26:27]
                                        ; implicit-def: $vgpr2
                                        ; implicit-def: $vgpr0_vgpr1
.LBB6_476:                              ;   in Loop: Header=BB6_138 Depth=3
	s_andn2_saveexec_b64 s[26:27], s[94:95]
	s_cbranch_execz .LBB6_482
; %bb.477:                              ;   in Loop: Header=BB6_138 Depth=3
	v_cmp_ne_u64_e32 vcc, 0, v[0:1]
                                        ; implicit-def: $vgpr0
                                        ; kill: killed $vgpr0
	s_and_saveexec_b64 s[62:63], vcc
	s_xor_b64 s[94:95], exec, s[62:63]
	s_cbranch_execz .LBB6_479
; %bb.478:                              ;   in Loop: Header=BB6_138 Depth=3
	v_or_b32_sdwa v0, v2, s44 dst_sel:DWORD dst_unused:UNUSED_PAD src0_sel:BYTE_3 src1_sel:DWORD
	buffer_store_dword v0, off, s[0:3], s33 offset:172 ; 4-byte Folded Spill
                                        ; implicit-def: $vgpr2
.LBB6_479:                              ;   in Loop: Header=BB6_138 Depth=3
	s_andn2_saveexec_b64 s[94:95], s[94:95]
	s_cbranch_execz .LBB6_481
; %bb.480:                              ;   in Loop: Header=BB6_138 Depth=3
	v_cmp_lt_i32_e32 vcc, -1, v2
	v_bfrev_b32_e32 v0, 0.5
	v_mov_b32_e32 v1, 0x7c
	v_cndmask_b32_e32 v0, v0, v1, vcc
	buffer_store_dword v0, off, s[0:3], s33 offset:172 ; 4-byte Folded Spill
.LBB6_481:                              ;   in Loop: Header=BB6_138 Depth=3
	s_or_b64 exec, exec, s[94:95]
.LBB6_482:                              ;   in Loop: Header=BB6_138 Depth=3
	s_or_b64 exec, exec, s[26:27]
	v_mov_b32_e32 v0, v11
	v_mov_b32_e32 v1, v33
	v_cmp_ne_u16_sdwa s[62:63], v11, v33 src0_sel:BYTE_0 src1_sel:DWORD
	v_mov_b32_e32 v2, 0
	s_and_saveexec_b64 s[26:27], s[62:63]
	s_cbranch_execz .LBB6_490
; %bb.483:                              ;   in Loop: Header=BB6_138 Depth=3
	v_cmp_ne_u16_sdwa s[62:63], v11, s97 src0_sel:BYTE_0 src1_sel:DWORD
	v_bfrev_b32_e32 v2, 1
	s_and_saveexec_b64 s[94:95], s[62:63]
	s_cbranch_execz .LBB6_489
; %bb.484:                              ;   in Loop: Header=BB6_138 Depth=3
	v_and_b32_e32 v2, 0x7c, v11
	v_and_b32_e32 v3, 3, v11
	v_cmp_ne_u32_e32 vcc, s86, v2
                                        ; implicit-def: $vgpr2
	s_and_saveexec_b64 s[62:63], vcc
	s_xor_b64 s[30:31], exec, s[62:63]
	s_cbranch_execz .LBB6_486
; %bb.485:                              ;   in Loop: Header=BB6_138 Depth=3
	v_ffbh_u32_e32 v2, v3
	v_min_u32_e32 v5, 32, v2
	v_subrev_u32_e32 v2, 29, v5
	v_lshlrev_b64 v[1:2], v2, v[0:1]
	v_bfe_u32 v4, v11, 2, 5
	v_and_b32_e32 v1, 3, v1
	v_cmp_eq_u32_e32 vcc, 0, v4
	v_sub_u32_e32 v2, 30, v5
	v_cndmask_b32_e32 v1, v3, v1, vcc
	v_lshlrev_b32_e32 v3, 24, v11
	v_cndmask_b32_e32 v2, v4, v2, vcc
	v_and_b32_e32 v3, 0x80000000, v3
	v_lshl_add_u32 v2, v2, 23, v3
	v_lshl_or_b32 v1, v1, 21, v2
	v_add_u32_e32 v2, 0x38000000, v1
                                        ; implicit-def: $vgpr3
.LBB6_486:                              ;   in Loop: Header=BB6_138 Depth=3
	s_andn2_saveexec_b64 s[30:31], s[30:31]
; %bb.487:                              ;   in Loop: Header=BB6_138 Depth=3
	v_mov_b32_e32 v1, -1
	v_cmp_gt_i16_sdwa vcc, sext(v11), v1 src0_sel:BYTE_0 src1_sel:DWORD
	v_mov_b32_e32 v1, 0xff800000
	v_mov_b32_e32 v2, 0x7f800000
	v_cndmask_b32_e32 v1, v1, v2, vcc
	v_cmp_eq_u32_e32 vcc, 0, v3
	v_mov_b32_e32 v2, 0x7f800001
	v_cndmask_b32_e32 v2, v2, v1, vcc
; %bb.488:                              ;   in Loop: Header=BB6_138 Depth=3
	s_or_b64 exec, exec, s[30:31]
.LBB6_489:                              ;   in Loop: Header=BB6_138 Depth=3
	s_or_b64 exec, exec, s[94:95]
.LBB6_490:                              ;   in Loop: Header=BB6_138 Depth=3
	s_or_b64 exec, exec, s[26:27]
	v_mul_f32_e32 v3, v14, v2
	v_and_b32_e32 v4, 0x7f800000, v3
	v_mov_b32_e32 v5, v33
	v_cmp_ne_u64_e32 vcc, s[76:77], v[4:5]
	v_and_b32_e32 v1, 0x7fffff, v3
	v_mov_b32_e32 v2, v33
                                        ; implicit-def: $vgpr4
                                        ; kill: killed $vgpr4
	s_and_saveexec_b64 s[26:27], vcc
	s_xor_b64 s[94:95], exec, s[26:27]
	s_cbranch_execz .LBB6_504
; %bb.491:                              ;   in Loop: Header=BB6_138 Depth=3
	v_and_b32_e32 v4, 0x7fffffff, v3
	v_mov_b32_e32 v5, v33
	v_cmp_gt_u64_e32 vcc, s[78:79], v[4:5]
	v_and_b32_sdwa v5, v3, s97 dst_sel:DWORD dst_unused:UNUSED_PAD src0_sel:BYTE_3 src1_sel:DWORD
                                        ; implicit-def: $vgpr4
                                        ; kill: killed $vgpr4
	s_and_saveexec_b64 s[26:27], vcc
	s_xor_b64 s[30:31], exec, s[26:27]
	s_cbranch_execz .LBB6_501
; %bb.492:                              ;   in Loop: Header=BB6_138 Depth=3
	v_mov_b32_e32 v4, 0
	v_cmp_ne_u32_e32 vcc, 0, v3
	buffer_store_dword v4, off, s[0:3], s33 offset:180 ; 4-byte Folded Spill
	s_and_saveexec_b64 s[34:35], vcc
	s_cbranch_execz .LBB6_500
; %bb.493:                              ;   in Loop: Header=BB6_138 Depth=3
	v_bfe_u32 v6, v3, 23, 8
	v_cmp_gt_u32_e64 s[26:27], s47, v6
	v_sub_u32_e32 v3, 0x71, v6
	v_cmp_eq_u32_e32 vcc, 0, v6
	v_cndmask_b32_e64 v3, 0, v3, s[26:27]
	v_mov_b32_e32 v7, 0x70
	v_cndmask_b32_e32 v7, v3, v7, vcc
	v_or_b32_e32 v4, 0x800000, v1
	v_add_u32_e32 v3, 21, v7
	v_cndmask_b32_e32 v1, v4, v1, vcc
	v_lshlrev_b64 v[3:4], v3, -1
	v_add_u32_e32 v8, 20, v7
	v_bfi_b32 v3, v3, 0, v1
	v_lshlrev_b64 v[8:9], v8, 1
	v_lshrrev_b64 v[1:2], v7, v[1:2]
	v_bfi_b32 v4, v4, 0, 0
	v_cmp_eq_u64_e64 s[26:27], v[3:4], v[8:9]
	v_mov_b32_e32 v3, v2
	v_mov_b32_e32 v2, v1
	s_and_saveexec_b64 s[36:37], s[26:27]
; %bb.494:                              ;   in Loop: Header=BB6_138 Depth=3
	v_bfe_u32 v2, v1, 21, 1
	v_add_co_u32_e64 v2, s[26:27], v1, v2
	v_add_co_u32_e64 v2, s[26:27], -1, v2
; %bb.495:                              ;   in Loop: Header=BB6_138 Depth=3
	s_or_b64 exec, exec, s[36:37]
	v_add_u32_e32 v3, 0xffffff81, v6
	v_mov_b32_e32 v4, 0xffffff82
	v_cndmask_b32_e32 v3, v3, v4, vcc
	v_lshrrev_b32_e32 v4, 23, v1
	v_add3_u32 v7, v7, v3, v4
	v_add_u32_e32 v6, 14, v7
	v_and_b32_e32 v2, 0x1fffff, v2
	v_add_u32_e32 v1, v2, v1
	v_mov_b32_e32 v2, v33
	v_cmp_ne_u32_e32 vcc, 0, v6
                                        ; implicit-def: $vgpr3
	s_and_saveexec_b64 s[26:27], vcc
	s_xor_b64 s[26:27], exec, s[26:27]
; %bb.496:                              ;   in Loop: Header=BB6_138 Depth=3
	v_cmp_lt_u64_e32 vcc, s[88:89], v[1:2]
	v_add_u32_e32 v3, 15, v7
	v_cndmask_b32_e64 v4, 0, 1, vcc
	v_cndmask_b32_e32 v3, v6, v3, vcc
	v_lshrrev_b64 v[1:2], v4, v[1:2]
; %bb.497:                              ;   in Loop: Header=BB6_138 Depth=3
	s_andn2_saveexec_b64 s[26:27], s[26:27]
; %bb.498:                              ;   in Loop: Header=BB6_138 Depth=3
	v_bfe_u32 v3, v1, 23, 1
; %bb.499:                              ;   in Loop: Header=BB6_138 Depth=3
	s_or_b64 exec, exec, s[26:27]
	v_lshrrev_b64 v[1:2], 21, v[1:2]
	v_cmp_gt_i32_e32 vcc, 32, v3
	v_cndmask_b32_e32 v2, 0, v2, vcc
	v_cndmask_b32_e32 v1, 3, v1, vcc
	v_cmp_eq_u64_e64 s[26:27], 0, v[1:2]
	v_min_i32_e32 v2, 31, v3
	v_lshlrev_b32_e32 v2, 2, v2
	v_cmp_eq_u32_e32 vcc, 0, v3
	v_and_b32_e32 v2, 0xfc, v2
	v_and_or_b32 v1, v1, 3, v2
	s_and_b64 s[26:27], vcc, s[26:27]
	v_cndmask_b32_e64 v1, v1, 0, s[26:27]
	v_or_b32_e32 v1, v1, v5
	buffer_store_dword v1, off, s[0:3], s33 offset:180 ; 4-byte Folded Spill
.LBB6_500:                              ;   in Loop: Header=BB6_138 Depth=3
	s_or_b64 exec, exec, s[34:35]
                                        ; implicit-def: $vgpr5
.LBB6_501:                              ;   in Loop: Header=BB6_138 Depth=3
	s_andn2_saveexec_b64 s[26:27], s[30:31]
	s_cbranch_execz .LBB6_503
; %bb.502:                              ;   in Loop: Header=BB6_138 Depth=3
	v_or_b32_e32 v1, 0x7b, v5
	buffer_store_dword v1, off, s[0:3], s33 offset:180 ; 4-byte Folded Spill
.LBB6_503:                              ;   in Loop: Header=BB6_138 Depth=3
	s_or_b64 exec, exec, s[26:27]
                                        ; implicit-def: $vgpr3
                                        ; implicit-def: $vgpr1_vgpr2
.LBB6_504:                              ;   in Loop: Header=BB6_138 Depth=3
	s_andn2_saveexec_b64 s[26:27], s[94:95]
	s_cbranch_execz .LBB6_510
; %bb.505:                              ;   in Loop: Header=BB6_138 Depth=3
	v_cmp_ne_u64_e32 vcc, 0, v[1:2]
                                        ; implicit-def: $vgpr1
                                        ; kill: killed $vgpr1
	s_and_saveexec_b64 s[62:63], vcc
	s_xor_b64 s[94:95], exec, s[62:63]
	s_cbranch_execz .LBB6_507
; %bb.506:                              ;   in Loop: Header=BB6_138 Depth=3
	v_or_b32_sdwa v1, v3, s44 dst_sel:DWORD dst_unused:UNUSED_PAD src0_sel:BYTE_3 src1_sel:DWORD
	buffer_store_dword v1, off, s[0:3], s33 offset:180 ; 4-byte Folded Spill
                                        ; implicit-def: $vgpr3
.LBB6_507:                              ;   in Loop: Header=BB6_138 Depth=3
	s_andn2_saveexec_b64 s[94:95], s[94:95]
	s_cbranch_execz .LBB6_509
; %bb.508:                              ;   in Loop: Header=BB6_138 Depth=3
	v_cmp_lt_i32_e32 vcc, -1, v3
	v_bfrev_b32_e32 v1, 0.5
	v_mov_b32_e32 v2, 0x7c
	v_cndmask_b32_e32 v1, v1, v2, vcc
	buffer_store_dword v1, off, s[0:3], s33 offset:180 ; 4-byte Folded Spill
.LBB6_509:                              ;   in Loop: Header=BB6_138 Depth=3
	s_or_b64 exec, exec, s[94:95]
.LBB6_510:                              ;   in Loop: Header=BB6_138 Depth=3
	s_or_b64 exec, exec, s[26:27]
	v_lshrrev_b16_e32 v1, 8, v0
	v_cmp_ne_u16_e32 vcc, 0, v1
	v_mov_b32_e32 v2, 0
	s_and_saveexec_b64 s[26:27], vcc
	s_cbranch_execz .LBB6_518
; %bb.511:                              ;   in Loop: Header=BB6_138 Depth=3
	v_cmp_ne_u16_e32 vcc, s97, v1
	v_bfrev_b32_e32 v2, 1
	s_and_saveexec_b64 s[94:95], vcc
	s_cbranch_execz .LBB6_517
; %bb.512:                              ;   in Loop: Header=BB6_138 Depth=3
	v_and_b32_e32 v2, 0x7c, v1
	v_and_b32_e32 v3, 3, v1
	v_cmp_ne_u32_e32 vcc, s86, v2
                                        ; implicit-def: $vgpr2
	s_and_saveexec_b64 s[62:63], vcc
	s_xor_b64 s[30:31], exec, s[62:63]
	s_cbranch_execz .LBB6_514
; %bb.513:                              ;   in Loop: Header=BB6_138 Depth=3
	v_ffbh_u32_e32 v5, v3
	v_min_u32_e32 v5, 32, v5
	v_mov_b32_e32 v2, v33
	v_subrev_u32_e32 v6, 29, v5
	v_bfe_u32 v4, v1, 2, 5
	v_lshlrev_b64 v[1:2], v6, v[1:2]
	v_sub_u32_e32 v2, 30, v5
	v_cmp_eq_u32_e32 vcc, 0, v4
	v_lshlrev_b32_e32 v0, 16, v0
	v_and_b32_e32 v1, 3, v1
	v_cndmask_b32_e32 v2, v4, v2, vcc
	v_and_b32_e32 v0, 0x80000000, v0
	v_cndmask_b32_e32 v1, v3, v1, vcc
	v_lshl_add_u32 v0, v2, 23, v0
	v_lshl_or_b32 v0, v1, 21, v0
	v_add_u32_e32 v2, 0x38000000, v0
                                        ; implicit-def: $vgpr3
                                        ; implicit-def: $vgpr0_vgpr1
.LBB6_514:                              ;   in Loop: Header=BB6_138 Depth=3
	s_andn2_saveexec_b64 s[30:31], s[30:31]
; %bb.515:                              ;   in Loop: Header=BB6_138 Depth=3
	v_cmp_lt_i16_e32 vcc, -1, v0
	v_mov_b32_e32 v0, 0xff800000
	v_mov_b32_e32 v1, 0x7f800000
	v_cndmask_b32_e32 v0, v0, v1, vcc
	v_cmp_eq_u32_e32 vcc, 0, v3
	v_mov_b32_e32 v1, 0x7f800001
	v_cndmask_b32_e32 v2, v1, v0, vcc
; %bb.516:                              ;   in Loop: Header=BB6_138 Depth=3
	s_or_b64 exec, exec, s[30:31]
.LBB6_517:                              ;   in Loop: Header=BB6_138 Depth=3
	s_or_b64 exec, exec, s[94:95]
.LBB6_518:                              ;   in Loop: Header=BB6_138 Depth=3
	s_or_b64 exec, exec, s[26:27]
	v_mul_f32_e32 v2, v14, v2
	v_and_b32_e32 v3, 0x7f800000, v2
	v_mov_b32_e32 v4, v33
	v_cmp_ne_u64_e32 vcc, s[76:77], v[3:4]
	v_and_b32_e32 v0, 0x7fffff, v2
	v_mov_b32_e32 v1, v33
                                        ; implicit-def: $vgpr3
                                        ; kill: killed $vgpr3
	s_and_saveexec_b64 s[26:27], vcc
	s_xor_b64 s[94:95], exec, s[26:27]
	s_cbranch_execz .LBB6_532
; %bb.519:                              ;   in Loop: Header=BB6_138 Depth=3
	v_and_b32_e32 v3, 0x7fffffff, v2
	v_mov_b32_e32 v4, v33
	v_cmp_gt_u64_e32 vcc, s[78:79], v[3:4]
	v_and_b32_sdwa v3, v2, s97 dst_sel:DWORD dst_unused:UNUSED_PAD src0_sel:BYTE_3 src1_sel:DWORD
                                        ; implicit-def: $vgpr4
                                        ; kill: killed $vgpr4
	s_and_saveexec_b64 s[26:27], vcc
	s_xor_b64 s[30:31], exec, s[26:27]
	s_cbranch_execz .LBB6_529
; %bb.520:                              ;   in Loop: Header=BB6_138 Depth=3
	v_mov_b32_e32 v4, 0
	v_cmp_ne_u32_e32 vcc, 0, v2
	buffer_store_dword v4, off, s[0:3], s33 offset:188 ; 4-byte Folded Spill
	s_and_saveexec_b64 s[34:35], vcc
	s_cbranch_execz .LBB6_528
; %bb.521:                              ;   in Loop: Header=BB6_138 Depth=3
	v_bfe_u32 v5, v2, 23, 8
	v_cmp_gt_u32_e64 s[26:27], s47, v5
	v_sub_u32_e32 v2, 0x71, v5
	v_cmp_eq_u32_e32 vcc, 0, v5
	v_cndmask_b32_e64 v2, 0, v2, s[26:27]
	v_mov_b32_e32 v6, 0x70
	v_cndmask_b32_e32 v6, v2, v6, vcc
	v_add_u32_e32 v2, 21, v6
	v_or_b32_e32 v4, 0x800000, v0
	v_lshlrev_b64 v[7:8], v2, -1
	v_cndmask_b32_e32 v0, v4, v0, vcc
	v_add_u32_e32 v2, 20, v6
	v_bfi_b32 v7, v7, 0, v0
	v_lshlrev_b64 v[15:16], v2, 1
	v_lshrrev_b64 v[0:1], v6, v[0:1]
	v_bfi_b32 v8, v8, 0, 0
	v_cmp_eq_u64_e64 s[26:27], v[7:8], v[15:16]
	v_mov_b32_e32 v2, v1
	v_mov_b32_e32 v1, v0
	s_and_saveexec_b64 s[36:37], s[26:27]
; %bb.522:                              ;   in Loop: Header=BB6_138 Depth=3
	v_bfe_u32 v1, v0, 21, 1
	v_add_co_u32_e64 v1, s[26:27], v0, v1
	v_add_co_u32_e64 v1, s[26:27], -1, v1
; %bb.523:                              ;   in Loop: Header=BB6_138 Depth=3
	s_or_b64 exec, exec, s[36:37]
	v_add_u32_e32 v2, 0xffffff81, v5
	v_mov_b32_e32 v4, 0xffffff82
	v_cndmask_b32_e32 v2, v2, v4, vcc
	v_lshrrev_b32_e32 v4, 23, v0
	v_add3_u32 v6, v6, v2, v4
	v_add_u32_e32 v5, 14, v6
	v_and_b32_e32 v1, 0x1fffff, v1
	v_add_u32_e32 v0, v1, v0
	v_mov_b32_e32 v1, v33
	v_cmp_ne_u32_e32 vcc, 0, v5
                                        ; implicit-def: $vgpr2
	s_and_saveexec_b64 s[26:27], vcc
	s_xor_b64 s[26:27], exec, s[26:27]
; %bb.524:                              ;   in Loop: Header=BB6_138 Depth=3
	v_cmp_lt_u64_e32 vcc, s[88:89], v[0:1]
	v_add_u32_e32 v2, 15, v6
	v_cndmask_b32_e64 v4, 0, 1, vcc
	v_cndmask_b32_e32 v2, v5, v2, vcc
	v_lshrrev_b64 v[0:1], v4, v[0:1]
; %bb.525:                              ;   in Loop: Header=BB6_138 Depth=3
	s_andn2_saveexec_b64 s[26:27], s[26:27]
; %bb.526:                              ;   in Loop: Header=BB6_138 Depth=3
	v_bfe_u32 v2, v0, 23, 1
; %bb.527:                              ;   in Loop: Header=BB6_138 Depth=3
	s_or_b64 exec, exec, s[26:27]
	v_lshrrev_b64 v[0:1], 21, v[0:1]
	v_cmp_gt_i32_e32 vcc, 32, v2
	v_cndmask_b32_e32 v1, 0, v1, vcc
	v_cndmask_b32_e32 v0, 3, v0, vcc
	v_cmp_eq_u64_e64 s[26:27], 0, v[0:1]
	v_min_i32_e32 v1, 31, v2
	v_lshlrev_b32_e32 v1, 2, v1
	v_cmp_eq_u32_e32 vcc, 0, v2
	v_and_b32_e32 v1, 0xfc, v1
	v_and_or_b32 v0, v0, 3, v1
	s_and_b64 s[26:27], vcc, s[26:27]
	v_cndmask_b32_e64 v0, v0, 0, s[26:27]
	v_or_b32_e32 v0, v0, v3
	buffer_store_dword v0, off, s[0:3], s33 offset:188 ; 4-byte Folded Spill
.LBB6_528:                              ;   in Loop: Header=BB6_138 Depth=3
	s_or_b64 exec, exec, s[34:35]
                                        ; implicit-def: $vgpr3
.LBB6_529:                              ;   in Loop: Header=BB6_138 Depth=3
	s_andn2_saveexec_b64 s[26:27], s[30:31]
	s_cbranch_execz .LBB6_531
; %bb.530:                              ;   in Loop: Header=BB6_138 Depth=3
	v_or_b32_e32 v0, 0x7b, v3
	buffer_store_dword v0, off, s[0:3], s33 offset:188 ; 4-byte Folded Spill
.LBB6_531:                              ;   in Loop: Header=BB6_138 Depth=3
	s_or_b64 exec, exec, s[26:27]
                                        ; implicit-def: $vgpr2
                                        ; implicit-def: $vgpr0_vgpr1
.LBB6_532:                              ;   in Loop: Header=BB6_138 Depth=3
	s_andn2_saveexec_b64 s[26:27], s[94:95]
	s_cbranch_execz .LBB6_538
; %bb.533:                              ;   in Loop: Header=BB6_138 Depth=3
	v_cmp_ne_u64_e32 vcc, 0, v[0:1]
                                        ; implicit-def: $vgpr0
                                        ; kill: killed $vgpr0
	s_and_saveexec_b64 s[62:63], vcc
	s_xor_b64 s[94:95], exec, s[62:63]
	s_cbranch_execz .LBB6_535
; %bb.534:                              ;   in Loop: Header=BB6_138 Depth=3
	v_or_b32_sdwa v0, v2, s44 dst_sel:DWORD dst_unused:UNUSED_PAD src0_sel:BYTE_3 src1_sel:DWORD
	buffer_store_dword v0, off, s[0:3], s33 offset:188 ; 4-byte Folded Spill
                                        ; implicit-def: $vgpr2
.LBB6_535:                              ;   in Loop: Header=BB6_138 Depth=3
	s_andn2_saveexec_b64 s[94:95], s[94:95]
	s_cbranch_execz .LBB6_537
; %bb.536:                              ;   in Loop: Header=BB6_138 Depth=3
	v_cmp_lt_i32_e32 vcc, -1, v2
	v_bfrev_b32_e32 v0, 0.5
	v_mov_b32_e32 v1, 0x7c
	v_cndmask_b32_e32 v0, v0, v1, vcc
	buffer_store_dword v0, off, s[0:3], s33 offset:188 ; 4-byte Folded Spill
.LBB6_537:                              ;   in Loop: Header=BB6_138 Depth=3
	s_or_b64 exec, exec, s[94:95]
.LBB6_538:                              ;   in Loop: Header=BB6_138 Depth=3
	s_or_b64 exec, exec, s[26:27]
	v_lshrrev_b32_e32 v0, 16, v11
	v_cmp_ne_u16_sdwa s[62:63], v0, v33 src0_sel:BYTE_0 src1_sel:DWORD
	v_mov_b32_e32 v1, 0
	s_and_saveexec_b64 s[26:27], s[62:63]
	s_cbranch_execz .LBB6_546
; %bb.539:                              ;   in Loop: Header=BB6_138 Depth=3
	v_cmp_ne_u16_sdwa s[62:63], v0, s97 src0_sel:BYTE_0 src1_sel:DWORD
	v_bfrev_b32_e32 v1, 1
	s_and_saveexec_b64 s[94:95], s[62:63]
	s_cbranch_execz .LBB6_545
; %bb.540:                              ;   in Loop: Header=BB6_138 Depth=3
	v_and_b32_e32 v1, 0x7c0000, v11
	v_bfe_u32 v2, v11, 16, 2
	v_cmp_ne_u32_e32 vcc, s45, v1
                                        ; implicit-def: $vgpr1
	s_and_saveexec_b64 s[62:63], vcc
	s_xor_b64 s[30:31], exec, s[62:63]
	s_cbranch_execz .LBB6_542
; %bb.541:                              ;   in Loop: Header=BB6_138 Depth=3
	v_ffbh_u32_e32 v1, v2
	v_min_u32_e32 v4, 32, v1
	v_subrev_u32_e32 v1, 29, v4
	v_lshlrev_b64 v[0:1], v1, v[0:1]
	v_bfe_u32 v3, v11, 18, 5
	v_and_b32_e32 v0, 3, v0
	v_cmp_eq_u32_e32 vcc, 0, v3
	v_sub_u32_e32 v1, 30, v4
	v_cndmask_b32_e32 v0, v2, v0, vcc
	v_lshlrev_b32_e32 v2, 8, v11
	v_cndmask_b32_e32 v1, v3, v1, vcc
	v_and_b32_e32 v2, 0x80000000, v2
	v_lshl_add_u32 v1, v1, 23, v2
	v_lshl_or_b32 v0, v0, 21, v1
	v_add_u32_e32 v1, 0x38000000, v0
                                        ; implicit-def: $vgpr2
                                        ; implicit-def: $vgpr0
.LBB6_542:                              ;   in Loop: Header=BB6_138 Depth=3
	s_andn2_saveexec_b64 s[30:31], s[30:31]
; %bb.543:                              ;   in Loop: Header=BB6_138 Depth=3
	v_mov_b32_e32 v1, -1
	v_cmp_gt_i16_sdwa vcc, sext(v0), v1 src0_sel:BYTE_0 src1_sel:DWORD
	v_mov_b32_e32 v0, 0xff800000
	v_mov_b32_e32 v1, 0x7f800000
	v_cndmask_b32_e32 v0, v0, v1, vcc
	v_cmp_eq_u32_e32 vcc, 0, v2
	v_mov_b32_e32 v1, 0x7f800001
	v_cndmask_b32_e32 v1, v1, v0, vcc
; %bb.544:                              ;   in Loop: Header=BB6_138 Depth=3
	s_or_b64 exec, exec, s[30:31]
.LBB6_545:                              ;   in Loop: Header=BB6_138 Depth=3
	s_or_b64 exec, exec, s[94:95]
.LBB6_546:                              ;   in Loop: Header=BB6_138 Depth=3
	s_or_b64 exec, exec, s[26:27]
	v_mul_f32_e32 v2, v14, v1
	v_and_b32_e32 v3, 0x7f800000, v2
	v_mov_b32_e32 v4, v33
	v_cmp_ne_u64_e32 vcc, s[76:77], v[3:4]
	v_and_b32_e32 v0, 0x7fffff, v2
	v_mov_b32_e32 v1, v33
                                        ; implicit-def: $vgpr3
                                        ; kill: killed $vgpr3
	s_and_saveexec_b64 s[26:27], vcc
	s_xor_b64 s[94:95], exec, s[26:27]
	s_cbranch_execz .LBB6_560
; %bb.547:                              ;   in Loop: Header=BB6_138 Depth=3
	v_and_b32_e32 v3, 0x7fffffff, v2
	v_mov_b32_e32 v4, v33
	v_cmp_gt_u64_e32 vcc, s[78:79], v[3:4]
	v_and_b32_sdwa v3, v2, s97 dst_sel:DWORD dst_unused:UNUSED_PAD src0_sel:BYTE_3 src1_sel:DWORD
                                        ; implicit-def: $vgpr4
                                        ; kill: killed $vgpr4
	s_and_saveexec_b64 s[26:27], vcc
	s_xor_b64 s[30:31], exec, s[26:27]
	s_cbranch_execz .LBB6_557
; %bb.548:                              ;   in Loop: Header=BB6_138 Depth=3
	v_mov_b32_e32 v4, 0
	v_cmp_ne_u32_e32 vcc, 0, v2
	buffer_store_dword v4, off, s[0:3], s33 offset:196 ; 4-byte Folded Spill
	s_and_saveexec_b64 s[34:35], vcc
	s_cbranch_execz .LBB6_556
; %bb.549:                              ;   in Loop: Header=BB6_138 Depth=3
	v_bfe_u32 v5, v2, 23, 8
	v_cmp_gt_u32_e64 s[26:27], s47, v5
	v_sub_u32_e32 v2, 0x71, v5
	v_cmp_eq_u32_e32 vcc, 0, v5
	v_cndmask_b32_e64 v2, 0, v2, s[26:27]
	v_mov_b32_e32 v6, 0x70
	v_cndmask_b32_e32 v6, v2, v6, vcc
	v_add_u32_e32 v2, 21, v6
	v_or_b32_e32 v4, 0x800000, v0
	v_lshlrev_b64 v[7:8], v2, -1
	v_cndmask_b32_e32 v0, v4, v0, vcc
	v_add_u32_e32 v2, 20, v6
	v_bfi_b32 v7, v7, 0, v0
	v_lshlrev_b64 v[15:16], v2, 1
	v_lshrrev_b64 v[0:1], v6, v[0:1]
	v_bfi_b32 v8, v8, 0, 0
	v_cmp_eq_u64_e64 s[26:27], v[7:8], v[15:16]
	v_mov_b32_e32 v2, v1
	v_mov_b32_e32 v1, v0
	s_and_saveexec_b64 s[36:37], s[26:27]
; %bb.550:                              ;   in Loop: Header=BB6_138 Depth=3
	v_bfe_u32 v1, v0, 21, 1
	v_add_co_u32_e64 v1, s[26:27], v0, v1
	v_add_co_u32_e64 v1, s[26:27], -1, v1
; %bb.551:                              ;   in Loop: Header=BB6_138 Depth=3
	s_or_b64 exec, exec, s[36:37]
	v_add_u32_e32 v2, 0xffffff81, v5
	v_mov_b32_e32 v4, 0xffffff82
	v_cndmask_b32_e32 v2, v2, v4, vcc
	v_lshrrev_b32_e32 v4, 23, v0
	v_add3_u32 v6, v6, v2, v4
	v_add_u32_e32 v5, 14, v6
	v_and_b32_e32 v1, 0x1fffff, v1
	v_add_u32_e32 v0, v1, v0
	v_mov_b32_e32 v1, v33
	v_cmp_ne_u32_e32 vcc, 0, v5
                                        ; implicit-def: $vgpr2
	s_and_saveexec_b64 s[26:27], vcc
	s_xor_b64 s[26:27], exec, s[26:27]
; %bb.552:                              ;   in Loop: Header=BB6_138 Depth=3
	v_cmp_lt_u64_e32 vcc, s[88:89], v[0:1]
	v_add_u32_e32 v2, 15, v6
	v_cndmask_b32_e64 v4, 0, 1, vcc
	v_cndmask_b32_e32 v2, v5, v2, vcc
	v_lshrrev_b64 v[0:1], v4, v[0:1]
; %bb.553:                              ;   in Loop: Header=BB6_138 Depth=3
	s_andn2_saveexec_b64 s[26:27], s[26:27]
; %bb.554:                              ;   in Loop: Header=BB6_138 Depth=3
	v_bfe_u32 v2, v0, 23, 1
; %bb.555:                              ;   in Loop: Header=BB6_138 Depth=3
	s_or_b64 exec, exec, s[26:27]
	v_lshrrev_b64 v[0:1], 21, v[0:1]
	v_cmp_gt_i32_e32 vcc, 32, v2
	v_cndmask_b32_e32 v1, 0, v1, vcc
	v_cndmask_b32_e32 v0, 3, v0, vcc
	v_cmp_eq_u64_e64 s[26:27], 0, v[0:1]
	v_min_i32_e32 v1, 31, v2
	v_lshlrev_b32_e32 v1, 2, v1
	v_cmp_eq_u32_e32 vcc, 0, v2
	v_and_b32_e32 v1, 0xfc, v1
	v_and_or_b32 v0, v0, 3, v1
	s_and_b64 s[26:27], vcc, s[26:27]
	v_cndmask_b32_e64 v0, v0, 0, s[26:27]
	v_or_b32_e32 v0, v0, v3
	buffer_store_dword v0, off, s[0:3], s33 offset:196 ; 4-byte Folded Spill
.LBB6_556:                              ;   in Loop: Header=BB6_138 Depth=3
	s_or_b64 exec, exec, s[34:35]
                                        ; implicit-def: $vgpr3
.LBB6_557:                              ;   in Loop: Header=BB6_138 Depth=3
	s_andn2_saveexec_b64 s[26:27], s[30:31]
	s_cbranch_execz .LBB6_559
; %bb.558:                              ;   in Loop: Header=BB6_138 Depth=3
	v_or_b32_e32 v0, 0x7b, v3
	buffer_store_dword v0, off, s[0:3], s33 offset:196 ; 4-byte Folded Spill
.LBB6_559:                              ;   in Loop: Header=BB6_138 Depth=3
	s_or_b64 exec, exec, s[26:27]
                                        ; implicit-def: $vgpr2
                                        ; implicit-def: $vgpr0_vgpr1
.LBB6_560:                              ;   in Loop: Header=BB6_138 Depth=3
	s_andn2_saveexec_b64 s[26:27], s[94:95]
	s_cbranch_execz .LBB6_566
; %bb.561:                              ;   in Loop: Header=BB6_138 Depth=3
	v_cmp_ne_u64_e32 vcc, 0, v[0:1]
                                        ; implicit-def: $vgpr0
                                        ; kill: killed $vgpr0
	s_and_saveexec_b64 s[62:63], vcc
	s_xor_b64 s[94:95], exec, s[62:63]
	s_cbranch_execz .LBB6_563
; %bb.562:                              ;   in Loop: Header=BB6_138 Depth=3
	v_or_b32_sdwa v0, v2, s44 dst_sel:DWORD dst_unused:UNUSED_PAD src0_sel:BYTE_3 src1_sel:DWORD
	buffer_store_dword v0, off, s[0:3], s33 offset:196 ; 4-byte Folded Spill
                                        ; implicit-def: $vgpr2
.LBB6_563:                              ;   in Loop: Header=BB6_138 Depth=3
	s_andn2_saveexec_b64 s[94:95], s[94:95]
	s_cbranch_execz .LBB6_565
; %bb.564:                              ;   in Loop: Header=BB6_138 Depth=3
	v_cmp_lt_i32_e32 vcc, -1, v2
	v_bfrev_b32_e32 v0, 0.5
	v_mov_b32_e32 v1, 0x7c
	v_cndmask_b32_e32 v0, v0, v1, vcc
	buffer_store_dword v0, off, s[0:3], s33 offset:196 ; 4-byte Folded Spill
.LBB6_565:                              ;   in Loop: Header=BB6_138 Depth=3
	s_or_b64 exec, exec, s[94:95]
.LBB6_566:                              ;   in Loop: Header=BB6_138 Depth=3
	s_or_b64 exec, exec, s[26:27]
	v_cmp_lt_u64_e32 vcc, s[56:57], v[10:11]
	v_mov_b32_e32 v1, 0
	s_and_saveexec_b64 s[26:27], vcc
	s_cbranch_execz .LBB6_574
; %bb.567:                              ;   in Loop: Header=BB6_138 Depth=3
	v_lshrrev_b32_e32 v0, 24, v11
	v_cmp_ne_u32_e32 vcc, s97, v0
	v_bfrev_b32_e32 v1, 1
	s_and_saveexec_b64 s[94:95], vcc
	s_cbranch_execz .LBB6_573
; %bb.568:                              ;   in Loop: Header=BB6_138 Depth=3
	v_and_b32_e32 v1, 0x7c000000, v11
	v_bfe_u32 v2, v11, 24, 2
	v_cmp_ne_u32_e32 vcc, s68, v1
                                        ; implicit-def: $vgpr1
	s_and_saveexec_b64 s[62:63], vcc
	s_xor_b64 s[30:31], exec, s[62:63]
	s_cbranch_execz .LBB6_570
; %bb.569:                              ;   in Loop: Header=BB6_138 Depth=3
	v_ffbh_u32_e32 v1, v2
	v_min_u32_e32 v4, 32, v1
	v_subrev_u32_e32 v1, 29, v4
	v_lshlrev_b64 v[0:1], v1, v[0:1]
	v_bfe_u32 v3, v11, 26, 5
	v_sub_u32_e32 v1, 30, v4
	v_and_b32_e32 v0, 3, v0
	v_cmp_eq_u32_e32 vcc, 0, v3
	v_cndmask_b32_e32 v1, v3, v1, vcc
	v_cndmask_b32_e32 v0, v2, v0, vcc
	v_and_b32_e32 v2, 0x80000000, v11
	v_lshl_add_u32 v1, v1, 23, v2
	v_lshl_or_b32 v0, v0, 21, v1
	v_add_u32_e32 v1, 0x38000000, v0
                                        ; implicit-def: $vgpr2
                                        ; implicit-def: $vgpr10_vgpr11
.LBB6_570:                              ;   in Loop: Header=BB6_138 Depth=3
	s_andn2_saveexec_b64 s[30:31], s[30:31]
; %bb.571:                              ;   in Loop: Header=BB6_138 Depth=3
	v_cmp_lt_i64_e32 vcc, -1, v[10:11]
	v_mov_b32_e32 v0, 0xff800000
	v_mov_b32_e32 v1, 0x7f800000
	v_cndmask_b32_e32 v0, v0, v1, vcc
	v_cmp_eq_u32_e32 vcc, 0, v2
	v_mov_b32_e32 v1, 0x7f800001
	v_cndmask_b32_e32 v1, v1, v0, vcc
; %bb.572:                              ;   in Loop: Header=BB6_138 Depth=3
	s_or_b64 exec, exec, s[30:31]
.LBB6_573:                              ;   in Loop: Header=BB6_138 Depth=3
	s_or_b64 exec, exec, s[94:95]
.LBB6_574:                              ;   in Loop: Header=BB6_138 Depth=3
	s_or_b64 exec, exec, s[26:27]
	v_mul_f32_e32 v2, v14, v1
	v_and_b32_e32 v3, 0x7f800000, v2
	v_mov_b32_e32 v4, v33
	v_cmp_ne_u64_e32 vcc, s[76:77], v[3:4]
	v_and_b32_e32 v0, 0x7fffff, v2
	v_mov_b32_e32 v1, v33
                                        ; implicit-def: $vgpr3
                                        ; kill: killed $vgpr3
	s_and_saveexec_b64 s[26:27], vcc
	s_xor_b64 s[94:95], exec, s[26:27]
	s_cbranch_execz .LBB6_588
; %bb.575:                              ;   in Loop: Header=BB6_138 Depth=3
	v_and_b32_e32 v3, 0x7fffffff, v2
	v_mov_b32_e32 v4, v33
	v_cmp_gt_u64_e32 vcc, s[78:79], v[3:4]
	v_and_b32_sdwa v3, v2, s97 dst_sel:DWORD dst_unused:UNUSED_PAD src0_sel:BYTE_3 src1_sel:DWORD
                                        ; implicit-def: $vgpr4
                                        ; kill: killed $vgpr4
	s_and_saveexec_b64 s[26:27], vcc
	s_xor_b64 s[30:31], exec, s[26:27]
	s_cbranch_execz .LBB6_585
; %bb.576:                              ;   in Loop: Header=BB6_138 Depth=3
	v_mov_b32_e32 v4, 0
	v_cmp_ne_u32_e32 vcc, 0, v2
	buffer_store_dword v4, off, s[0:3], s33 offset:204 ; 4-byte Folded Spill
	s_and_saveexec_b64 s[34:35], vcc
	s_cbranch_execz .LBB6_584
; %bb.577:                              ;   in Loop: Header=BB6_138 Depth=3
	v_bfe_u32 v5, v2, 23, 8
	v_cmp_gt_u32_e64 s[26:27], s47, v5
	v_sub_u32_e32 v2, 0x71, v5
	v_cmp_eq_u32_e32 vcc, 0, v5
	v_cndmask_b32_e64 v2, 0, v2, s[26:27]
	v_mov_b32_e32 v6, 0x70
	v_cndmask_b32_e32 v6, v2, v6, vcc
	v_add_u32_e32 v2, 21, v6
	v_or_b32_e32 v4, 0x800000, v0
	v_lshlrev_b64 v[7:8], v2, -1
	v_cndmask_b32_e32 v0, v4, v0, vcc
	v_add_u32_e32 v2, 20, v6
	v_bfi_b32 v7, v7, 0, v0
	v_lshlrev_b64 v[9:10], v2, 1
	v_lshrrev_b64 v[0:1], v6, v[0:1]
	v_bfi_b32 v8, v8, 0, 0
	v_cmp_eq_u64_e64 s[26:27], v[7:8], v[9:10]
	v_mov_b32_e32 v2, v1
	v_mov_b32_e32 v1, v0
	s_and_saveexec_b64 s[36:37], s[26:27]
; %bb.578:                              ;   in Loop: Header=BB6_138 Depth=3
	v_bfe_u32 v1, v0, 21, 1
	v_add_co_u32_e64 v1, s[26:27], v0, v1
	v_add_co_u32_e64 v1, s[26:27], -1, v1
; %bb.579:                              ;   in Loop: Header=BB6_138 Depth=3
	s_or_b64 exec, exec, s[36:37]
	v_add_u32_e32 v2, 0xffffff81, v5
	v_mov_b32_e32 v4, 0xffffff82
	v_cndmask_b32_e32 v2, v2, v4, vcc
	v_lshrrev_b32_e32 v4, 23, v0
	v_add3_u32 v6, v6, v2, v4
	v_add_u32_e32 v5, 14, v6
	v_and_b32_e32 v1, 0x1fffff, v1
	v_add_u32_e32 v0, v1, v0
	v_mov_b32_e32 v1, v33
	v_cmp_ne_u32_e32 vcc, 0, v5
                                        ; implicit-def: $vgpr2
	s_and_saveexec_b64 s[26:27], vcc
	s_xor_b64 s[26:27], exec, s[26:27]
; %bb.580:                              ;   in Loop: Header=BB6_138 Depth=3
	v_cmp_lt_u64_e32 vcc, s[88:89], v[0:1]
	v_add_u32_e32 v2, 15, v6
	v_cndmask_b32_e64 v4, 0, 1, vcc
	v_cndmask_b32_e32 v2, v5, v2, vcc
	v_lshrrev_b64 v[0:1], v4, v[0:1]
; %bb.581:                              ;   in Loop: Header=BB6_138 Depth=3
	s_andn2_saveexec_b64 s[26:27], s[26:27]
; %bb.582:                              ;   in Loop: Header=BB6_138 Depth=3
	v_bfe_u32 v2, v0, 23, 1
; %bb.583:                              ;   in Loop: Header=BB6_138 Depth=3
	s_or_b64 exec, exec, s[26:27]
	v_lshrrev_b64 v[0:1], 21, v[0:1]
	v_cmp_gt_i32_e32 vcc, 32, v2
	v_cndmask_b32_e32 v1, 0, v1, vcc
	v_cndmask_b32_e32 v0, 3, v0, vcc
	v_cmp_eq_u64_e64 s[26:27], 0, v[0:1]
	v_min_i32_e32 v1, 31, v2
	v_lshlrev_b32_e32 v1, 2, v1
	v_cmp_eq_u32_e32 vcc, 0, v2
	v_and_b32_e32 v1, 0xfc, v1
	v_and_or_b32 v0, v0, 3, v1
	s_and_b64 s[26:27], vcc, s[26:27]
	v_cndmask_b32_e64 v0, v0, 0, s[26:27]
	v_or_b32_e32 v0, v0, v3
	buffer_store_dword v0, off, s[0:3], s33 offset:204 ; 4-byte Folded Spill
.LBB6_584:                              ;   in Loop: Header=BB6_138 Depth=3
	s_or_b64 exec, exec, s[34:35]
                                        ; implicit-def: $vgpr3
.LBB6_585:                              ;   in Loop: Header=BB6_138 Depth=3
	s_andn2_saveexec_b64 s[26:27], s[30:31]
	s_cbranch_execz .LBB6_587
; %bb.586:                              ;   in Loop: Header=BB6_138 Depth=3
	v_or_b32_e32 v0, 0x7b, v3
	buffer_store_dword v0, off, s[0:3], s33 offset:204 ; 4-byte Folded Spill
.LBB6_587:                              ;   in Loop: Header=BB6_138 Depth=3
	s_or_b64 exec, exec, s[26:27]
                                        ; implicit-def: $vgpr2
                                        ; implicit-def: $vgpr0_vgpr1
.LBB6_588:                              ;   in Loop: Header=BB6_138 Depth=3
	s_andn2_saveexec_b64 s[26:27], s[94:95]
	s_cbranch_execz .LBB6_594
; %bb.589:                              ;   in Loop: Header=BB6_138 Depth=3
	v_cmp_ne_u64_e32 vcc, 0, v[0:1]
                                        ; implicit-def: $vgpr0
                                        ; kill: killed $vgpr0
	s_and_saveexec_b64 s[62:63], vcc
	s_xor_b64 s[94:95], exec, s[62:63]
	s_cbranch_execz .LBB6_591
; %bb.590:                              ;   in Loop: Header=BB6_138 Depth=3
	v_or_b32_sdwa v0, v2, s44 dst_sel:DWORD dst_unused:UNUSED_PAD src0_sel:BYTE_3 src1_sel:DWORD
	buffer_store_dword v0, off, s[0:3], s33 offset:204 ; 4-byte Folded Spill
                                        ; implicit-def: $vgpr2
.LBB6_591:                              ;   in Loop: Header=BB6_138 Depth=3
	s_andn2_saveexec_b64 s[94:95], s[94:95]
	s_cbranch_execz .LBB6_593
; %bb.592:                              ;   in Loop: Header=BB6_138 Depth=3
	v_cmp_lt_i32_e32 vcc, -1, v2
	v_bfrev_b32_e32 v0, 0.5
	v_mov_b32_e32 v1, 0x7c
	v_cndmask_b32_e32 v0, v0, v1, vcc
	buffer_store_dword v0, off, s[0:3], s33 offset:204 ; 4-byte Folded Spill
.LBB6_593:                              ;   in Loop: Header=BB6_138 Depth=3
	s_or_b64 exec, exec, s[94:95]
.LBB6_594:                              ;   in Loop: Header=BB6_138 Depth=3
	s_or_b64 exec, exec, s[26:27]
	global_load_dwordx4 v[8:11], v[12:13], off offset:1024 glc slc
	v_mov_b32_e32 v0, 0
	s_waitcnt vmcnt(0)
	v_cmp_ne_u16_sdwa s[62:63], v8, v33 src0_sel:BYTE_0 src1_sel:DWORD
	s_and_saveexec_b64 s[26:27], s[62:63]
	s_cbranch_execz .LBB6_602
; %bb.595:                              ;   in Loop: Header=BB6_138 Depth=3
	v_cmp_ne_u16_sdwa s[62:63], sext(v8), s46 src0_sel:BYTE_0 src1_sel:DWORD
	v_bfrev_b32_e32 v0, 1
	s_and_saveexec_b64 s[94:95], s[62:63]
	s_cbranch_execz .LBB6_601
; %bb.596:                              ;   in Loop: Header=BB6_138 Depth=3
	v_and_b32_e32 v0, 0x7c, v8
	v_and_b32_e32 v1, 3, v8
	v_cmp_ne_u32_e32 vcc, s86, v0
                                        ; implicit-def: $vgpr0
	s_and_saveexec_b64 s[62:63], vcc
	s_xor_b64 s[30:31], exec, s[62:63]
	s_cbranch_execz .LBB6_598
; %bb.597:                              ;   in Loop: Header=BB6_138 Depth=3
	v_ffbh_u32_e32 v2, v1
	v_min_u32_e32 v4, 32, v2
	v_subrev_u32_e32 v2, 29, v4
	v_lshlrev_b64 v[2:3], v2, v[8:9]
	v_bfe_u32 v0, v8, 2, 5
	v_and_b32_e32 v2, 3, v2
	v_cmp_eq_u32_e32 vcc, 0, v0
	v_sub_u32_e32 v3, 30, v4
	v_cndmask_b32_e32 v1, v1, v2, vcc
	v_lshlrev_b32_e32 v2, 24, v8
	v_cndmask_b32_e32 v0, v0, v3, vcc
	v_and_b32_e32 v2, 0x80000000, v2
	v_lshl_add_u32 v0, v0, 23, v2
	v_lshl_or_b32 v0, v1, 21, v0
	v_add_u32_e32 v0, 0x38000000, v0
                                        ; implicit-def: $vgpr1
.LBB6_598:                              ;   in Loop: Header=BB6_138 Depth=3
	s_andn2_saveexec_b64 s[30:31], s[30:31]
; %bb.599:                              ;   in Loop: Header=BB6_138 Depth=3
	v_mov_b32_e32 v0, -1
	v_cmp_gt_i16_sdwa vcc, sext(v8), v0 src0_sel:BYTE_0 src1_sel:DWORD
	v_mov_b32_e32 v0, 0xff800000
	v_mov_b32_e32 v2, 0x7f800000
	v_cndmask_b32_e32 v0, v0, v2, vcc
	v_cmp_eq_u32_e32 vcc, 0, v1
	v_mov_b32_e32 v1, 0x7f800001
	v_cndmask_b32_e32 v0, v1, v0, vcc
; %bb.600:                              ;   in Loop: Header=BB6_138 Depth=3
	s_or_b64 exec, exec, s[30:31]
.LBB6_601:                              ;   in Loop: Header=BB6_138 Depth=3
	s_or_b64 exec, exec, s[94:95]
.LBB6_602:                              ;   in Loop: Header=BB6_138 Depth=3
	s_or_b64 exec, exec, s[26:27]
	v_mul_f32_e32 v2, v14, v0
	v_and_b32_e32 v3, 0x7f800000, v2
	v_mov_b32_e32 v4, v33
	v_cmp_ne_u64_e32 vcc, s[76:77], v[3:4]
	v_and_b32_e32 v0, 0x7fffff, v2
	v_mov_b32_e32 v1, v33
                                        ; implicit-def: $vgpr3
                                        ; kill: killed $vgpr3
	s_and_saveexec_b64 s[26:27], vcc
	s_xor_b64 s[94:95], exec, s[26:27]
	s_cbranch_execz .LBB6_616
; %bb.603:                              ;   in Loop: Header=BB6_138 Depth=3
	v_and_b32_e32 v3, 0x7fffffff, v2
	v_mov_b32_e32 v4, v33
	v_cmp_gt_u64_e32 vcc, s[78:79], v[3:4]
	v_and_b32_sdwa v3, v2, s97 dst_sel:DWORD dst_unused:UNUSED_PAD src0_sel:BYTE_3 src1_sel:DWORD
                                        ; implicit-def: $vgpr4
                                        ; kill: killed $vgpr4
	s_and_saveexec_b64 s[26:27], vcc
	s_xor_b64 s[30:31], exec, s[26:27]
	s_cbranch_execz .LBB6_613
; %bb.604:                              ;   in Loop: Header=BB6_138 Depth=3
	v_mov_b32_e32 v4, 0
	v_cmp_ne_u32_e32 vcc, 0, v2
	buffer_store_dword v4, off, s[0:3], s33 offset:212 ; 4-byte Folded Spill
	s_and_saveexec_b64 s[34:35], vcc
	s_cbranch_execz .LBB6_612
; %bb.605:                              ;   in Loop: Header=BB6_138 Depth=3
	v_bfe_u32 v5, v2, 23, 8
	v_cmp_gt_u32_e64 s[26:27], s47, v5
	v_sub_u32_e32 v2, 0x71, v5
	v_cmp_eq_u32_e32 vcc, 0, v5
	v_cndmask_b32_e64 v2, 0, v2, s[26:27]
	v_mov_b32_e32 v6, 0x70
	v_cndmask_b32_e32 v6, v2, v6, vcc
	v_add_u32_e32 v2, 21, v6
	v_or_b32_e32 v4, 0x800000, v0
	v_lshlrev_b64 v[15:16], v2, -1
	v_cndmask_b32_e32 v0, v4, v0, vcc
	v_add_u32_e32 v2, 20, v6
	v_bfi_b32 v15, v15, 0, v0
	v_lshlrev_b64 v[17:18], v2, 1
	v_lshrrev_b64 v[0:1], v6, v[0:1]
	v_bfi_b32 v16, v16, 0, 0
	v_cmp_eq_u64_e64 s[26:27], v[15:16], v[17:18]
	v_mov_b32_e32 v2, v1
	v_mov_b32_e32 v1, v0
	s_and_saveexec_b64 s[36:37], s[26:27]
; %bb.606:                              ;   in Loop: Header=BB6_138 Depth=3
	v_bfe_u32 v1, v0, 21, 1
	v_add_co_u32_e64 v1, s[26:27], v0, v1
	v_add_co_u32_e64 v1, s[26:27], -1, v1
; %bb.607:                              ;   in Loop: Header=BB6_138 Depth=3
	s_or_b64 exec, exec, s[36:37]
	v_add_u32_e32 v2, 0xffffff81, v5
	v_mov_b32_e32 v4, 0xffffff82
	v_cndmask_b32_e32 v2, v2, v4, vcc
	v_lshrrev_b32_e32 v4, 23, v0
	v_add3_u32 v6, v6, v2, v4
	v_add_u32_e32 v5, 14, v6
	v_and_b32_e32 v1, 0x1fffff, v1
	v_add_u32_e32 v0, v1, v0
	v_mov_b32_e32 v1, v33
	v_cmp_ne_u32_e32 vcc, 0, v5
                                        ; implicit-def: $vgpr2
	s_and_saveexec_b64 s[26:27], vcc
	s_xor_b64 s[26:27], exec, s[26:27]
; %bb.608:                              ;   in Loop: Header=BB6_138 Depth=3
	v_cmp_lt_u64_e32 vcc, s[88:89], v[0:1]
	v_add_u32_e32 v2, 15, v6
	v_cndmask_b32_e64 v4, 0, 1, vcc
	v_lshrrev_b64 v[0:1], v4, v[0:1]
	v_cndmask_b32_e32 v2, v5, v2, vcc
; %bb.609:                              ;   in Loop: Header=BB6_138 Depth=3
	s_andn2_saveexec_b64 s[26:27], s[26:27]
; %bb.610:                              ;   in Loop: Header=BB6_138 Depth=3
	v_bfe_u32 v2, v0, 23, 1
; %bb.611:                              ;   in Loop: Header=BB6_138 Depth=3
	s_or_b64 exec, exec, s[26:27]
	v_lshrrev_b64 v[0:1], 21, v[0:1]
	v_cmp_gt_i32_e32 vcc, 32, v2
	v_cndmask_b32_e32 v1, 0, v1, vcc
	v_cndmask_b32_e32 v0, 3, v0, vcc
	v_cmp_eq_u64_e64 s[26:27], 0, v[0:1]
	v_min_i32_e32 v1, 31, v2
	v_lshlrev_b32_e32 v1, 2, v1
	v_cmp_eq_u32_e32 vcc, 0, v2
	v_and_b32_e32 v1, 0xfc, v1
	v_and_or_b32 v0, v0, 3, v1
	s_and_b64 s[26:27], vcc, s[26:27]
	v_cndmask_b32_e64 v0, v0, 0, s[26:27]
	v_or_b32_e32 v0, v0, v3
	buffer_store_dword v0, off, s[0:3], s33 offset:212 ; 4-byte Folded Spill
.LBB6_612:                              ;   in Loop: Header=BB6_138 Depth=3
	s_or_b64 exec, exec, s[34:35]
                                        ; implicit-def: $vgpr3
.LBB6_613:                              ;   in Loop: Header=BB6_138 Depth=3
	s_andn2_saveexec_b64 s[26:27], s[30:31]
	s_cbranch_execz .LBB6_615
; %bb.614:                              ;   in Loop: Header=BB6_138 Depth=3
	v_or_b32_e32 v0, 0x7b, v3
	buffer_store_dword v0, off, s[0:3], s33 offset:212 ; 4-byte Folded Spill
.LBB6_615:                              ;   in Loop: Header=BB6_138 Depth=3
	s_or_b64 exec, exec, s[26:27]
                                        ; implicit-def: $vgpr2
                                        ; implicit-def: $vgpr0_vgpr1
.LBB6_616:                              ;   in Loop: Header=BB6_138 Depth=3
	s_andn2_saveexec_b64 s[26:27], s[94:95]
	s_cbranch_execz .LBB6_622
; %bb.617:                              ;   in Loop: Header=BB6_138 Depth=3
	v_cmp_ne_u64_e32 vcc, 0, v[0:1]
                                        ; implicit-def: $vgpr0
                                        ; kill: killed $vgpr0
	s_and_saveexec_b64 s[62:63], vcc
	s_xor_b64 s[94:95], exec, s[62:63]
	s_cbranch_execz .LBB6_619
; %bb.618:                              ;   in Loop: Header=BB6_138 Depth=3
	v_or_b32_sdwa v0, v2, s44 dst_sel:DWORD dst_unused:UNUSED_PAD src0_sel:BYTE_3 src1_sel:DWORD
	buffer_store_dword v0, off, s[0:3], s33 offset:212 ; 4-byte Folded Spill
                                        ; implicit-def: $vgpr2
.LBB6_619:                              ;   in Loop: Header=BB6_138 Depth=3
	s_andn2_saveexec_b64 s[94:95], s[94:95]
	s_cbranch_execz .LBB6_621
; %bb.620:                              ;   in Loop: Header=BB6_138 Depth=3
	v_cmp_lt_i32_e32 vcc, -1, v2
	v_bfrev_b32_e32 v0, 0.5
	v_mov_b32_e32 v1, 0x7c
	v_cndmask_b32_e32 v0, v0, v1, vcc
	buffer_store_dword v0, off, s[0:3], s33 offset:212 ; 4-byte Folded Spill
.LBB6_621:                              ;   in Loop: Header=BB6_138 Depth=3
	s_or_b64 exec, exec, s[94:95]
.LBB6_622:                              ;   in Loop: Header=BB6_138 Depth=3
	s_or_b64 exec, exec, s[26:27]
	v_lshrrev_b16_e32 v0, 8, v8
	v_cmp_ne_u16_e32 vcc, 0, v0
	v_mov_b32_e32 v1, 0
	s_and_saveexec_b64 s[26:27], vcc
	s_cbranch_execz .LBB6_630
; %bb.623:                              ;   in Loop: Header=BB6_138 Depth=3
	v_cmp_ne_u16_e32 vcc, s97, v0
	v_bfrev_b32_e32 v1, 1
	s_and_saveexec_b64 s[94:95], vcc
	s_cbranch_execz .LBB6_629
; %bb.624:                              ;   in Loop: Header=BB6_138 Depth=3
	v_and_b32_e32 v1, 0x7c, v0
	v_and_b32_e32 v2, 3, v0
	v_cmp_ne_u32_e32 vcc, s86, v1
                                        ; implicit-def: $vgpr1
	s_and_saveexec_b64 s[62:63], vcc
	s_xor_b64 s[30:31], exec, s[62:63]
	s_cbranch_execz .LBB6_626
; %bb.625:                              ;   in Loop: Header=BB6_138 Depth=3
	v_ffbh_u32_e32 v4, v2
	v_min_u32_e32 v4, 32, v4
	v_mov_b32_e32 v1, v33
	v_subrev_u32_e32 v5, 29, v4
	v_bfe_u32 v3, v0, 2, 5
	v_lshlrev_b64 v[0:1], v5, v[0:1]
	v_cmp_eq_u32_e32 vcc, 0, v3
	v_and_b32_e32 v0, 3, v0
	v_sub_u32_e32 v1, 30, v4
	v_cndmask_b32_e32 v0, v2, v0, vcc
	v_lshlrev_b32_e32 v2, 16, v8
	v_cndmask_b32_e32 v1, v3, v1, vcc
	v_and_b32_e32 v2, 0x80000000, v2
	v_lshl_add_u32 v1, v1, 23, v2
	v_lshl_or_b32 v0, v0, 21, v1
	v_add_u32_e32 v1, 0x38000000, v0
                                        ; implicit-def: $vgpr2
.LBB6_626:                              ;   in Loop: Header=BB6_138 Depth=3
	s_andn2_saveexec_b64 s[30:31], s[30:31]
; %bb.627:                              ;   in Loop: Header=BB6_138 Depth=3
	v_cmp_lt_i16_e32 vcc, -1, v8
	v_mov_b32_e32 v0, 0xff800000
	v_mov_b32_e32 v1, 0x7f800000
	v_cndmask_b32_e32 v0, v0, v1, vcc
	v_cmp_eq_u32_e32 vcc, 0, v2
	v_mov_b32_e32 v1, 0x7f800001
	v_cndmask_b32_e32 v1, v1, v0, vcc
; %bb.628:                              ;   in Loop: Header=BB6_138 Depth=3
	s_or_b64 exec, exec, s[30:31]
.LBB6_629:                              ;   in Loop: Header=BB6_138 Depth=3
	s_or_b64 exec, exec, s[94:95]
.LBB6_630:                              ;   in Loop: Header=BB6_138 Depth=3
	s_or_b64 exec, exec, s[26:27]
	v_mul_f32_e32 v2, v14, v1
	v_and_b32_e32 v3, 0x7f800000, v2
	v_mov_b32_e32 v4, v33
	v_cmp_ne_u64_e32 vcc, s[76:77], v[3:4]
	v_and_b32_e32 v0, 0x7fffff, v2
	v_mov_b32_e32 v1, v33
                                        ; implicit-def: $vgpr3
                                        ; kill: killed $vgpr3
	s_and_saveexec_b64 s[26:27], vcc
	s_xor_b64 s[94:95], exec, s[26:27]
	s_cbranch_execz .LBB6_644
; %bb.631:                              ;   in Loop: Header=BB6_138 Depth=3
	v_and_b32_e32 v3, 0x7fffffff, v2
	v_mov_b32_e32 v4, v33
	v_cmp_gt_u64_e32 vcc, s[78:79], v[3:4]
	v_and_b32_sdwa v3, v2, s97 dst_sel:DWORD dst_unused:UNUSED_PAD src0_sel:BYTE_3 src1_sel:DWORD
                                        ; implicit-def: $vgpr4
                                        ; kill: killed $vgpr4
	s_and_saveexec_b64 s[26:27], vcc
	s_xor_b64 s[30:31], exec, s[26:27]
	s_cbranch_execz .LBB6_641
; %bb.632:                              ;   in Loop: Header=BB6_138 Depth=3
	v_mov_b32_e32 v4, 0
	v_cmp_ne_u32_e32 vcc, 0, v2
	buffer_store_dword v4, off, s[0:3], s33 offset:220 ; 4-byte Folded Spill
	s_and_saveexec_b64 s[34:35], vcc
	s_cbranch_execz .LBB6_640
; %bb.633:                              ;   in Loop: Header=BB6_138 Depth=3
	v_bfe_u32 v5, v2, 23, 8
	v_cmp_gt_u32_e64 s[26:27], s47, v5
	v_sub_u32_e32 v2, 0x71, v5
	v_cmp_eq_u32_e32 vcc, 0, v5
	v_cndmask_b32_e64 v2, 0, v2, s[26:27]
	v_mov_b32_e32 v6, 0x70
	v_cndmask_b32_e32 v6, v2, v6, vcc
	v_add_u32_e32 v2, 21, v6
	v_or_b32_e32 v4, 0x800000, v0
	v_lshlrev_b64 v[15:16], v2, -1
	v_cndmask_b32_e32 v0, v4, v0, vcc
	v_add_u32_e32 v2, 20, v6
	v_bfi_b32 v15, v15, 0, v0
	v_lshlrev_b64 v[17:18], v2, 1
	v_lshrrev_b64 v[0:1], v6, v[0:1]
	v_bfi_b32 v16, v16, 0, 0
	v_cmp_eq_u64_e64 s[26:27], v[15:16], v[17:18]
	v_mov_b32_e32 v2, v1
	v_mov_b32_e32 v1, v0
	s_and_saveexec_b64 s[36:37], s[26:27]
; %bb.634:                              ;   in Loop: Header=BB6_138 Depth=3
	v_bfe_u32 v1, v0, 21, 1
	v_add_co_u32_e64 v1, s[26:27], v0, v1
	v_add_co_u32_e64 v1, s[26:27], -1, v1
; %bb.635:                              ;   in Loop: Header=BB6_138 Depth=3
	s_or_b64 exec, exec, s[36:37]
	v_add_u32_e32 v2, 0xffffff81, v5
	v_mov_b32_e32 v4, 0xffffff82
	v_cndmask_b32_e32 v2, v2, v4, vcc
	v_lshrrev_b32_e32 v4, 23, v0
	v_add3_u32 v6, v6, v2, v4
	v_add_u32_e32 v5, 14, v6
	v_and_b32_e32 v1, 0x1fffff, v1
	v_add_u32_e32 v0, v1, v0
	v_mov_b32_e32 v1, v33
	v_cmp_ne_u32_e32 vcc, 0, v5
                                        ; implicit-def: $vgpr2
	s_and_saveexec_b64 s[26:27], vcc
	s_xor_b64 s[26:27], exec, s[26:27]
; %bb.636:                              ;   in Loop: Header=BB6_138 Depth=3
	v_cmp_lt_u64_e32 vcc, s[88:89], v[0:1]
	v_add_u32_e32 v2, 15, v6
	v_cndmask_b32_e64 v4, 0, 1, vcc
	v_lshrrev_b64 v[0:1], v4, v[0:1]
	v_cndmask_b32_e32 v2, v5, v2, vcc
; %bb.637:                              ;   in Loop: Header=BB6_138 Depth=3
	s_andn2_saveexec_b64 s[26:27], s[26:27]
; %bb.638:                              ;   in Loop: Header=BB6_138 Depth=3
	v_bfe_u32 v2, v0, 23, 1
; %bb.639:                              ;   in Loop: Header=BB6_138 Depth=3
	s_or_b64 exec, exec, s[26:27]
	v_lshrrev_b64 v[0:1], 21, v[0:1]
	v_cmp_gt_i32_e32 vcc, 32, v2
	v_cndmask_b32_e32 v1, 0, v1, vcc
	v_cndmask_b32_e32 v0, 3, v0, vcc
	v_cmp_eq_u64_e64 s[26:27], 0, v[0:1]
	v_min_i32_e32 v1, 31, v2
	v_lshlrev_b32_e32 v1, 2, v1
	v_cmp_eq_u32_e32 vcc, 0, v2
	v_and_b32_e32 v1, 0xfc, v1
	v_and_or_b32 v0, v0, 3, v1
	s_and_b64 s[26:27], vcc, s[26:27]
	v_cndmask_b32_e64 v0, v0, 0, s[26:27]
	v_or_b32_e32 v0, v0, v3
	buffer_store_dword v0, off, s[0:3], s33 offset:220 ; 4-byte Folded Spill
.LBB6_640:                              ;   in Loop: Header=BB6_138 Depth=3
	s_or_b64 exec, exec, s[34:35]
                                        ; implicit-def: $vgpr3
.LBB6_641:                              ;   in Loop: Header=BB6_138 Depth=3
	s_andn2_saveexec_b64 s[26:27], s[30:31]
	s_cbranch_execz .LBB6_643
; %bb.642:                              ;   in Loop: Header=BB6_138 Depth=3
	v_or_b32_e32 v0, 0x7b, v3
	buffer_store_dword v0, off, s[0:3], s33 offset:220 ; 4-byte Folded Spill
.LBB6_643:                              ;   in Loop: Header=BB6_138 Depth=3
	s_or_b64 exec, exec, s[26:27]
                                        ; implicit-def: $vgpr2
                                        ; implicit-def: $vgpr0_vgpr1
.LBB6_644:                              ;   in Loop: Header=BB6_138 Depth=3
	s_andn2_saveexec_b64 s[26:27], s[94:95]
	s_cbranch_execz .LBB6_650
; %bb.645:                              ;   in Loop: Header=BB6_138 Depth=3
	v_cmp_ne_u64_e32 vcc, 0, v[0:1]
                                        ; implicit-def: $vgpr0
                                        ; kill: killed $vgpr0
	s_and_saveexec_b64 s[62:63], vcc
	s_xor_b64 s[94:95], exec, s[62:63]
	s_cbranch_execz .LBB6_647
; %bb.646:                              ;   in Loop: Header=BB6_138 Depth=3
	v_or_b32_sdwa v0, v2, s44 dst_sel:DWORD dst_unused:UNUSED_PAD src0_sel:BYTE_3 src1_sel:DWORD
	buffer_store_dword v0, off, s[0:3], s33 offset:220 ; 4-byte Folded Spill
                                        ; implicit-def: $vgpr2
.LBB6_647:                              ;   in Loop: Header=BB6_138 Depth=3
	s_andn2_saveexec_b64 s[94:95], s[94:95]
	s_cbranch_execz .LBB6_649
; %bb.648:                              ;   in Loop: Header=BB6_138 Depth=3
	v_cmp_lt_i32_e32 vcc, -1, v2
	v_bfrev_b32_e32 v0, 0.5
	v_mov_b32_e32 v1, 0x7c
	v_cndmask_b32_e32 v0, v0, v1, vcc
	buffer_store_dword v0, off, s[0:3], s33 offset:220 ; 4-byte Folded Spill
.LBB6_649:                              ;   in Loop: Header=BB6_138 Depth=3
	s_or_b64 exec, exec, s[94:95]
.LBB6_650:                              ;   in Loop: Header=BB6_138 Depth=3
	s_or_b64 exec, exec, s[26:27]
	v_lshrrev_b32_e32 v0, 16, v8
	v_cmp_ne_u16_sdwa s[62:63], v0, v33 src0_sel:BYTE_0 src1_sel:DWORD
	v_mov_b32_e32 v1, 0
	s_and_saveexec_b64 s[26:27], s[62:63]
	s_cbranch_execz .LBB6_658
; %bb.651:                              ;   in Loop: Header=BB6_138 Depth=3
	v_cmp_ne_u16_sdwa s[62:63], v0, s97 src0_sel:BYTE_0 src1_sel:DWORD
	v_bfrev_b32_e32 v1, 1
	s_and_saveexec_b64 s[94:95], s[62:63]
	s_cbranch_execz .LBB6_657
; %bb.652:                              ;   in Loop: Header=BB6_138 Depth=3
	v_and_b32_e32 v1, 0x7c0000, v8
	v_bfe_u32 v2, v8, 16, 2
	v_cmp_ne_u32_e32 vcc, s45, v1
                                        ; implicit-def: $vgpr1
	s_and_saveexec_b64 s[62:63], vcc
	s_xor_b64 s[30:31], exec, s[62:63]
	s_cbranch_execz .LBB6_654
; %bb.653:                              ;   in Loop: Header=BB6_138 Depth=3
	v_ffbh_u32_e32 v1, v2
	v_min_u32_e32 v4, 32, v1
	v_subrev_u32_e32 v1, 29, v4
	v_lshlrev_b64 v[0:1], v1, v[0:1]
	v_bfe_u32 v3, v8, 18, 5
	v_and_b32_e32 v0, 3, v0
	v_cmp_eq_u32_e32 vcc, 0, v3
	v_sub_u32_e32 v1, 30, v4
	v_cndmask_b32_e32 v0, v2, v0, vcc
	v_lshlrev_b32_e32 v2, 8, v8
	v_cndmask_b32_e32 v1, v3, v1, vcc
	v_and_b32_e32 v2, 0x80000000, v2
	v_lshl_add_u32 v1, v1, 23, v2
	v_lshl_or_b32 v0, v0, 21, v1
	v_add_u32_e32 v1, 0x38000000, v0
                                        ; implicit-def: $vgpr2
                                        ; implicit-def: $vgpr0
.LBB6_654:                              ;   in Loop: Header=BB6_138 Depth=3
	s_andn2_saveexec_b64 s[30:31], s[30:31]
; %bb.655:                              ;   in Loop: Header=BB6_138 Depth=3
	v_mov_b32_e32 v1, -1
	v_cmp_gt_i16_sdwa vcc, sext(v0), v1 src0_sel:BYTE_0 src1_sel:DWORD
	v_mov_b32_e32 v0, 0xff800000
	v_mov_b32_e32 v1, 0x7f800000
	v_cndmask_b32_e32 v0, v0, v1, vcc
	v_cmp_eq_u32_e32 vcc, 0, v2
	v_mov_b32_e32 v1, 0x7f800001
	v_cndmask_b32_e32 v1, v1, v0, vcc
; %bb.656:                              ;   in Loop: Header=BB6_138 Depth=3
	s_or_b64 exec, exec, s[30:31]
.LBB6_657:                              ;   in Loop: Header=BB6_138 Depth=3
	s_or_b64 exec, exec, s[94:95]
.LBB6_658:                              ;   in Loop: Header=BB6_138 Depth=3
	s_or_b64 exec, exec, s[26:27]
	v_mul_f32_e32 v2, v14, v1
	v_and_b32_e32 v3, 0x7f800000, v2
	v_mov_b32_e32 v4, v33
	v_cmp_ne_u64_e32 vcc, s[76:77], v[3:4]
	v_and_b32_e32 v0, 0x7fffff, v2
	v_mov_b32_e32 v1, v33
                                        ; implicit-def: $vgpr3
                                        ; kill: killed $vgpr3
	s_and_saveexec_b64 s[26:27], vcc
	s_xor_b64 s[94:95], exec, s[26:27]
	s_cbranch_execz .LBB6_672
; %bb.659:                              ;   in Loop: Header=BB6_138 Depth=3
	v_and_b32_e32 v3, 0x7fffffff, v2
	v_mov_b32_e32 v4, v33
	v_cmp_gt_u64_e32 vcc, s[78:79], v[3:4]
	v_and_b32_sdwa v3, v2, s97 dst_sel:DWORD dst_unused:UNUSED_PAD src0_sel:BYTE_3 src1_sel:DWORD
                                        ; implicit-def: $vgpr4
                                        ; kill: killed $vgpr4
	s_and_saveexec_b64 s[26:27], vcc
	s_xor_b64 s[30:31], exec, s[26:27]
	s_cbranch_execz .LBB6_669
; %bb.660:                              ;   in Loop: Header=BB6_138 Depth=3
	v_mov_b32_e32 v4, 0
	v_cmp_ne_u32_e32 vcc, 0, v2
	buffer_store_dword v4, off, s[0:3], s33 offset:228 ; 4-byte Folded Spill
	s_and_saveexec_b64 s[34:35], vcc
	s_cbranch_execz .LBB6_668
; %bb.661:                              ;   in Loop: Header=BB6_138 Depth=3
	v_bfe_u32 v5, v2, 23, 8
	v_cmp_gt_u32_e64 s[26:27], s47, v5
	v_sub_u32_e32 v2, 0x71, v5
	v_cmp_eq_u32_e32 vcc, 0, v5
	v_cndmask_b32_e64 v2, 0, v2, s[26:27]
	v_mov_b32_e32 v6, 0x70
	v_cndmask_b32_e32 v6, v2, v6, vcc
	v_add_u32_e32 v2, 21, v6
	v_or_b32_e32 v4, 0x800000, v0
	v_lshlrev_b64 v[15:16], v2, -1
	v_cndmask_b32_e32 v0, v4, v0, vcc
	v_add_u32_e32 v2, 20, v6
	v_bfi_b32 v15, v15, 0, v0
	v_lshlrev_b64 v[17:18], v2, 1
	v_lshrrev_b64 v[0:1], v6, v[0:1]
	v_bfi_b32 v16, v16, 0, 0
	v_cmp_eq_u64_e64 s[26:27], v[15:16], v[17:18]
	v_mov_b32_e32 v2, v1
	v_mov_b32_e32 v1, v0
	s_and_saveexec_b64 s[36:37], s[26:27]
; %bb.662:                              ;   in Loop: Header=BB6_138 Depth=3
	v_bfe_u32 v1, v0, 21, 1
	v_add_co_u32_e64 v1, s[26:27], v0, v1
	v_add_co_u32_e64 v1, s[26:27], -1, v1
; %bb.663:                              ;   in Loop: Header=BB6_138 Depth=3
	s_or_b64 exec, exec, s[36:37]
	v_add_u32_e32 v2, 0xffffff81, v5
	v_mov_b32_e32 v4, 0xffffff82
	v_cndmask_b32_e32 v2, v2, v4, vcc
	v_lshrrev_b32_e32 v4, 23, v0
	v_add3_u32 v6, v6, v2, v4
	v_add_u32_e32 v5, 14, v6
	v_and_b32_e32 v1, 0x1fffff, v1
	v_add_u32_e32 v0, v1, v0
	v_mov_b32_e32 v1, v33
	v_cmp_ne_u32_e32 vcc, 0, v5
                                        ; implicit-def: $vgpr2
	s_and_saveexec_b64 s[26:27], vcc
	s_xor_b64 s[26:27], exec, s[26:27]
; %bb.664:                              ;   in Loop: Header=BB6_138 Depth=3
	v_cmp_lt_u64_e32 vcc, s[88:89], v[0:1]
	v_add_u32_e32 v2, 15, v6
	v_cndmask_b32_e64 v4, 0, 1, vcc
	v_lshrrev_b64 v[0:1], v4, v[0:1]
	v_cndmask_b32_e32 v2, v5, v2, vcc
; %bb.665:                              ;   in Loop: Header=BB6_138 Depth=3
	s_andn2_saveexec_b64 s[26:27], s[26:27]
; %bb.666:                              ;   in Loop: Header=BB6_138 Depth=3
	v_bfe_u32 v2, v0, 23, 1
; %bb.667:                              ;   in Loop: Header=BB6_138 Depth=3
	s_or_b64 exec, exec, s[26:27]
	v_lshrrev_b64 v[0:1], 21, v[0:1]
	v_cmp_gt_i32_e32 vcc, 32, v2
	v_cndmask_b32_e32 v1, 0, v1, vcc
	v_cndmask_b32_e32 v0, 3, v0, vcc
	v_cmp_eq_u64_e64 s[26:27], 0, v[0:1]
	v_min_i32_e32 v1, 31, v2
	v_lshlrev_b32_e32 v1, 2, v1
	v_cmp_eq_u32_e32 vcc, 0, v2
	v_and_b32_e32 v1, 0xfc, v1
	v_and_or_b32 v0, v0, 3, v1
	s_and_b64 s[26:27], vcc, s[26:27]
	v_cndmask_b32_e64 v0, v0, 0, s[26:27]
	v_or_b32_e32 v0, v0, v3
	buffer_store_dword v0, off, s[0:3], s33 offset:228 ; 4-byte Folded Spill
.LBB6_668:                              ;   in Loop: Header=BB6_138 Depth=3
	s_or_b64 exec, exec, s[34:35]
                                        ; implicit-def: $vgpr3
.LBB6_669:                              ;   in Loop: Header=BB6_138 Depth=3
	s_andn2_saveexec_b64 s[26:27], s[30:31]
	s_cbranch_execz .LBB6_671
; %bb.670:                              ;   in Loop: Header=BB6_138 Depth=3
	v_or_b32_e32 v0, 0x7b, v3
	buffer_store_dword v0, off, s[0:3], s33 offset:228 ; 4-byte Folded Spill
.LBB6_671:                              ;   in Loop: Header=BB6_138 Depth=3
	s_or_b64 exec, exec, s[26:27]
                                        ; implicit-def: $vgpr2
                                        ; implicit-def: $vgpr0_vgpr1
.LBB6_672:                              ;   in Loop: Header=BB6_138 Depth=3
	s_andn2_saveexec_b64 s[26:27], s[94:95]
	s_cbranch_execz .LBB6_678
; %bb.673:                              ;   in Loop: Header=BB6_138 Depth=3
	v_cmp_ne_u64_e32 vcc, 0, v[0:1]
                                        ; implicit-def: $vgpr0
                                        ; kill: killed $vgpr0
	s_and_saveexec_b64 s[62:63], vcc
	s_xor_b64 s[94:95], exec, s[62:63]
	s_cbranch_execz .LBB6_675
; %bb.674:                              ;   in Loop: Header=BB6_138 Depth=3
	v_or_b32_sdwa v0, v2, s44 dst_sel:DWORD dst_unused:UNUSED_PAD src0_sel:BYTE_3 src1_sel:DWORD
	buffer_store_dword v0, off, s[0:3], s33 offset:228 ; 4-byte Folded Spill
                                        ; implicit-def: $vgpr2
.LBB6_675:                              ;   in Loop: Header=BB6_138 Depth=3
	s_andn2_saveexec_b64 s[94:95], s[94:95]
	s_cbranch_execz .LBB6_677
; %bb.676:                              ;   in Loop: Header=BB6_138 Depth=3
	v_cmp_lt_i32_e32 vcc, -1, v2
	v_bfrev_b32_e32 v0, 0.5
	v_mov_b32_e32 v1, 0x7c
	v_cndmask_b32_e32 v0, v0, v1, vcc
	buffer_store_dword v0, off, s[0:3], s33 offset:228 ; 4-byte Folded Spill
.LBB6_677:                              ;   in Loop: Header=BB6_138 Depth=3
	s_or_b64 exec, exec, s[94:95]
.LBB6_678:                              ;   in Loop: Header=BB6_138 Depth=3
	s_or_b64 exec, exec, s[26:27]
	v_cmp_lt_u32_e32 vcc, s57, v8
	v_mov_b32_e32 v1, 0
	s_and_saveexec_b64 s[26:27], vcc
	s_cbranch_execz .LBB6_686
; %bb.679:                              ;   in Loop: Header=BB6_138 Depth=3
	v_lshrrev_b32_e32 v0, 24, v8
	v_cmp_ne_u32_e32 vcc, s97, v0
	v_bfrev_b32_e32 v1, 1
	s_and_saveexec_b64 s[94:95], vcc
	s_cbranch_execz .LBB6_685
; %bb.680:                              ;   in Loop: Header=BB6_138 Depth=3
	v_and_b32_e32 v1, 0x7c000000, v8
	v_bfe_u32 v2, v8, 24, 2
	v_cmp_ne_u32_e32 vcc, s68, v1
                                        ; implicit-def: $vgpr1
	s_and_saveexec_b64 s[62:63], vcc
	s_xor_b64 s[30:31], exec, s[62:63]
	s_cbranch_execz .LBB6_682
; %bb.681:                              ;   in Loop: Header=BB6_138 Depth=3
	v_ffbh_u32_e32 v1, v2
	v_min_u32_e32 v4, 32, v1
	v_subrev_u32_e32 v1, 29, v4
	v_lshlrev_b64 v[0:1], v1, v[0:1]
	v_bfe_u32 v3, v8, 26, 5
	v_sub_u32_e32 v1, 30, v4
	v_and_b32_e32 v0, 3, v0
	v_cmp_eq_u32_e32 vcc, 0, v3
	v_cndmask_b32_e32 v1, v3, v1, vcc
	v_cndmask_b32_e32 v0, v2, v0, vcc
	v_and_b32_e32 v2, 0x80000000, v8
	v_lshl_add_u32 v1, v1, 23, v2
	v_lshl_or_b32 v0, v0, 21, v1
	v_add_u32_e32 v1, 0x38000000, v0
                                        ; implicit-def: $vgpr2
.LBB6_682:                              ;   in Loop: Header=BB6_138 Depth=3
	s_andn2_saveexec_b64 s[30:31], s[30:31]
; %bb.683:                              ;   in Loop: Header=BB6_138 Depth=3
	v_cmp_lt_i32_e32 vcc, -1, v8
	v_mov_b32_e32 v0, 0xff800000
	v_mov_b32_e32 v1, 0x7f800000
	v_cndmask_b32_e32 v0, v0, v1, vcc
	v_cmp_eq_u32_e32 vcc, 0, v2
	v_mov_b32_e32 v1, 0x7f800001
	v_cndmask_b32_e32 v1, v1, v0, vcc
; %bb.684:                              ;   in Loop: Header=BB6_138 Depth=3
	s_or_b64 exec, exec, s[30:31]
.LBB6_685:                              ;   in Loop: Header=BB6_138 Depth=3
	s_or_b64 exec, exec, s[94:95]
.LBB6_686:                              ;   in Loop: Header=BB6_138 Depth=3
	s_or_b64 exec, exec, s[26:27]
	v_mul_f32_e32 v2, v14, v1
	v_and_b32_e32 v3, 0x7f800000, v2
	v_mov_b32_e32 v4, v33
	v_cmp_ne_u64_e32 vcc, s[76:77], v[3:4]
	v_and_b32_e32 v0, 0x7fffff, v2
	v_mov_b32_e32 v1, v33
                                        ; implicit-def: $vgpr3
                                        ; kill: killed $vgpr3
	s_and_saveexec_b64 s[26:27], vcc
	s_xor_b64 s[94:95], exec, s[26:27]
	s_cbranch_execz .LBB6_700
; %bb.687:                              ;   in Loop: Header=BB6_138 Depth=3
	v_and_b32_e32 v3, 0x7fffffff, v2
	v_mov_b32_e32 v4, v33
	v_cmp_gt_u64_e32 vcc, s[78:79], v[3:4]
	v_and_b32_sdwa v3, v2, s97 dst_sel:DWORD dst_unused:UNUSED_PAD src0_sel:BYTE_3 src1_sel:DWORD
                                        ; implicit-def: $vgpr4
                                        ; kill: killed $vgpr4
	s_and_saveexec_b64 s[26:27], vcc
	s_xor_b64 s[30:31], exec, s[26:27]
	s_cbranch_execz .LBB6_697
; %bb.688:                              ;   in Loop: Header=BB6_138 Depth=3
	v_mov_b32_e32 v4, 0
	v_cmp_ne_u32_e32 vcc, 0, v2
	buffer_store_dword v4, off, s[0:3], s33 offset:236 ; 4-byte Folded Spill
	s_and_saveexec_b64 s[34:35], vcc
	s_cbranch_execz .LBB6_696
; %bb.689:                              ;   in Loop: Header=BB6_138 Depth=3
	v_bfe_u32 v5, v2, 23, 8
	v_cmp_gt_u32_e64 s[26:27], s47, v5
	v_sub_u32_e32 v2, 0x71, v5
	v_cmp_eq_u32_e32 vcc, 0, v5
	v_cndmask_b32_e64 v2, 0, v2, s[26:27]
	v_mov_b32_e32 v6, 0x70
	v_cndmask_b32_e32 v6, v2, v6, vcc
	v_add_u32_e32 v2, 21, v6
	v_or_b32_e32 v4, 0x800000, v0
	v_lshlrev_b64 v[15:16], v2, -1
	v_cndmask_b32_e32 v0, v4, v0, vcc
	v_add_u32_e32 v2, 20, v6
	v_bfi_b32 v15, v15, 0, v0
	v_lshlrev_b64 v[17:18], v2, 1
	v_lshrrev_b64 v[0:1], v6, v[0:1]
	v_bfi_b32 v16, v16, 0, 0
	v_cmp_eq_u64_e64 s[26:27], v[15:16], v[17:18]
	v_mov_b32_e32 v2, v1
	v_mov_b32_e32 v1, v0
	s_and_saveexec_b64 s[36:37], s[26:27]
; %bb.690:                              ;   in Loop: Header=BB6_138 Depth=3
	v_bfe_u32 v1, v0, 21, 1
	v_add_co_u32_e64 v1, s[26:27], v0, v1
	v_add_co_u32_e64 v1, s[26:27], -1, v1
; %bb.691:                              ;   in Loop: Header=BB6_138 Depth=3
	s_or_b64 exec, exec, s[36:37]
	v_add_u32_e32 v2, 0xffffff81, v5
	v_mov_b32_e32 v4, 0xffffff82
	v_cndmask_b32_e32 v2, v2, v4, vcc
	v_lshrrev_b32_e32 v4, 23, v0
	v_add3_u32 v6, v6, v2, v4
	v_add_u32_e32 v5, 14, v6
	v_and_b32_e32 v1, 0x1fffff, v1
	v_add_u32_e32 v0, v1, v0
	v_mov_b32_e32 v1, v33
	v_cmp_ne_u32_e32 vcc, 0, v5
                                        ; implicit-def: $vgpr2
	s_and_saveexec_b64 s[26:27], vcc
	s_xor_b64 s[26:27], exec, s[26:27]
; %bb.692:                              ;   in Loop: Header=BB6_138 Depth=3
	v_cmp_lt_u64_e32 vcc, s[88:89], v[0:1]
	v_add_u32_e32 v2, 15, v6
	v_cndmask_b32_e64 v4, 0, 1, vcc
	v_lshrrev_b64 v[0:1], v4, v[0:1]
	v_cndmask_b32_e32 v2, v5, v2, vcc
; %bb.693:                              ;   in Loop: Header=BB6_138 Depth=3
	s_andn2_saveexec_b64 s[26:27], s[26:27]
; %bb.694:                              ;   in Loop: Header=BB6_138 Depth=3
	v_bfe_u32 v2, v0, 23, 1
; %bb.695:                              ;   in Loop: Header=BB6_138 Depth=3
	s_or_b64 exec, exec, s[26:27]
	v_lshrrev_b64 v[0:1], 21, v[0:1]
	v_cmp_gt_i32_e32 vcc, 32, v2
	v_cndmask_b32_e32 v1, 0, v1, vcc
	v_cndmask_b32_e32 v0, 3, v0, vcc
	v_cmp_eq_u64_e64 s[26:27], 0, v[0:1]
	v_min_i32_e32 v1, 31, v2
	v_lshlrev_b32_e32 v1, 2, v1
	v_cmp_eq_u32_e32 vcc, 0, v2
	v_and_b32_e32 v1, 0xfc, v1
	v_and_or_b32 v0, v0, 3, v1
	s_and_b64 s[26:27], vcc, s[26:27]
	v_cndmask_b32_e64 v0, v0, 0, s[26:27]
	v_or_b32_e32 v0, v0, v3
	buffer_store_dword v0, off, s[0:3], s33 offset:236 ; 4-byte Folded Spill
.LBB6_696:                              ;   in Loop: Header=BB6_138 Depth=3
	s_or_b64 exec, exec, s[34:35]
                                        ; implicit-def: $vgpr3
.LBB6_697:                              ;   in Loop: Header=BB6_138 Depth=3
	s_andn2_saveexec_b64 s[26:27], s[30:31]
	s_cbranch_execz .LBB6_699
; %bb.698:                              ;   in Loop: Header=BB6_138 Depth=3
	v_or_b32_e32 v0, 0x7b, v3
	buffer_store_dword v0, off, s[0:3], s33 offset:236 ; 4-byte Folded Spill
.LBB6_699:                              ;   in Loop: Header=BB6_138 Depth=3
	s_or_b64 exec, exec, s[26:27]
                                        ; implicit-def: $vgpr2
                                        ; implicit-def: $vgpr0_vgpr1
.LBB6_700:                              ;   in Loop: Header=BB6_138 Depth=3
	s_andn2_saveexec_b64 s[26:27], s[94:95]
	s_cbranch_execz .LBB6_706
; %bb.701:                              ;   in Loop: Header=BB6_138 Depth=3
	v_cmp_ne_u64_e32 vcc, 0, v[0:1]
                                        ; implicit-def: $vgpr0
                                        ; kill: killed $vgpr0
	s_and_saveexec_b64 s[62:63], vcc
	s_xor_b64 s[94:95], exec, s[62:63]
	s_cbranch_execz .LBB6_703
; %bb.702:                              ;   in Loop: Header=BB6_138 Depth=3
	v_or_b32_sdwa v0, v2, s44 dst_sel:DWORD dst_unused:UNUSED_PAD src0_sel:BYTE_3 src1_sel:DWORD
	buffer_store_dword v0, off, s[0:3], s33 offset:236 ; 4-byte Folded Spill
                                        ; implicit-def: $vgpr2
.LBB6_703:                              ;   in Loop: Header=BB6_138 Depth=3
	s_andn2_saveexec_b64 s[94:95], s[94:95]
	s_cbranch_execz .LBB6_705
; %bb.704:                              ;   in Loop: Header=BB6_138 Depth=3
	v_cmp_lt_i32_e32 vcc, -1, v2
	v_bfrev_b32_e32 v0, 0.5
	v_mov_b32_e32 v1, 0x7c
	v_cndmask_b32_e32 v0, v0, v1, vcc
	buffer_store_dword v0, off, s[0:3], s33 offset:236 ; 4-byte Folded Spill
.LBB6_705:                              ;   in Loop: Header=BB6_138 Depth=3
	s_or_b64 exec, exec, s[94:95]
.LBB6_706:                              ;   in Loop: Header=BB6_138 Depth=3
	s_or_b64 exec, exec, s[26:27]
	v_mov_b32_e32 v0, v9
	v_mov_b32_e32 v1, v33
	v_cmp_ne_u16_sdwa s[62:63], v9, v33 src0_sel:BYTE_0 src1_sel:DWORD
	v_mov_b32_e32 v2, 0
	s_and_saveexec_b64 s[26:27], s[62:63]
	s_cbranch_execz .LBB6_714
; %bb.707:                              ;   in Loop: Header=BB6_138 Depth=3
	v_cmp_ne_u16_sdwa s[62:63], v9, s97 src0_sel:BYTE_0 src1_sel:DWORD
	v_bfrev_b32_e32 v2, 1
	s_and_saveexec_b64 s[94:95], s[62:63]
	s_cbranch_execz .LBB6_713
; %bb.708:                              ;   in Loop: Header=BB6_138 Depth=3
	v_and_b32_e32 v2, 0x7c, v9
	v_and_b32_e32 v3, 3, v9
	v_cmp_ne_u32_e32 vcc, s86, v2
                                        ; implicit-def: $vgpr2
	s_and_saveexec_b64 s[62:63], vcc
	s_xor_b64 s[30:31], exec, s[62:63]
	s_cbranch_execz .LBB6_710
; %bb.709:                              ;   in Loop: Header=BB6_138 Depth=3
	v_ffbh_u32_e32 v2, v3
	v_min_u32_e32 v5, 32, v2
	v_subrev_u32_e32 v2, 29, v5
	v_lshlrev_b64 v[1:2], v2, v[0:1]
	v_bfe_u32 v4, v9, 2, 5
	v_and_b32_e32 v1, 3, v1
	v_cmp_eq_u32_e32 vcc, 0, v4
	v_sub_u32_e32 v2, 30, v5
	v_cndmask_b32_e32 v1, v3, v1, vcc
	v_lshlrev_b32_e32 v3, 24, v9
	v_cndmask_b32_e32 v2, v4, v2, vcc
	v_and_b32_e32 v3, 0x80000000, v3
	v_lshl_add_u32 v2, v2, 23, v3
	v_lshl_or_b32 v1, v1, 21, v2
	v_add_u32_e32 v2, 0x38000000, v1
                                        ; implicit-def: $vgpr3
.LBB6_710:                              ;   in Loop: Header=BB6_138 Depth=3
	s_andn2_saveexec_b64 s[30:31], s[30:31]
; %bb.711:                              ;   in Loop: Header=BB6_138 Depth=3
	v_mov_b32_e32 v1, -1
	v_cmp_gt_i16_sdwa vcc, sext(v9), v1 src0_sel:BYTE_0 src1_sel:DWORD
	v_mov_b32_e32 v1, 0xff800000
	v_mov_b32_e32 v2, 0x7f800000
	v_cndmask_b32_e32 v1, v1, v2, vcc
	v_cmp_eq_u32_e32 vcc, 0, v3
	v_mov_b32_e32 v2, 0x7f800001
	v_cndmask_b32_e32 v2, v2, v1, vcc
; %bb.712:                              ;   in Loop: Header=BB6_138 Depth=3
	s_or_b64 exec, exec, s[30:31]
.LBB6_713:                              ;   in Loop: Header=BB6_138 Depth=3
	s_or_b64 exec, exec, s[94:95]
.LBB6_714:                              ;   in Loop: Header=BB6_138 Depth=3
	s_or_b64 exec, exec, s[26:27]
	v_mul_f32_e32 v3, v14, v2
	v_and_b32_e32 v4, 0x7f800000, v3
	v_mov_b32_e32 v5, v33
	v_cmp_ne_u64_e32 vcc, s[76:77], v[4:5]
	v_and_b32_e32 v1, 0x7fffff, v3
	v_mov_b32_e32 v2, v33
                                        ; implicit-def: $vgpr4
                                        ; kill: killed $vgpr4
	s_and_saveexec_b64 s[26:27], vcc
	s_xor_b64 s[94:95], exec, s[26:27]
	s_cbranch_execz .LBB6_728
; %bb.715:                              ;   in Loop: Header=BB6_138 Depth=3
	v_and_b32_e32 v4, 0x7fffffff, v3
	v_mov_b32_e32 v5, v33
	v_cmp_gt_u64_e32 vcc, s[78:79], v[4:5]
	v_and_b32_sdwa v5, v3, s97 dst_sel:DWORD dst_unused:UNUSED_PAD src0_sel:BYTE_3 src1_sel:DWORD
                                        ; implicit-def: $vgpr4
                                        ; kill: killed $vgpr4
	s_and_saveexec_b64 s[26:27], vcc
	s_xor_b64 s[30:31], exec, s[26:27]
	s_cbranch_execz .LBB6_725
; %bb.716:                              ;   in Loop: Header=BB6_138 Depth=3
	v_mov_b32_e32 v4, 0
	v_cmp_ne_u32_e32 vcc, 0, v3
	buffer_store_dword v4, off, s[0:3], s33 offset:244 ; 4-byte Folded Spill
	s_and_saveexec_b64 s[34:35], vcc
	s_cbranch_execz .LBB6_724
; %bb.717:                              ;   in Loop: Header=BB6_138 Depth=3
	v_bfe_u32 v6, v3, 23, 8
	v_cmp_gt_u32_e64 s[26:27], s47, v6
	v_sub_u32_e32 v3, 0x71, v6
	v_cmp_eq_u32_e32 vcc, 0, v6
	v_cndmask_b32_e64 v3, 0, v3, s[26:27]
	v_mov_b32_e32 v7, 0x70
	v_cndmask_b32_e32 v7, v3, v7, vcc
	v_or_b32_e32 v4, 0x800000, v1
	v_add_u32_e32 v3, 21, v7
	v_cndmask_b32_e32 v1, v4, v1, vcc
	v_lshlrev_b64 v[3:4], v3, -1
	v_add_u32_e32 v15, 20, v7
	v_bfi_b32 v3, v3, 0, v1
	v_lshlrev_b64 v[15:16], v15, 1
	v_lshrrev_b64 v[1:2], v7, v[1:2]
	v_bfi_b32 v4, v4, 0, 0
	v_cmp_eq_u64_e64 s[26:27], v[3:4], v[15:16]
	v_mov_b32_e32 v3, v2
	v_mov_b32_e32 v2, v1
	s_and_saveexec_b64 s[36:37], s[26:27]
; %bb.718:                              ;   in Loop: Header=BB6_138 Depth=3
	v_bfe_u32 v2, v1, 21, 1
	v_add_co_u32_e64 v2, s[26:27], v1, v2
	v_add_co_u32_e64 v2, s[26:27], -1, v2
; %bb.719:                              ;   in Loop: Header=BB6_138 Depth=3
	s_or_b64 exec, exec, s[36:37]
	v_add_u32_e32 v3, 0xffffff81, v6
	v_mov_b32_e32 v4, 0xffffff82
	v_cndmask_b32_e32 v3, v3, v4, vcc
	v_lshrrev_b32_e32 v4, 23, v1
	v_add3_u32 v7, v7, v3, v4
	v_add_u32_e32 v6, 14, v7
	v_and_b32_e32 v2, 0x1fffff, v2
	v_add_u32_e32 v1, v2, v1
	v_mov_b32_e32 v2, v33
	v_cmp_ne_u32_e32 vcc, 0, v6
                                        ; implicit-def: $vgpr3
	s_and_saveexec_b64 s[26:27], vcc
	s_xor_b64 s[26:27], exec, s[26:27]
; %bb.720:                              ;   in Loop: Header=BB6_138 Depth=3
	v_cmp_lt_u64_e32 vcc, s[88:89], v[1:2]
	v_add_u32_e32 v3, 15, v7
	v_cndmask_b32_e64 v4, 0, 1, vcc
	v_lshrrev_b64 v[1:2], v4, v[1:2]
	v_cndmask_b32_e32 v3, v6, v3, vcc
; %bb.721:                              ;   in Loop: Header=BB6_138 Depth=3
	s_andn2_saveexec_b64 s[26:27], s[26:27]
; %bb.722:                              ;   in Loop: Header=BB6_138 Depth=3
	v_bfe_u32 v3, v1, 23, 1
; %bb.723:                              ;   in Loop: Header=BB6_138 Depth=3
	s_or_b64 exec, exec, s[26:27]
	v_lshrrev_b64 v[1:2], 21, v[1:2]
	v_cmp_gt_i32_e32 vcc, 32, v3
	v_cndmask_b32_e32 v2, 0, v2, vcc
	v_cndmask_b32_e32 v1, 3, v1, vcc
	v_cmp_eq_u64_e64 s[26:27], 0, v[1:2]
	v_min_i32_e32 v2, 31, v3
	v_lshlrev_b32_e32 v2, 2, v2
	v_cmp_eq_u32_e32 vcc, 0, v3
	v_and_b32_e32 v2, 0xfc, v2
	v_and_or_b32 v1, v1, 3, v2
	s_and_b64 s[26:27], vcc, s[26:27]
	v_cndmask_b32_e64 v1, v1, 0, s[26:27]
	v_or_b32_e32 v1, v1, v5
	buffer_store_dword v1, off, s[0:3], s33 offset:244 ; 4-byte Folded Spill
.LBB6_724:                              ;   in Loop: Header=BB6_138 Depth=3
	s_or_b64 exec, exec, s[34:35]
                                        ; implicit-def: $vgpr5
.LBB6_725:                              ;   in Loop: Header=BB6_138 Depth=3
	s_andn2_saveexec_b64 s[26:27], s[30:31]
	s_cbranch_execz .LBB6_727
; %bb.726:                              ;   in Loop: Header=BB6_138 Depth=3
	v_or_b32_e32 v1, 0x7b, v5
	buffer_store_dword v1, off, s[0:3], s33 offset:244 ; 4-byte Folded Spill
.LBB6_727:                              ;   in Loop: Header=BB6_138 Depth=3
	s_or_b64 exec, exec, s[26:27]
                                        ; implicit-def: $vgpr3
                                        ; implicit-def: $vgpr1_vgpr2
.LBB6_728:                              ;   in Loop: Header=BB6_138 Depth=3
	s_andn2_saveexec_b64 s[26:27], s[94:95]
	s_cbranch_execz .LBB6_734
; %bb.729:                              ;   in Loop: Header=BB6_138 Depth=3
	v_cmp_ne_u64_e32 vcc, 0, v[1:2]
                                        ; implicit-def: $vgpr1
                                        ; kill: killed $vgpr1
	s_and_saveexec_b64 s[62:63], vcc
	s_xor_b64 s[94:95], exec, s[62:63]
	s_cbranch_execz .LBB6_731
; %bb.730:                              ;   in Loop: Header=BB6_138 Depth=3
	v_or_b32_sdwa v1, v3, s44 dst_sel:DWORD dst_unused:UNUSED_PAD src0_sel:BYTE_3 src1_sel:DWORD
	buffer_store_dword v1, off, s[0:3], s33 offset:244 ; 4-byte Folded Spill
                                        ; implicit-def: $vgpr3
.LBB6_731:                              ;   in Loop: Header=BB6_138 Depth=3
	s_andn2_saveexec_b64 s[94:95], s[94:95]
	s_cbranch_execz .LBB6_733
; %bb.732:                              ;   in Loop: Header=BB6_138 Depth=3
	v_cmp_lt_i32_e32 vcc, -1, v3
	v_bfrev_b32_e32 v1, 0.5
	v_mov_b32_e32 v2, 0x7c
	v_cndmask_b32_e32 v1, v1, v2, vcc
	buffer_store_dword v1, off, s[0:3], s33 offset:244 ; 4-byte Folded Spill
.LBB6_733:                              ;   in Loop: Header=BB6_138 Depth=3
	s_or_b64 exec, exec, s[94:95]
.LBB6_734:                              ;   in Loop: Header=BB6_138 Depth=3
	s_or_b64 exec, exec, s[26:27]
	v_lshrrev_b16_e32 v1, 8, v0
	v_cmp_ne_u16_e32 vcc, 0, v1
	v_mov_b32_e32 v2, 0
	s_and_saveexec_b64 s[26:27], vcc
	s_cbranch_execz .LBB6_742
; %bb.735:                              ;   in Loop: Header=BB6_138 Depth=3
	v_cmp_ne_u16_e32 vcc, s97, v1
	v_bfrev_b32_e32 v2, 1
	s_and_saveexec_b64 s[94:95], vcc
	s_cbranch_execz .LBB6_741
; %bb.736:                              ;   in Loop: Header=BB6_138 Depth=3
	v_and_b32_e32 v2, 0x7c, v1
	v_and_b32_e32 v3, 3, v1
	v_cmp_ne_u32_e32 vcc, s86, v2
                                        ; implicit-def: $vgpr2
	s_and_saveexec_b64 s[62:63], vcc
	s_xor_b64 s[30:31], exec, s[62:63]
	s_cbranch_execz .LBB6_738
; %bb.737:                              ;   in Loop: Header=BB6_138 Depth=3
	v_ffbh_u32_e32 v5, v3
	v_min_u32_e32 v5, 32, v5
	v_mov_b32_e32 v2, v33
	v_subrev_u32_e32 v6, 29, v5
	v_bfe_u32 v4, v1, 2, 5
	v_lshlrev_b64 v[1:2], v6, v[1:2]
	v_sub_u32_e32 v2, 30, v5
	v_cmp_eq_u32_e32 vcc, 0, v4
	v_lshlrev_b32_e32 v0, 16, v0
	v_and_b32_e32 v1, 3, v1
	v_cndmask_b32_e32 v2, v4, v2, vcc
	v_and_b32_e32 v0, 0x80000000, v0
	v_cndmask_b32_e32 v1, v3, v1, vcc
	v_lshl_add_u32 v0, v2, 23, v0
	v_lshl_or_b32 v0, v1, 21, v0
	v_add_u32_e32 v2, 0x38000000, v0
                                        ; implicit-def: $vgpr3
                                        ; implicit-def: $vgpr0_vgpr1
.LBB6_738:                              ;   in Loop: Header=BB6_138 Depth=3
	s_andn2_saveexec_b64 s[30:31], s[30:31]
; %bb.739:                              ;   in Loop: Header=BB6_138 Depth=3
	v_cmp_lt_i16_e32 vcc, -1, v0
	v_mov_b32_e32 v0, 0xff800000
	v_mov_b32_e32 v1, 0x7f800000
	v_cndmask_b32_e32 v0, v0, v1, vcc
	v_cmp_eq_u32_e32 vcc, 0, v3
	v_mov_b32_e32 v1, 0x7f800001
	v_cndmask_b32_e32 v2, v1, v0, vcc
; %bb.740:                              ;   in Loop: Header=BB6_138 Depth=3
	s_or_b64 exec, exec, s[30:31]
.LBB6_741:                              ;   in Loop: Header=BB6_138 Depth=3
	s_or_b64 exec, exec, s[94:95]
.LBB6_742:                              ;   in Loop: Header=BB6_138 Depth=3
	s_or_b64 exec, exec, s[26:27]
	v_mul_f32_e32 v2, v14, v2
	v_and_b32_e32 v3, 0x7f800000, v2
	v_mov_b32_e32 v4, v33
	v_cmp_ne_u64_e32 vcc, s[76:77], v[3:4]
	v_and_b32_e32 v0, 0x7fffff, v2
	v_mov_b32_e32 v1, v33
                                        ; implicit-def: $vgpr3
                                        ; kill: killed $vgpr3
	s_and_saveexec_b64 s[26:27], vcc
	s_xor_b64 s[94:95], exec, s[26:27]
	s_cbranch_execz .LBB6_756
; %bb.743:                              ;   in Loop: Header=BB6_138 Depth=3
	v_and_b32_e32 v3, 0x7fffffff, v2
	v_mov_b32_e32 v4, v33
	v_cmp_gt_u64_e32 vcc, s[78:79], v[3:4]
	v_and_b32_sdwa v3, v2, s97 dst_sel:DWORD dst_unused:UNUSED_PAD src0_sel:BYTE_3 src1_sel:DWORD
                                        ; implicit-def: $vgpr4
                                        ; kill: killed $vgpr4
	s_and_saveexec_b64 s[26:27], vcc
	s_xor_b64 s[30:31], exec, s[26:27]
	s_cbranch_execz .LBB6_753
; %bb.744:                              ;   in Loop: Header=BB6_138 Depth=3
	v_mov_b32_e32 v4, 0
	v_cmp_ne_u32_e32 vcc, 0, v2
	buffer_store_dword v4, off, s[0:3], s33 offset:252 ; 4-byte Folded Spill
	s_and_saveexec_b64 s[34:35], vcc
	s_cbranch_execz .LBB6_752
; %bb.745:                              ;   in Loop: Header=BB6_138 Depth=3
	v_bfe_u32 v5, v2, 23, 8
	v_cmp_gt_u32_e64 s[26:27], s47, v5
	v_sub_u32_e32 v2, 0x71, v5
	v_cmp_eq_u32_e32 vcc, 0, v5
	v_cndmask_b32_e64 v2, 0, v2, s[26:27]
	v_mov_b32_e32 v6, 0x70
	v_cndmask_b32_e32 v6, v2, v6, vcc
	v_add_u32_e32 v2, 21, v6
	v_or_b32_e32 v4, 0x800000, v0
	v_lshlrev_b64 v[15:16], v2, -1
	v_cndmask_b32_e32 v0, v4, v0, vcc
	v_add_u32_e32 v2, 20, v6
	v_bfi_b32 v15, v15, 0, v0
	v_lshlrev_b64 v[17:18], v2, 1
	v_lshrrev_b64 v[0:1], v6, v[0:1]
	v_bfi_b32 v16, v16, 0, 0
	v_cmp_eq_u64_e64 s[26:27], v[15:16], v[17:18]
	v_mov_b32_e32 v2, v1
	v_mov_b32_e32 v1, v0
	s_and_saveexec_b64 s[36:37], s[26:27]
; %bb.746:                              ;   in Loop: Header=BB6_138 Depth=3
	v_bfe_u32 v1, v0, 21, 1
	v_add_co_u32_e64 v1, s[26:27], v0, v1
	v_add_co_u32_e64 v1, s[26:27], -1, v1
; %bb.747:                              ;   in Loop: Header=BB6_138 Depth=3
	s_or_b64 exec, exec, s[36:37]
	v_add_u32_e32 v2, 0xffffff81, v5
	v_mov_b32_e32 v4, 0xffffff82
	v_cndmask_b32_e32 v2, v2, v4, vcc
	v_lshrrev_b32_e32 v4, 23, v0
	v_add3_u32 v6, v6, v2, v4
	v_add_u32_e32 v5, 14, v6
	v_and_b32_e32 v1, 0x1fffff, v1
	v_add_u32_e32 v0, v1, v0
	v_mov_b32_e32 v1, v33
	v_cmp_ne_u32_e32 vcc, 0, v5
                                        ; implicit-def: $vgpr2
	s_and_saveexec_b64 s[26:27], vcc
	s_xor_b64 s[26:27], exec, s[26:27]
; %bb.748:                              ;   in Loop: Header=BB6_138 Depth=3
	v_cmp_lt_u64_e32 vcc, s[88:89], v[0:1]
	v_add_u32_e32 v2, 15, v6
	v_cndmask_b32_e64 v4, 0, 1, vcc
	v_lshrrev_b64 v[0:1], v4, v[0:1]
	v_cndmask_b32_e32 v2, v5, v2, vcc
; %bb.749:                              ;   in Loop: Header=BB6_138 Depth=3
	s_andn2_saveexec_b64 s[26:27], s[26:27]
; %bb.750:                              ;   in Loop: Header=BB6_138 Depth=3
	v_bfe_u32 v2, v0, 23, 1
; %bb.751:                              ;   in Loop: Header=BB6_138 Depth=3
	s_or_b64 exec, exec, s[26:27]
	v_lshrrev_b64 v[0:1], 21, v[0:1]
	v_cmp_gt_i32_e32 vcc, 32, v2
	v_cndmask_b32_e32 v1, 0, v1, vcc
	v_cndmask_b32_e32 v0, 3, v0, vcc
	v_cmp_eq_u64_e64 s[26:27], 0, v[0:1]
	v_min_i32_e32 v1, 31, v2
	v_lshlrev_b32_e32 v1, 2, v1
	v_cmp_eq_u32_e32 vcc, 0, v2
	v_and_b32_e32 v1, 0xfc, v1
	v_and_or_b32 v0, v0, 3, v1
	s_and_b64 s[26:27], vcc, s[26:27]
	v_cndmask_b32_e64 v0, v0, 0, s[26:27]
	v_or_b32_e32 v0, v0, v3
	buffer_store_dword v0, off, s[0:3], s33 offset:252 ; 4-byte Folded Spill
.LBB6_752:                              ;   in Loop: Header=BB6_138 Depth=3
	s_or_b64 exec, exec, s[34:35]
                                        ; implicit-def: $vgpr3
.LBB6_753:                              ;   in Loop: Header=BB6_138 Depth=3
	s_andn2_saveexec_b64 s[26:27], s[30:31]
	s_cbranch_execz .LBB6_755
; %bb.754:                              ;   in Loop: Header=BB6_138 Depth=3
	v_or_b32_e32 v0, 0x7b, v3
	buffer_store_dword v0, off, s[0:3], s33 offset:252 ; 4-byte Folded Spill
.LBB6_755:                              ;   in Loop: Header=BB6_138 Depth=3
	s_or_b64 exec, exec, s[26:27]
                                        ; implicit-def: $vgpr2
                                        ; implicit-def: $vgpr0_vgpr1
.LBB6_756:                              ;   in Loop: Header=BB6_138 Depth=3
	s_andn2_saveexec_b64 s[26:27], s[94:95]
	s_cbranch_execz .LBB6_762
; %bb.757:                              ;   in Loop: Header=BB6_138 Depth=3
	v_cmp_ne_u64_e32 vcc, 0, v[0:1]
                                        ; implicit-def: $vgpr0
                                        ; kill: killed $vgpr0
	s_and_saveexec_b64 s[62:63], vcc
	s_xor_b64 s[94:95], exec, s[62:63]
	s_cbranch_execz .LBB6_759
; %bb.758:                              ;   in Loop: Header=BB6_138 Depth=3
	v_or_b32_sdwa v0, v2, s44 dst_sel:DWORD dst_unused:UNUSED_PAD src0_sel:BYTE_3 src1_sel:DWORD
	buffer_store_dword v0, off, s[0:3], s33 offset:252 ; 4-byte Folded Spill
                                        ; implicit-def: $vgpr2
.LBB6_759:                              ;   in Loop: Header=BB6_138 Depth=3
	s_andn2_saveexec_b64 s[94:95], s[94:95]
	s_cbranch_execz .LBB6_761
; %bb.760:                              ;   in Loop: Header=BB6_138 Depth=3
	v_cmp_lt_i32_e32 vcc, -1, v2
	v_bfrev_b32_e32 v0, 0.5
	v_mov_b32_e32 v1, 0x7c
	v_cndmask_b32_e32 v0, v0, v1, vcc
	buffer_store_dword v0, off, s[0:3], s33 offset:252 ; 4-byte Folded Spill
.LBB6_761:                              ;   in Loop: Header=BB6_138 Depth=3
	s_or_b64 exec, exec, s[94:95]
.LBB6_762:                              ;   in Loop: Header=BB6_138 Depth=3
	s_or_b64 exec, exec, s[26:27]
	v_lshrrev_b32_e32 v0, 16, v9
	v_cmp_ne_u16_sdwa s[62:63], v0, v33 src0_sel:BYTE_0 src1_sel:DWORD
	v_mov_b32_e32 v1, 0
	s_and_saveexec_b64 s[26:27], s[62:63]
	s_cbranch_execz .LBB6_770
; %bb.763:                              ;   in Loop: Header=BB6_138 Depth=3
	v_cmp_ne_u16_sdwa s[62:63], v0, s97 src0_sel:BYTE_0 src1_sel:DWORD
	v_bfrev_b32_e32 v1, 1
	s_and_saveexec_b64 s[94:95], s[62:63]
	s_cbranch_execz .LBB6_769
; %bb.764:                              ;   in Loop: Header=BB6_138 Depth=3
	v_and_b32_e32 v1, 0x7c0000, v9
	v_bfe_u32 v2, v9, 16, 2
	v_cmp_ne_u32_e32 vcc, s45, v1
                                        ; implicit-def: $vgpr1
	s_and_saveexec_b64 s[62:63], vcc
	s_xor_b64 s[30:31], exec, s[62:63]
	s_cbranch_execz .LBB6_766
; %bb.765:                              ;   in Loop: Header=BB6_138 Depth=3
	v_ffbh_u32_e32 v1, v2
	v_min_u32_e32 v4, 32, v1
	v_subrev_u32_e32 v1, 29, v4
	v_lshlrev_b64 v[0:1], v1, v[0:1]
	v_bfe_u32 v3, v9, 18, 5
	v_and_b32_e32 v0, 3, v0
	v_cmp_eq_u32_e32 vcc, 0, v3
	v_sub_u32_e32 v1, 30, v4
	v_cndmask_b32_e32 v0, v2, v0, vcc
	v_lshlrev_b32_e32 v2, 8, v9
	v_cndmask_b32_e32 v1, v3, v1, vcc
	v_and_b32_e32 v2, 0x80000000, v2
	v_lshl_add_u32 v1, v1, 23, v2
	v_lshl_or_b32 v0, v0, 21, v1
	v_add_u32_e32 v1, 0x38000000, v0
                                        ; implicit-def: $vgpr2
                                        ; implicit-def: $vgpr0
.LBB6_766:                              ;   in Loop: Header=BB6_138 Depth=3
	s_andn2_saveexec_b64 s[30:31], s[30:31]
; %bb.767:                              ;   in Loop: Header=BB6_138 Depth=3
	v_mov_b32_e32 v1, -1
	v_cmp_gt_i16_sdwa vcc, sext(v0), v1 src0_sel:BYTE_0 src1_sel:DWORD
	v_mov_b32_e32 v0, 0xff800000
	v_mov_b32_e32 v1, 0x7f800000
	v_cndmask_b32_e32 v0, v0, v1, vcc
	v_cmp_eq_u32_e32 vcc, 0, v2
	v_mov_b32_e32 v1, 0x7f800001
	v_cndmask_b32_e32 v1, v1, v0, vcc
; %bb.768:                              ;   in Loop: Header=BB6_138 Depth=3
	s_or_b64 exec, exec, s[30:31]
.LBB6_769:                              ;   in Loop: Header=BB6_138 Depth=3
	s_or_b64 exec, exec, s[94:95]
.LBB6_770:                              ;   in Loop: Header=BB6_138 Depth=3
	s_or_b64 exec, exec, s[26:27]
	v_mul_f32_e32 v2, v14, v1
	v_and_b32_e32 v3, 0x7f800000, v2
	v_mov_b32_e32 v4, v33
	v_cmp_ne_u64_e32 vcc, s[76:77], v[3:4]
	v_and_b32_e32 v0, 0x7fffff, v2
	v_mov_b32_e32 v1, v33
                                        ; implicit-def: $vgpr3
                                        ; kill: killed $vgpr3
	s_and_saveexec_b64 s[26:27], vcc
	s_xor_b64 s[94:95], exec, s[26:27]
	s_cbranch_execz .LBB6_784
; %bb.771:                              ;   in Loop: Header=BB6_138 Depth=3
	v_and_b32_e32 v3, 0x7fffffff, v2
	v_mov_b32_e32 v4, v33
	v_cmp_gt_u64_e32 vcc, s[78:79], v[3:4]
	v_and_b32_sdwa v3, v2, s97 dst_sel:DWORD dst_unused:UNUSED_PAD src0_sel:BYTE_3 src1_sel:DWORD
                                        ; implicit-def: $vgpr4
                                        ; kill: killed $vgpr4
	s_and_saveexec_b64 s[26:27], vcc
	s_xor_b64 s[30:31], exec, s[26:27]
	s_cbranch_execz .LBB6_781
; %bb.772:                              ;   in Loop: Header=BB6_138 Depth=3
	v_mov_b32_e32 v4, 0
	v_cmp_ne_u32_e32 vcc, 0, v2
	buffer_store_dword v4, off, s[0:3], s33 offset:260 ; 4-byte Folded Spill
	s_and_saveexec_b64 s[34:35], vcc
	s_cbranch_execz .LBB6_780
; %bb.773:                              ;   in Loop: Header=BB6_138 Depth=3
	v_bfe_u32 v5, v2, 23, 8
	v_cmp_gt_u32_e64 s[26:27], s47, v5
	v_sub_u32_e32 v2, 0x71, v5
	v_cmp_eq_u32_e32 vcc, 0, v5
	v_cndmask_b32_e64 v2, 0, v2, s[26:27]
	v_mov_b32_e32 v6, 0x70
	v_cndmask_b32_e32 v6, v2, v6, vcc
	v_add_u32_e32 v2, 21, v6
	v_or_b32_e32 v4, 0x800000, v0
	v_lshlrev_b64 v[15:16], v2, -1
	v_cndmask_b32_e32 v0, v4, v0, vcc
	v_add_u32_e32 v2, 20, v6
	v_bfi_b32 v15, v15, 0, v0
	v_lshlrev_b64 v[17:18], v2, 1
	v_lshrrev_b64 v[0:1], v6, v[0:1]
	v_bfi_b32 v16, v16, 0, 0
	v_cmp_eq_u64_e64 s[26:27], v[15:16], v[17:18]
	v_mov_b32_e32 v2, v1
	v_mov_b32_e32 v1, v0
	s_and_saveexec_b64 s[36:37], s[26:27]
; %bb.774:                              ;   in Loop: Header=BB6_138 Depth=3
	v_bfe_u32 v1, v0, 21, 1
	v_add_co_u32_e64 v1, s[26:27], v0, v1
	v_add_co_u32_e64 v1, s[26:27], -1, v1
; %bb.775:                              ;   in Loop: Header=BB6_138 Depth=3
	s_or_b64 exec, exec, s[36:37]
	v_add_u32_e32 v2, 0xffffff81, v5
	v_mov_b32_e32 v4, 0xffffff82
	v_cndmask_b32_e32 v2, v2, v4, vcc
	v_lshrrev_b32_e32 v4, 23, v0
	v_add3_u32 v6, v6, v2, v4
	v_add_u32_e32 v5, 14, v6
	v_and_b32_e32 v1, 0x1fffff, v1
	v_add_u32_e32 v0, v1, v0
	v_mov_b32_e32 v1, v33
	v_cmp_ne_u32_e32 vcc, 0, v5
                                        ; implicit-def: $vgpr2
	s_and_saveexec_b64 s[26:27], vcc
	s_xor_b64 s[26:27], exec, s[26:27]
; %bb.776:                              ;   in Loop: Header=BB6_138 Depth=3
	v_cmp_lt_u64_e32 vcc, s[88:89], v[0:1]
	v_add_u32_e32 v2, 15, v6
	v_cndmask_b32_e64 v4, 0, 1, vcc
	v_lshrrev_b64 v[0:1], v4, v[0:1]
	v_cndmask_b32_e32 v2, v5, v2, vcc
; %bb.777:                              ;   in Loop: Header=BB6_138 Depth=3
	s_andn2_saveexec_b64 s[26:27], s[26:27]
; %bb.778:                              ;   in Loop: Header=BB6_138 Depth=3
	v_bfe_u32 v2, v0, 23, 1
; %bb.779:                              ;   in Loop: Header=BB6_138 Depth=3
	s_or_b64 exec, exec, s[26:27]
	v_lshrrev_b64 v[0:1], 21, v[0:1]
	v_cmp_gt_i32_e32 vcc, 32, v2
	v_cndmask_b32_e32 v1, 0, v1, vcc
	v_cndmask_b32_e32 v0, 3, v0, vcc
	v_cmp_eq_u64_e64 s[26:27], 0, v[0:1]
	v_min_i32_e32 v1, 31, v2
	v_lshlrev_b32_e32 v1, 2, v1
	v_cmp_eq_u32_e32 vcc, 0, v2
	v_and_b32_e32 v1, 0xfc, v1
	v_and_or_b32 v0, v0, 3, v1
	s_and_b64 s[26:27], vcc, s[26:27]
	v_cndmask_b32_e64 v0, v0, 0, s[26:27]
	v_or_b32_e32 v0, v0, v3
	buffer_store_dword v0, off, s[0:3], s33 offset:260 ; 4-byte Folded Spill
.LBB6_780:                              ;   in Loop: Header=BB6_138 Depth=3
	s_or_b64 exec, exec, s[34:35]
                                        ; implicit-def: $vgpr3
.LBB6_781:                              ;   in Loop: Header=BB6_138 Depth=3
	s_andn2_saveexec_b64 s[26:27], s[30:31]
	s_cbranch_execz .LBB6_783
; %bb.782:                              ;   in Loop: Header=BB6_138 Depth=3
	v_or_b32_e32 v0, 0x7b, v3
	buffer_store_dword v0, off, s[0:3], s33 offset:260 ; 4-byte Folded Spill
.LBB6_783:                              ;   in Loop: Header=BB6_138 Depth=3
	s_or_b64 exec, exec, s[26:27]
                                        ; implicit-def: $vgpr2
                                        ; implicit-def: $vgpr0_vgpr1
.LBB6_784:                              ;   in Loop: Header=BB6_138 Depth=3
	s_andn2_saveexec_b64 s[26:27], s[94:95]
	s_cbranch_execz .LBB6_790
; %bb.785:                              ;   in Loop: Header=BB6_138 Depth=3
	v_cmp_ne_u64_e32 vcc, 0, v[0:1]
                                        ; implicit-def: $vgpr0
                                        ; kill: killed $vgpr0
	s_and_saveexec_b64 s[62:63], vcc
	s_xor_b64 s[94:95], exec, s[62:63]
	s_cbranch_execz .LBB6_787
; %bb.786:                              ;   in Loop: Header=BB6_138 Depth=3
	v_or_b32_sdwa v0, v2, s44 dst_sel:DWORD dst_unused:UNUSED_PAD src0_sel:BYTE_3 src1_sel:DWORD
	buffer_store_dword v0, off, s[0:3], s33 offset:260 ; 4-byte Folded Spill
                                        ; implicit-def: $vgpr2
.LBB6_787:                              ;   in Loop: Header=BB6_138 Depth=3
	s_andn2_saveexec_b64 s[94:95], s[94:95]
	s_cbranch_execz .LBB6_789
; %bb.788:                              ;   in Loop: Header=BB6_138 Depth=3
	v_cmp_lt_i32_e32 vcc, -1, v2
	v_bfrev_b32_e32 v0, 0.5
	v_mov_b32_e32 v1, 0x7c
	v_cndmask_b32_e32 v0, v0, v1, vcc
	buffer_store_dword v0, off, s[0:3], s33 offset:260 ; 4-byte Folded Spill
.LBB6_789:                              ;   in Loop: Header=BB6_138 Depth=3
	s_or_b64 exec, exec, s[94:95]
.LBB6_790:                              ;   in Loop: Header=BB6_138 Depth=3
	s_or_b64 exec, exec, s[26:27]
	v_cmp_lt_u64_e32 vcc, s[56:57], v[8:9]
	v_mov_b32_e32 v1, 0
	s_and_saveexec_b64 s[26:27], vcc
	s_cbranch_execz .LBB6_798
; %bb.791:                              ;   in Loop: Header=BB6_138 Depth=3
	v_lshrrev_b32_e32 v0, 24, v9
	v_cmp_ne_u32_e32 vcc, s97, v0
	v_bfrev_b32_e32 v1, 1
	s_and_saveexec_b64 s[94:95], vcc
	s_cbranch_execz .LBB6_797
; %bb.792:                              ;   in Loop: Header=BB6_138 Depth=3
	v_and_b32_e32 v1, 0x7c000000, v9
	v_bfe_u32 v2, v9, 24, 2
	v_cmp_ne_u32_e32 vcc, s68, v1
                                        ; implicit-def: $vgpr1
	s_and_saveexec_b64 s[62:63], vcc
	s_xor_b64 s[30:31], exec, s[62:63]
	s_cbranch_execz .LBB6_794
; %bb.793:                              ;   in Loop: Header=BB6_138 Depth=3
	v_ffbh_u32_e32 v1, v2
	v_min_u32_e32 v4, 32, v1
	v_subrev_u32_e32 v1, 29, v4
	v_lshlrev_b64 v[0:1], v1, v[0:1]
	v_bfe_u32 v3, v9, 26, 5
	v_sub_u32_e32 v1, 30, v4
	v_and_b32_e32 v0, 3, v0
	v_cmp_eq_u32_e32 vcc, 0, v3
	v_cndmask_b32_e32 v1, v3, v1, vcc
	v_cndmask_b32_e32 v0, v2, v0, vcc
	v_and_b32_e32 v2, 0x80000000, v9
	v_lshl_add_u32 v1, v1, 23, v2
	v_lshl_or_b32 v0, v0, 21, v1
	v_add_u32_e32 v1, 0x38000000, v0
                                        ; implicit-def: $vgpr2
.LBB6_794:                              ;   in Loop: Header=BB6_138 Depth=3
	s_andn2_saveexec_b64 s[30:31], s[30:31]
; %bb.795:                              ;   in Loop: Header=BB6_138 Depth=3
	v_cmp_lt_i64_e32 vcc, -1, v[8:9]
	v_mov_b32_e32 v0, 0xff800000
	v_mov_b32_e32 v1, 0x7f800000
	v_cndmask_b32_e32 v0, v0, v1, vcc
	v_cmp_eq_u32_e32 vcc, 0, v2
	v_mov_b32_e32 v1, 0x7f800001
	v_cndmask_b32_e32 v1, v1, v0, vcc
; %bb.796:                              ;   in Loop: Header=BB6_138 Depth=3
	s_or_b64 exec, exec, s[30:31]
.LBB6_797:                              ;   in Loop: Header=BB6_138 Depth=3
	s_or_b64 exec, exec, s[94:95]
.LBB6_798:                              ;   in Loop: Header=BB6_138 Depth=3
	s_or_b64 exec, exec, s[26:27]
	v_mul_f32_e32 v2, v14, v1
	v_and_b32_e32 v3, 0x7f800000, v2
	v_mov_b32_e32 v4, v33
	v_cmp_ne_u64_e32 vcc, s[76:77], v[3:4]
	v_and_b32_e32 v0, 0x7fffff, v2
	v_mov_b32_e32 v1, v33
                                        ; implicit-def: $vgpr3
                                        ; kill: killed $vgpr3
	s_and_saveexec_b64 s[26:27], vcc
	s_xor_b64 s[94:95], exec, s[26:27]
	s_cbranch_execz .LBB6_812
; %bb.799:                              ;   in Loop: Header=BB6_138 Depth=3
	v_and_b32_e32 v3, 0x7fffffff, v2
	v_mov_b32_e32 v4, v33
	v_cmp_gt_u64_e32 vcc, s[78:79], v[3:4]
	v_and_b32_sdwa v3, v2, s97 dst_sel:DWORD dst_unused:UNUSED_PAD src0_sel:BYTE_3 src1_sel:DWORD
                                        ; implicit-def: $vgpr4
                                        ; kill: killed $vgpr4
	s_and_saveexec_b64 s[26:27], vcc
	s_xor_b64 s[30:31], exec, s[26:27]
	s_cbranch_execz .LBB6_809
; %bb.800:                              ;   in Loop: Header=BB6_138 Depth=3
	v_mov_b32_e32 v4, 0
	v_cmp_ne_u32_e32 vcc, 0, v2
	buffer_store_dword v4, off, s[0:3], s33 offset:268 ; 4-byte Folded Spill
	s_and_saveexec_b64 s[34:35], vcc
	s_cbranch_execz .LBB6_808
; %bb.801:                              ;   in Loop: Header=BB6_138 Depth=3
	v_bfe_u32 v5, v2, 23, 8
	v_cmp_gt_u32_e64 s[26:27], s47, v5
	v_sub_u32_e32 v2, 0x71, v5
	v_cmp_eq_u32_e32 vcc, 0, v5
	v_cndmask_b32_e64 v2, 0, v2, s[26:27]
	v_mov_b32_e32 v6, 0x70
	v_cndmask_b32_e32 v6, v2, v6, vcc
	v_add_u32_e32 v2, 21, v6
	v_or_b32_e32 v4, 0x800000, v0
	v_lshlrev_b64 v[7:8], v2, -1
	v_cndmask_b32_e32 v0, v4, v0, vcc
	v_add_u32_e32 v2, 20, v6
	v_bfi_b32 v7, v7, 0, v0
	v_lshlrev_b64 v[15:16], v2, 1
	v_lshrrev_b64 v[0:1], v6, v[0:1]
	v_bfi_b32 v8, v8, 0, 0
	v_cmp_eq_u64_e64 s[26:27], v[7:8], v[15:16]
	v_mov_b32_e32 v2, v1
	v_mov_b32_e32 v1, v0
	s_and_saveexec_b64 s[36:37], s[26:27]
; %bb.802:                              ;   in Loop: Header=BB6_138 Depth=3
	v_bfe_u32 v1, v0, 21, 1
	v_add_co_u32_e64 v1, s[26:27], v0, v1
	v_add_co_u32_e64 v1, s[26:27], -1, v1
; %bb.803:                              ;   in Loop: Header=BB6_138 Depth=3
	s_or_b64 exec, exec, s[36:37]
	v_add_u32_e32 v2, 0xffffff81, v5
	v_mov_b32_e32 v4, 0xffffff82
	v_cndmask_b32_e32 v2, v2, v4, vcc
	v_lshrrev_b32_e32 v4, 23, v0
	v_add3_u32 v6, v6, v2, v4
	v_add_u32_e32 v5, 14, v6
	v_and_b32_e32 v1, 0x1fffff, v1
	v_add_u32_e32 v0, v1, v0
	v_mov_b32_e32 v1, v33
	v_cmp_ne_u32_e32 vcc, 0, v5
                                        ; implicit-def: $vgpr2
	s_and_saveexec_b64 s[26:27], vcc
	s_xor_b64 s[26:27], exec, s[26:27]
; %bb.804:                              ;   in Loop: Header=BB6_138 Depth=3
	v_cmp_lt_u64_e32 vcc, s[88:89], v[0:1]
	v_add_u32_e32 v2, 15, v6
	v_cndmask_b32_e64 v4, 0, 1, vcc
	v_lshrrev_b64 v[0:1], v4, v[0:1]
	v_cndmask_b32_e32 v2, v5, v2, vcc
; %bb.805:                              ;   in Loop: Header=BB6_138 Depth=3
	s_andn2_saveexec_b64 s[26:27], s[26:27]
; %bb.806:                              ;   in Loop: Header=BB6_138 Depth=3
	v_bfe_u32 v2, v0, 23, 1
; %bb.807:                              ;   in Loop: Header=BB6_138 Depth=3
	s_or_b64 exec, exec, s[26:27]
	v_lshrrev_b64 v[0:1], 21, v[0:1]
	v_cmp_gt_i32_e32 vcc, 32, v2
	v_cndmask_b32_e32 v1, 0, v1, vcc
	v_cndmask_b32_e32 v0, 3, v0, vcc
	v_cmp_eq_u64_e64 s[26:27], 0, v[0:1]
	v_min_i32_e32 v1, 31, v2
	v_lshlrev_b32_e32 v1, 2, v1
	v_cmp_eq_u32_e32 vcc, 0, v2
	v_and_b32_e32 v1, 0xfc, v1
	v_and_or_b32 v0, v0, 3, v1
	s_and_b64 s[26:27], vcc, s[26:27]
	v_cndmask_b32_e64 v0, v0, 0, s[26:27]
	v_or_b32_e32 v0, v0, v3
	buffer_store_dword v0, off, s[0:3], s33 offset:268 ; 4-byte Folded Spill
.LBB6_808:                              ;   in Loop: Header=BB6_138 Depth=3
	s_or_b64 exec, exec, s[34:35]
                                        ; implicit-def: $vgpr3
.LBB6_809:                              ;   in Loop: Header=BB6_138 Depth=3
	s_andn2_saveexec_b64 s[26:27], s[30:31]
	s_cbranch_execz .LBB6_811
; %bb.810:                              ;   in Loop: Header=BB6_138 Depth=3
	v_or_b32_e32 v0, 0x7b, v3
	buffer_store_dword v0, off, s[0:3], s33 offset:268 ; 4-byte Folded Spill
.LBB6_811:                              ;   in Loop: Header=BB6_138 Depth=3
	s_or_b64 exec, exec, s[26:27]
                                        ; implicit-def: $vgpr2
                                        ; implicit-def: $vgpr0_vgpr1
.LBB6_812:                              ;   in Loop: Header=BB6_138 Depth=3
	s_andn2_saveexec_b64 s[26:27], s[94:95]
	s_cbranch_execz .LBB6_818
; %bb.813:                              ;   in Loop: Header=BB6_138 Depth=3
	v_cmp_ne_u64_e32 vcc, 0, v[0:1]
                                        ; implicit-def: $vgpr0
                                        ; kill: killed $vgpr0
	s_and_saveexec_b64 s[62:63], vcc
	s_xor_b64 s[94:95], exec, s[62:63]
	s_cbranch_execz .LBB6_815
; %bb.814:                              ;   in Loop: Header=BB6_138 Depth=3
	v_or_b32_sdwa v0, v2, s44 dst_sel:DWORD dst_unused:UNUSED_PAD src0_sel:BYTE_3 src1_sel:DWORD
	buffer_store_dword v0, off, s[0:3], s33 offset:268 ; 4-byte Folded Spill
                                        ; implicit-def: $vgpr2
.LBB6_815:                              ;   in Loop: Header=BB6_138 Depth=3
	s_andn2_saveexec_b64 s[94:95], s[94:95]
	s_cbranch_execz .LBB6_817
; %bb.816:                              ;   in Loop: Header=BB6_138 Depth=3
	v_cmp_lt_i32_e32 vcc, -1, v2
	v_bfrev_b32_e32 v0, 0.5
	v_mov_b32_e32 v1, 0x7c
	v_cndmask_b32_e32 v0, v0, v1, vcc
	buffer_store_dword v0, off, s[0:3], s33 offset:268 ; 4-byte Folded Spill
.LBB6_817:                              ;   in Loop: Header=BB6_138 Depth=3
	s_or_b64 exec, exec, s[94:95]
.LBB6_818:                              ;   in Loop: Header=BB6_138 Depth=3
	s_or_b64 exec, exec, s[26:27]
	v_cmp_ne_u16_sdwa s[62:63], v10, v33 src0_sel:BYTE_0 src1_sel:DWORD
	v_mov_b32_e32 v0, 0
	s_and_saveexec_b64 s[26:27], s[62:63]
	s_cbranch_execz .LBB6_826
; %bb.819:                              ;   in Loop: Header=BB6_138 Depth=3
	v_cmp_ne_u16_sdwa s[62:63], sext(v10), s46 src0_sel:BYTE_0 src1_sel:DWORD
	v_bfrev_b32_e32 v0, 1
	s_and_saveexec_b64 s[94:95], s[62:63]
	s_cbranch_execz .LBB6_825
; %bb.820:                              ;   in Loop: Header=BB6_138 Depth=3
	v_and_b32_e32 v0, 0x7c, v10
	v_and_b32_e32 v1, 3, v10
	v_cmp_ne_u32_e32 vcc, s86, v0
                                        ; implicit-def: $vgpr0
	s_and_saveexec_b64 s[62:63], vcc
	s_xor_b64 s[30:31], exec, s[62:63]
	s_cbranch_execz .LBB6_822
; %bb.821:                              ;   in Loop: Header=BB6_138 Depth=3
	v_ffbh_u32_e32 v2, v1
	v_min_u32_e32 v4, 32, v2
	v_subrev_u32_e32 v2, 29, v4
	v_lshlrev_b64 v[2:3], v2, v[10:11]
	v_bfe_u32 v0, v10, 2, 5
	v_and_b32_e32 v2, 3, v2
	v_cmp_eq_u32_e32 vcc, 0, v0
	v_sub_u32_e32 v3, 30, v4
	v_cndmask_b32_e32 v1, v1, v2, vcc
	v_lshlrev_b32_e32 v2, 24, v10
	v_cndmask_b32_e32 v0, v0, v3, vcc
	v_and_b32_e32 v2, 0x80000000, v2
	v_lshl_add_u32 v0, v0, 23, v2
	v_lshl_or_b32 v0, v1, 21, v0
	v_add_u32_e32 v0, 0x38000000, v0
                                        ; implicit-def: $vgpr1
.LBB6_822:                              ;   in Loop: Header=BB6_138 Depth=3
	s_andn2_saveexec_b64 s[30:31], s[30:31]
; %bb.823:                              ;   in Loop: Header=BB6_138 Depth=3
	v_mov_b32_e32 v0, -1
	v_cmp_gt_i16_sdwa vcc, sext(v10), v0 src0_sel:BYTE_0 src1_sel:DWORD
	v_mov_b32_e32 v0, 0xff800000
	v_mov_b32_e32 v2, 0x7f800000
	v_cndmask_b32_e32 v0, v0, v2, vcc
	v_cmp_eq_u32_e32 vcc, 0, v1
	v_mov_b32_e32 v1, 0x7f800001
	v_cndmask_b32_e32 v0, v1, v0, vcc
; %bb.824:                              ;   in Loop: Header=BB6_138 Depth=3
	s_or_b64 exec, exec, s[30:31]
.LBB6_825:                              ;   in Loop: Header=BB6_138 Depth=3
	s_or_b64 exec, exec, s[94:95]
.LBB6_826:                              ;   in Loop: Header=BB6_138 Depth=3
	s_or_b64 exec, exec, s[26:27]
	v_mul_f32_e32 v2, v14, v0
	v_and_b32_e32 v3, 0x7f800000, v2
	v_mov_b32_e32 v4, v33
	v_cmp_ne_u64_e32 vcc, s[76:77], v[3:4]
	v_and_b32_e32 v0, 0x7fffff, v2
	v_mov_b32_e32 v1, v33
                                        ; implicit-def: $vgpr3
                                        ; kill: killed $vgpr3
	s_and_saveexec_b64 s[26:27], vcc
	s_xor_b64 s[94:95], exec, s[26:27]
	s_cbranch_execz .LBB6_840
; %bb.827:                              ;   in Loop: Header=BB6_138 Depth=3
	v_and_b32_e32 v3, 0x7fffffff, v2
	v_mov_b32_e32 v4, v33
	v_cmp_gt_u64_e32 vcc, s[78:79], v[3:4]
	v_and_b32_sdwa v3, v2, s97 dst_sel:DWORD dst_unused:UNUSED_PAD src0_sel:BYTE_3 src1_sel:DWORD
                                        ; implicit-def: $vgpr4
                                        ; kill: killed $vgpr4
	s_and_saveexec_b64 s[26:27], vcc
	s_xor_b64 s[30:31], exec, s[26:27]
	s_cbranch_execz .LBB6_837
; %bb.828:                              ;   in Loop: Header=BB6_138 Depth=3
	v_mov_b32_e32 v4, 0
	v_cmp_ne_u32_e32 vcc, 0, v2
	buffer_store_dword v4, off, s[0:3], s33 offset:288 ; 4-byte Folded Spill
	s_and_saveexec_b64 s[34:35], vcc
	s_cbranch_execz .LBB6_836
; %bb.829:                              ;   in Loop: Header=BB6_138 Depth=3
	v_bfe_u32 v5, v2, 23, 8
	v_cmp_gt_u32_e64 s[26:27], s47, v5
	v_sub_u32_e32 v2, 0x71, v5
	v_cmp_eq_u32_e32 vcc, 0, v5
	v_cndmask_b32_e64 v2, 0, v2, s[26:27]
	v_mov_b32_e32 v6, 0x70
	v_cndmask_b32_e32 v6, v2, v6, vcc
	v_add_u32_e32 v2, 21, v6
	v_or_b32_e32 v4, 0x800000, v0
	v_lshlrev_b64 v[7:8], v2, -1
	v_cndmask_b32_e32 v0, v4, v0, vcc
	v_add_u32_e32 v2, 20, v6
	v_bfi_b32 v7, v7, 0, v0
	v_lshlrev_b64 v[15:16], v2, 1
	v_lshrrev_b64 v[0:1], v6, v[0:1]
	v_bfi_b32 v8, v8, 0, 0
	v_cmp_eq_u64_e64 s[26:27], v[7:8], v[15:16]
	v_mov_b32_e32 v2, v1
	v_mov_b32_e32 v1, v0
	s_and_saveexec_b64 s[36:37], s[26:27]
; %bb.830:                              ;   in Loop: Header=BB6_138 Depth=3
	v_bfe_u32 v1, v0, 21, 1
	v_add_co_u32_e64 v1, s[26:27], v0, v1
	v_add_co_u32_e64 v1, s[26:27], -1, v1
; %bb.831:                              ;   in Loop: Header=BB6_138 Depth=3
	s_or_b64 exec, exec, s[36:37]
	v_add_u32_e32 v2, 0xffffff81, v5
	v_mov_b32_e32 v4, 0xffffff82
	v_cndmask_b32_e32 v2, v2, v4, vcc
	v_lshrrev_b32_e32 v4, 23, v0
	v_add3_u32 v6, v6, v2, v4
	v_add_u32_e32 v5, 14, v6
	v_and_b32_e32 v1, 0x1fffff, v1
	v_add_u32_e32 v0, v1, v0
	v_mov_b32_e32 v1, v33
	v_cmp_ne_u32_e32 vcc, 0, v5
                                        ; implicit-def: $vgpr2
	s_and_saveexec_b64 s[26:27], vcc
	s_xor_b64 s[26:27], exec, s[26:27]
; %bb.832:                              ;   in Loop: Header=BB6_138 Depth=3
	v_cmp_lt_u64_e32 vcc, s[88:89], v[0:1]
	v_add_u32_e32 v2, 15, v6
	v_cndmask_b32_e64 v4, 0, 1, vcc
	v_lshrrev_b64 v[0:1], v4, v[0:1]
	v_cndmask_b32_e32 v2, v5, v2, vcc
; %bb.833:                              ;   in Loop: Header=BB6_138 Depth=3
	s_andn2_saveexec_b64 s[26:27], s[26:27]
; %bb.834:                              ;   in Loop: Header=BB6_138 Depth=3
	v_bfe_u32 v2, v0, 23, 1
; %bb.835:                              ;   in Loop: Header=BB6_138 Depth=3
	s_or_b64 exec, exec, s[26:27]
	v_lshrrev_b64 v[0:1], 21, v[0:1]
	v_cmp_gt_i32_e32 vcc, 32, v2
	v_cndmask_b32_e32 v1, 0, v1, vcc
	v_cndmask_b32_e32 v0, 3, v0, vcc
	v_cmp_eq_u64_e64 s[26:27], 0, v[0:1]
	v_min_i32_e32 v1, 31, v2
	v_lshlrev_b32_e32 v1, 2, v1
	v_cmp_eq_u32_e32 vcc, 0, v2
	v_and_b32_e32 v1, 0xfc, v1
	v_and_or_b32 v0, v0, 3, v1
	s_and_b64 s[26:27], vcc, s[26:27]
	v_cndmask_b32_e64 v0, v0, 0, s[26:27]
	v_or_b32_e32 v0, v0, v3
	buffer_store_dword v0, off, s[0:3], s33 offset:288 ; 4-byte Folded Spill
.LBB6_836:                              ;   in Loop: Header=BB6_138 Depth=3
	s_or_b64 exec, exec, s[34:35]
                                        ; implicit-def: $vgpr3
.LBB6_837:                              ;   in Loop: Header=BB6_138 Depth=3
	s_andn2_saveexec_b64 s[26:27], s[30:31]
	s_cbranch_execz .LBB6_839
; %bb.838:                              ;   in Loop: Header=BB6_138 Depth=3
	v_or_b32_e32 v0, 0x7b, v3
	buffer_store_dword v0, off, s[0:3], s33 offset:288 ; 4-byte Folded Spill
.LBB6_839:                              ;   in Loop: Header=BB6_138 Depth=3
	s_or_b64 exec, exec, s[26:27]
                                        ; implicit-def: $vgpr2
                                        ; implicit-def: $vgpr0_vgpr1
.LBB6_840:                              ;   in Loop: Header=BB6_138 Depth=3
	s_andn2_saveexec_b64 s[26:27], s[94:95]
	s_cbranch_execz .LBB6_846
; %bb.841:                              ;   in Loop: Header=BB6_138 Depth=3
	v_cmp_ne_u64_e32 vcc, 0, v[0:1]
                                        ; implicit-def: $vgpr0
                                        ; kill: killed $vgpr0
	s_and_saveexec_b64 s[62:63], vcc
	s_xor_b64 s[94:95], exec, s[62:63]
	s_cbranch_execz .LBB6_843
; %bb.842:                              ;   in Loop: Header=BB6_138 Depth=3
	v_or_b32_sdwa v0, v2, s44 dst_sel:DWORD dst_unused:UNUSED_PAD src0_sel:BYTE_3 src1_sel:DWORD
	buffer_store_dword v0, off, s[0:3], s33 offset:288 ; 4-byte Folded Spill
                                        ; implicit-def: $vgpr2
.LBB6_843:                              ;   in Loop: Header=BB6_138 Depth=3
	s_andn2_saveexec_b64 s[94:95], s[94:95]
	s_cbranch_execz .LBB6_845
; %bb.844:                              ;   in Loop: Header=BB6_138 Depth=3
	v_cmp_lt_i32_e32 vcc, -1, v2
	v_bfrev_b32_e32 v0, 0.5
	v_mov_b32_e32 v1, 0x7c
	v_cndmask_b32_e32 v0, v0, v1, vcc
	buffer_store_dword v0, off, s[0:3], s33 offset:288 ; 4-byte Folded Spill
.LBB6_845:                              ;   in Loop: Header=BB6_138 Depth=3
	s_or_b64 exec, exec, s[94:95]
.LBB6_846:                              ;   in Loop: Header=BB6_138 Depth=3
	s_or_b64 exec, exec, s[26:27]
	v_lshrrev_b16_e32 v0, 8, v10
	v_cmp_ne_u16_e32 vcc, 0, v0
	v_mov_b32_e32 v1, 0
	s_and_saveexec_b64 s[26:27], vcc
	s_cbranch_execz .LBB6_854
; %bb.847:                              ;   in Loop: Header=BB6_138 Depth=3
	v_cmp_ne_u16_e32 vcc, s97, v0
	v_bfrev_b32_e32 v1, 1
	s_and_saveexec_b64 s[94:95], vcc
	s_cbranch_execz .LBB6_853
; %bb.848:                              ;   in Loop: Header=BB6_138 Depth=3
	v_and_b32_e32 v1, 0x7c, v0
	v_and_b32_e32 v2, 3, v0
	v_cmp_ne_u32_e32 vcc, s86, v1
                                        ; implicit-def: $vgpr1
	s_and_saveexec_b64 s[62:63], vcc
	s_xor_b64 s[30:31], exec, s[62:63]
	s_cbranch_execz .LBB6_850
; %bb.849:                              ;   in Loop: Header=BB6_138 Depth=3
	v_ffbh_u32_e32 v4, v2
	v_min_u32_e32 v4, 32, v4
	v_mov_b32_e32 v1, v33
	v_subrev_u32_e32 v5, 29, v4
	v_bfe_u32 v3, v0, 2, 5
	v_lshlrev_b64 v[0:1], v5, v[0:1]
	v_cmp_eq_u32_e32 vcc, 0, v3
	v_and_b32_e32 v0, 3, v0
	v_sub_u32_e32 v1, 30, v4
	v_cndmask_b32_e32 v0, v2, v0, vcc
	v_lshlrev_b32_e32 v2, 16, v10
	v_cndmask_b32_e32 v1, v3, v1, vcc
	v_and_b32_e32 v2, 0x80000000, v2
	v_lshl_add_u32 v1, v1, 23, v2
	v_lshl_or_b32 v0, v0, 21, v1
	v_add_u32_e32 v1, 0x38000000, v0
                                        ; implicit-def: $vgpr2
.LBB6_850:                              ;   in Loop: Header=BB6_138 Depth=3
	s_andn2_saveexec_b64 s[30:31], s[30:31]
; %bb.851:                              ;   in Loop: Header=BB6_138 Depth=3
	v_cmp_lt_i16_e32 vcc, -1, v10
	v_mov_b32_e32 v0, 0xff800000
	v_mov_b32_e32 v1, 0x7f800000
	v_cndmask_b32_e32 v0, v0, v1, vcc
	v_cmp_eq_u32_e32 vcc, 0, v2
	v_mov_b32_e32 v1, 0x7f800001
	v_cndmask_b32_e32 v1, v1, v0, vcc
; %bb.852:                              ;   in Loop: Header=BB6_138 Depth=3
	s_or_b64 exec, exec, s[30:31]
.LBB6_853:                              ;   in Loop: Header=BB6_138 Depth=3
	s_or_b64 exec, exec, s[94:95]
.LBB6_854:                              ;   in Loop: Header=BB6_138 Depth=3
	s_or_b64 exec, exec, s[26:27]
	v_mul_f32_e32 v2, v14, v1
	v_and_b32_e32 v3, 0x7f800000, v2
	v_mov_b32_e32 v4, v33
	v_cmp_ne_u64_e32 vcc, s[76:77], v[3:4]
	v_and_b32_e32 v0, 0x7fffff, v2
	v_mov_b32_e32 v1, v33
                                        ; implicit-def: $vgpr3
                                        ; kill: killed $vgpr3
	s_and_saveexec_b64 s[26:27], vcc
	s_xor_b64 s[94:95], exec, s[26:27]
	s_cbranch_execz .LBB6_868
; %bb.855:                              ;   in Loop: Header=BB6_138 Depth=3
	v_and_b32_e32 v3, 0x7fffffff, v2
	v_mov_b32_e32 v4, v33
	v_cmp_gt_u64_e32 vcc, s[78:79], v[3:4]
	v_and_b32_sdwa v3, v2, s97 dst_sel:DWORD dst_unused:UNUSED_PAD src0_sel:BYTE_3 src1_sel:DWORD
                                        ; implicit-def: $vgpr4
                                        ; kill: killed $vgpr4
	s_and_saveexec_b64 s[26:27], vcc
	s_xor_b64 s[30:31], exec, s[26:27]
	s_cbranch_execz .LBB6_865
; %bb.856:                              ;   in Loop: Header=BB6_138 Depth=3
	v_mov_b32_e32 v4, 0
	v_cmp_ne_u32_e32 vcc, 0, v2
	buffer_store_dword v4, off, s[0:3], s33 offset:296 ; 4-byte Folded Spill
	s_and_saveexec_b64 s[34:35], vcc
	s_cbranch_execz .LBB6_864
; %bb.857:                              ;   in Loop: Header=BB6_138 Depth=3
	v_bfe_u32 v5, v2, 23, 8
	v_cmp_gt_u32_e64 s[26:27], s47, v5
	v_sub_u32_e32 v2, 0x71, v5
	v_cmp_eq_u32_e32 vcc, 0, v5
	v_cndmask_b32_e64 v2, 0, v2, s[26:27]
	v_mov_b32_e32 v6, 0x70
	v_cndmask_b32_e32 v6, v2, v6, vcc
	v_add_u32_e32 v2, 21, v6
	v_or_b32_e32 v4, 0x800000, v0
	v_lshlrev_b64 v[7:8], v2, -1
	v_cndmask_b32_e32 v0, v4, v0, vcc
	v_add_u32_e32 v2, 20, v6
	v_bfi_b32 v7, v7, 0, v0
	v_lshlrev_b64 v[15:16], v2, 1
	v_lshrrev_b64 v[0:1], v6, v[0:1]
	v_bfi_b32 v8, v8, 0, 0
	v_cmp_eq_u64_e64 s[26:27], v[7:8], v[15:16]
	v_mov_b32_e32 v2, v1
	v_mov_b32_e32 v1, v0
	s_and_saveexec_b64 s[36:37], s[26:27]
; %bb.858:                              ;   in Loop: Header=BB6_138 Depth=3
	v_bfe_u32 v1, v0, 21, 1
	v_add_co_u32_e64 v1, s[26:27], v0, v1
	v_add_co_u32_e64 v1, s[26:27], -1, v1
; %bb.859:                              ;   in Loop: Header=BB6_138 Depth=3
	s_or_b64 exec, exec, s[36:37]
	v_add_u32_e32 v2, 0xffffff81, v5
	v_mov_b32_e32 v4, 0xffffff82
	v_cndmask_b32_e32 v2, v2, v4, vcc
	v_lshrrev_b32_e32 v4, 23, v0
	v_add3_u32 v6, v6, v2, v4
	v_add_u32_e32 v5, 14, v6
	v_and_b32_e32 v1, 0x1fffff, v1
	v_add_u32_e32 v0, v1, v0
	v_mov_b32_e32 v1, v33
	v_cmp_ne_u32_e32 vcc, 0, v5
                                        ; implicit-def: $vgpr2
	s_and_saveexec_b64 s[26:27], vcc
	s_xor_b64 s[26:27], exec, s[26:27]
; %bb.860:                              ;   in Loop: Header=BB6_138 Depth=3
	v_cmp_lt_u64_e32 vcc, s[88:89], v[0:1]
	v_add_u32_e32 v2, 15, v6
	v_cndmask_b32_e64 v4, 0, 1, vcc
	v_lshrrev_b64 v[0:1], v4, v[0:1]
	v_cndmask_b32_e32 v2, v5, v2, vcc
; %bb.861:                              ;   in Loop: Header=BB6_138 Depth=3
	s_andn2_saveexec_b64 s[26:27], s[26:27]
; %bb.862:                              ;   in Loop: Header=BB6_138 Depth=3
	v_bfe_u32 v2, v0, 23, 1
; %bb.863:                              ;   in Loop: Header=BB6_138 Depth=3
	s_or_b64 exec, exec, s[26:27]
	v_lshrrev_b64 v[0:1], 21, v[0:1]
	v_cmp_gt_i32_e32 vcc, 32, v2
	v_cndmask_b32_e32 v1, 0, v1, vcc
	v_cndmask_b32_e32 v0, 3, v0, vcc
	v_cmp_eq_u64_e64 s[26:27], 0, v[0:1]
	v_min_i32_e32 v1, 31, v2
	v_lshlrev_b32_e32 v1, 2, v1
	v_cmp_eq_u32_e32 vcc, 0, v2
	v_and_b32_e32 v1, 0xfc, v1
	v_and_or_b32 v0, v0, 3, v1
	s_and_b64 s[26:27], vcc, s[26:27]
	v_cndmask_b32_e64 v0, v0, 0, s[26:27]
	v_or_b32_e32 v0, v0, v3
	buffer_store_dword v0, off, s[0:3], s33 offset:296 ; 4-byte Folded Spill
.LBB6_864:                              ;   in Loop: Header=BB6_138 Depth=3
	s_or_b64 exec, exec, s[34:35]
                                        ; implicit-def: $vgpr3
.LBB6_865:                              ;   in Loop: Header=BB6_138 Depth=3
	s_andn2_saveexec_b64 s[26:27], s[30:31]
	s_cbranch_execz .LBB6_867
; %bb.866:                              ;   in Loop: Header=BB6_138 Depth=3
	v_or_b32_e32 v0, 0x7b, v3
	buffer_store_dword v0, off, s[0:3], s33 offset:296 ; 4-byte Folded Spill
.LBB6_867:                              ;   in Loop: Header=BB6_138 Depth=3
	s_or_b64 exec, exec, s[26:27]
                                        ; implicit-def: $vgpr2
                                        ; implicit-def: $vgpr0_vgpr1
.LBB6_868:                              ;   in Loop: Header=BB6_138 Depth=3
	s_andn2_saveexec_b64 s[26:27], s[94:95]
	s_cbranch_execz .LBB6_874
; %bb.869:                              ;   in Loop: Header=BB6_138 Depth=3
	v_cmp_ne_u64_e32 vcc, 0, v[0:1]
                                        ; implicit-def: $vgpr0
                                        ; kill: killed $vgpr0
	s_and_saveexec_b64 s[62:63], vcc
	s_xor_b64 s[94:95], exec, s[62:63]
	s_cbranch_execz .LBB6_871
; %bb.870:                              ;   in Loop: Header=BB6_138 Depth=3
	v_or_b32_sdwa v0, v2, s44 dst_sel:DWORD dst_unused:UNUSED_PAD src0_sel:BYTE_3 src1_sel:DWORD
	buffer_store_dword v0, off, s[0:3], s33 offset:296 ; 4-byte Folded Spill
                                        ; implicit-def: $vgpr2
.LBB6_871:                              ;   in Loop: Header=BB6_138 Depth=3
	s_andn2_saveexec_b64 s[94:95], s[94:95]
	s_cbranch_execz .LBB6_873
; %bb.872:                              ;   in Loop: Header=BB6_138 Depth=3
	v_cmp_lt_i32_e32 vcc, -1, v2
	v_bfrev_b32_e32 v0, 0.5
	v_mov_b32_e32 v1, 0x7c
	v_cndmask_b32_e32 v0, v0, v1, vcc
	buffer_store_dword v0, off, s[0:3], s33 offset:296 ; 4-byte Folded Spill
.LBB6_873:                              ;   in Loop: Header=BB6_138 Depth=3
	s_or_b64 exec, exec, s[94:95]
.LBB6_874:                              ;   in Loop: Header=BB6_138 Depth=3
	s_or_b64 exec, exec, s[26:27]
	v_lshrrev_b32_e32 v0, 16, v10
	v_cmp_ne_u16_sdwa s[62:63], v0, v33 src0_sel:BYTE_0 src1_sel:DWORD
	v_mov_b32_e32 v1, 0
	s_and_saveexec_b64 s[26:27], s[62:63]
	s_cbranch_execz .LBB6_882
; %bb.875:                              ;   in Loop: Header=BB6_138 Depth=3
	v_cmp_ne_u16_sdwa s[62:63], v0, s97 src0_sel:BYTE_0 src1_sel:DWORD
	v_bfrev_b32_e32 v1, 1
	s_and_saveexec_b64 s[94:95], s[62:63]
	s_cbranch_execz .LBB6_881
; %bb.876:                              ;   in Loop: Header=BB6_138 Depth=3
	v_and_b32_e32 v1, 0x7c0000, v10
	v_bfe_u32 v2, v10, 16, 2
	v_cmp_ne_u32_e32 vcc, s45, v1
                                        ; implicit-def: $vgpr1
	s_and_saveexec_b64 s[62:63], vcc
	s_xor_b64 s[30:31], exec, s[62:63]
	s_cbranch_execz .LBB6_878
; %bb.877:                              ;   in Loop: Header=BB6_138 Depth=3
	v_ffbh_u32_e32 v1, v2
	v_min_u32_e32 v4, 32, v1
	v_subrev_u32_e32 v1, 29, v4
	v_lshlrev_b64 v[0:1], v1, v[0:1]
	v_bfe_u32 v3, v10, 18, 5
	v_and_b32_e32 v0, 3, v0
	v_cmp_eq_u32_e32 vcc, 0, v3
	v_sub_u32_e32 v1, 30, v4
	v_cndmask_b32_e32 v0, v2, v0, vcc
	v_lshlrev_b32_e32 v2, 8, v10
	v_cndmask_b32_e32 v1, v3, v1, vcc
	v_and_b32_e32 v2, 0x80000000, v2
	v_lshl_add_u32 v1, v1, 23, v2
	v_lshl_or_b32 v0, v0, 21, v1
	v_add_u32_e32 v1, 0x38000000, v0
                                        ; implicit-def: $vgpr2
                                        ; implicit-def: $vgpr0
.LBB6_878:                              ;   in Loop: Header=BB6_138 Depth=3
	s_andn2_saveexec_b64 s[30:31], s[30:31]
; %bb.879:                              ;   in Loop: Header=BB6_138 Depth=3
	v_mov_b32_e32 v1, -1
	v_cmp_gt_i16_sdwa vcc, sext(v0), v1 src0_sel:BYTE_0 src1_sel:DWORD
	v_mov_b32_e32 v0, 0xff800000
	v_mov_b32_e32 v1, 0x7f800000
	v_cndmask_b32_e32 v0, v0, v1, vcc
	v_cmp_eq_u32_e32 vcc, 0, v2
	v_mov_b32_e32 v1, 0x7f800001
	v_cndmask_b32_e32 v1, v1, v0, vcc
; %bb.880:                              ;   in Loop: Header=BB6_138 Depth=3
	s_or_b64 exec, exec, s[30:31]
.LBB6_881:                              ;   in Loop: Header=BB6_138 Depth=3
	s_or_b64 exec, exec, s[94:95]
.LBB6_882:                              ;   in Loop: Header=BB6_138 Depth=3
	s_or_b64 exec, exec, s[26:27]
	v_mul_f32_e32 v2, v14, v1
	v_and_b32_e32 v3, 0x7f800000, v2
	v_mov_b32_e32 v4, v33
	v_cmp_ne_u64_e32 vcc, s[76:77], v[3:4]
	v_and_b32_e32 v0, 0x7fffff, v2
	v_mov_b32_e32 v1, v33
                                        ; implicit-def: $vgpr3
                                        ; kill: killed $vgpr3
	s_and_saveexec_b64 s[26:27], vcc
	s_xor_b64 s[94:95], exec, s[26:27]
	s_cbranch_execz .LBB6_896
; %bb.883:                              ;   in Loop: Header=BB6_138 Depth=3
	v_and_b32_e32 v3, 0x7fffffff, v2
	v_mov_b32_e32 v4, v33
	v_cmp_gt_u64_e32 vcc, s[78:79], v[3:4]
	v_and_b32_sdwa v3, v2, s97 dst_sel:DWORD dst_unused:UNUSED_PAD src0_sel:BYTE_3 src1_sel:DWORD
                                        ; implicit-def: $vgpr4
                                        ; kill: killed $vgpr4
	s_and_saveexec_b64 s[26:27], vcc
	s_xor_b64 s[30:31], exec, s[26:27]
	s_cbranch_execz .LBB6_893
; %bb.884:                              ;   in Loop: Header=BB6_138 Depth=3
	v_mov_b32_e32 v4, 0
	v_cmp_ne_u32_e32 vcc, 0, v2
	buffer_store_dword v4, off, s[0:3], s33 offset:300 ; 4-byte Folded Spill
	s_and_saveexec_b64 s[34:35], vcc
	s_cbranch_execz .LBB6_892
; %bb.885:                              ;   in Loop: Header=BB6_138 Depth=3
	v_bfe_u32 v5, v2, 23, 8
	v_cmp_gt_u32_e64 s[26:27], s47, v5
	v_sub_u32_e32 v2, 0x71, v5
	v_cmp_eq_u32_e32 vcc, 0, v5
	v_cndmask_b32_e64 v2, 0, v2, s[26:27]
	v_mov_b32_e32 v6, 0x70
	v_cndmask_b32_e32 v6, v2, v6, vcc
	v_add_u32_e32 v2, 21, v6
	v_or_b32_e32 v4, 0x800000, v0
	v_lshlrev_b64 v[7:8], v2, -1
	v_cndmask_b32_e32 v0, v4, v0, vcc
	v_add_u32_e32 v2, 20, v6
	v_bfi_b32 v7, v7, 0, v0
	v_lshlrev_b64 v[15:16], v2, 1
	v_lshrrev_b64 v[0:1], v6, v[0:1]
	v_bfi_b32 v8, v8, 0, 0
	v_cmp_eq_u64_e64 s[26:27], v[7:8], v[15:16]
	v_mov_b32_e32 v2, v1
	v_mov_b32_e32 v1, v0
	s_and_saveexec_b64 s[36:37], s[26:27]
; %bb.886:                              ;   in Loop: Header=BB6_138 Depth=3
	v_bfe_u32 v1, v0, 21, 1
	v_add_co_u32_e64 v1, s[26:27], v0, v1
	v_add_co_u32_e64 v1, s[26:27], -1, v1
; %bb.887:                              ;   in Loop: Header=BB6_138 Depth=3
	s_or_b64 exec, exec, s[36:37]
	v_add_u32_e32 v2, 0xffffff81, v5
	v_mov_b32_e32 v4, 0xffffff82
	v_cndmask_b32_e32 v2, v2, v4, vcc
	v_lshrrev_b32_e32 v4, 23, v0
	v_add3_u32 v6, v6, v2, v4
	v_add_u32_e32 v5, 14, v6
	v_and_b32_e32 v1, 0x1fffff, v1
	v_add_u32_e32 v0, v1, v0
	v_mov_b32_e32 v1, v33
	v_cmp_ne_u32_e32 vcc, 0, v5
                                        ; implicit-def: $vgpr2
	s_and_saveexec_b64 s[26:27], vcc
	s_xor_b64 s[26:27], exec, s[26:27]
; %bb.888:                              ;   in Loop: Header=BB6_138 Depth=3
	v_cmp_lt_u64_e32 vcc, s[88:89], v[0:1]
	v_add_u32_e32 v2, 15, v6
	v_cndmask_b32_e64 v4, 0, 1, vcc
	v_lshrrev_b64 v[0:1], v4, v[0:1]
	v_cndmask_b32_e32 v2, v5, v2, vcc
; %bb.889:                              ;   in Loop: Header=BB6_138 Depth=3
	s_andn2_saveexec_b64 s[26:27], s[26:27]
; %bb.890:                              ;   in Loop: Header=BB6_138 Depth=3
	v_bfe_u32 v2, v0, 23, 1
; %bb.891:                              ;   in Loop: Header=BB6_138 Depth=3
	s_or_b64 exec, exec, s[26:27]
	v_lshrrev_b64 v[0:1], 21, v[0:1]
	v_cmp_gt_i32_e32 vcc, 32, v2
	v_cndmask_b32_e32 v1, 0, v1, vcc
	v_cndmask_b32_e32 v0, 3, v0, vcc
	v_cmp_eq_u64_e64 s[26:27], 0, v[0:1]
	v_min_i32_e32 v1, 31, v2
	v_lshlrev_b32_e32 v1, 2, v1
	v_cmp_eq_u32_e32 vcc, 0, v2
	v_and_b32_e32 v1, 0xfc, v1
	v_and_or_b32 v0, v0, 3, v1
	s_and_b64 s[26:27], vcc, s[26:27]
	v_cndmask_b32_e64 v0, v0, 0, s[26:27]
	v_or_b32_e32 v0, v0, v3
	buffer_store_dword v0, off, s[0:3], s33 offset:300 ; 4-byte Folded Spill
.LBB6_892:                              ;   in Loop: Header=BB6_138 Depth=3
	s_or_b64 exec, exec, s[34:35]
                                        ; implicit-def: $vgpr3
.LBB6_893:                              ;   in Loop: Header=BB6_138 Depth=3
	s_andn2_saveexec_b64 s[26:27], s[30:31]
	s_cbranch_execz .LBB6_895
; %bb.894:                              ;   in Loop: Header=BB6_138 Depth=3
	v_or_b32_e32 v0, 0x7b, v3
	buffer_store_dword v0, off, s[0:3], s33 offset:300 ; 4-byte Folded Spill
.LBB6_895:                              ;   in Loop: Header=BB6_138 Depth=3
	s_or_b64 exec, exec, s[26:27]
                                        ; implicit-def: $vgpr2
                                        ; implicit-def: $vgpr0_vgpr1
.LBB6_896:                              ;   in Loop: Header=BB6_138 Depth=3
	s_andn2_saveexec_b64 s[26:27], s[94:95]
	s_cbranch_execz .LBB6_902
; %bb.897:                              ;   in Loop: Header=BB6_138 Depth=3
	v_cmp_ne_u64_e32 vcc, 0, v[0:1]
                                        ; implicit-def: $vgpr0
                                        ; kill: killed $vgpr0
	s_and_saveexec_b64 s[62:63], vcc
	s_xor_b64 s[94:95], exec, s[62:63]
	s_cbranch_execz .LBB6_899
; %bb.898:                              ;   in Loop: Header=BB6_138 Depth=3
	v_or_b32_sdwa v0, v2, s44 dst_sel:DWORD dst_unused:UNUSED_PAD src0_sel:BYTE_3 src1_sel:DWORD
	buffer_store_dword v0, off, s[0:3], s33 offset:300 ; 4-byte Folded Spill
                                        ; implicit-def: $vgpr2
.LBB6_899:                              ;   in Loop: Header=BB6_138 Depth=3
	s_andn2_saveexec_b64 s[94:95], s[94:95]
	s_cbranch_execz .LBB6_901
; %bb.900:                              ;   in Loop: Header=BB6_138 Depth=3
	v_cmp_lt_i32_e32 vcc, -1, v2
	v_bfrev_b32_e32 v0, 0.5
	v_mov_b32_e32 v1, 0x7c
	v_cndmask_b32_e32 v0, v0, v1, vcc
	buffer_store_dword v0, off, s[0:3], s33 offset:300 ; 4-byte Folded Spill
.LBB6_901:                              ;   in Loop: Header=BB6_138 Depth=3
	s_or_b64 exec, exec, s[94:95]
.LBB6_902:                              ;   in Loop: Header=BB6_138 Depth=3
	s_or_b64 exec, exec, s[26:27]
	v_cmp_lt_u32_e32 vcc, s57, v10
	v_mov_b32_e32 v1, 0
	s_and_saveexec_b64 s[26:27], vcc
	s_cbranch_execz .LBB6_910
; %bb.903:                              ;   in Loop: Header=BB6_138 Depth=3
	v_lshrrev_b32_e32 v0, 24, v10
	v_cmp_ne_u32_e32 vcc, s97, v0
	v_bfrev_b32_e32 v1, 1
	s_and_saveexec_b64 s[94:95], vcc
	s_cbranch_execz .LBB6_909
; %bb.904:                              ;   in Loop: Header=BB6_138 Depth=3
	v_and_b32_e32 v1, 0x7c000000, v10
	v_bfe_u32 v2, v10, 24, 2
	v_cmp_ne_u32_e32 vcc, s68, v1
                                        ; implicit-def: $vgpr1
	s_and_saveexec_b64 s[62:63], vcc
	s_xor_b64 s[30:31], exec, s[62:63]
	s_cbranch_execz .LBB6_906
; %bb.905:                              ;   in Loop: Header=BB6_138 Depth=3
	v_ffbh_u32_e32 v1, v2
	v_min_u32_e32 v4, 32, v1
	v_subrev_u32_e32 v1, 29, v4
	v_lshlrev_b64 v[0:1], v1, v[0:1]
	v_bfe_u32 v3, v10, 26, 5
	v_sub_u32_e32 v1, 30, v4
	v_and_b32_e32 v0, 3, v0
	v_cmp_eq_u32_e32 vcc, 0, v3
	v_cndmask_b32_e32 v1, v3, v1, vcc
	v_cndmask_b32_e32 v0, v2, v0, vcc
	v_and_b32_e32 v2, 0x80000000, v10
	v_lshl_add_u32 v1, v1, 23, v2
	v_lshl_or_b32 v0, v0, 21, v1
	v_add_u32_e32 v1, 0x38000000, v0
                                        ; implicit-def: $vgpr2
.LBB6_906:                              ;   in Loop: Header=BB6_138 Depth=3
	s_andn2_saveexec_b64 s[30:31], s[30:31]
; %bb.907:                              ;   in Loop: Header=BB6_138 Depth=3
	v_cmp_lt_i32_e32 vcc, -1, v10
	v_mov_b32_e32 v0, 0xff800000
	v_mov_b32_e32 v1, 0x7f800000
	v_cndmask_b32_e32 v0, v0, v1, vcc
	v_cmp_eq_u32_e32 vcc, 0, v2
	v_mov_b32_e32 v1, 0x7f800001
	v_cndmask_b32_e32 v1, v1, v0, vcc
; %bb.908:                              ;   in Loop: Header=BB6_138 Depth=3
	s_or_b64 exec, exec, s[30:31]
.LBB6_909:                              ;   in Loop: Header=BB6_138 Depth=3
	s_or_b64 exec, exec, s[94:95]
.LBB6_910:                              ;   in Loop: Header=BB6_138 Depth=3
	s_or_b64 exec, exec, s[26:27]
	v_mul_f32_e32 v2, v14, v1
	v_and_b32_e32 v3, 0x7f800000, v2
	v_mov_b32_e32 v4, v33
	v_cmp_ne_u64_e32 vcc, s[76:77], v[3:4]
	v_and_b32_e32 v0, 0x7fffff, v2
	v_mov_b32_e32 v1, v33
                                        ; implicit-def: $vgpr3
                                        ; kill: killed $vgpr3
	s_and_saveexec_b64 s[26:27], vcc
	s_xor_b64 s[94:95], exec, s[26:27]
	s_cbranch_execz .LBB6_924
; %bb.911:                              ;   in Loop: Header=BB6_138 Depth=3
	v_and_b32_e32 v3, 0x7fffffff, v2
	v_mov_b32_e32 v4, v33
	v_cmp_gt_u64_e32 vcc, s[78:79], v[3:4]
	v_and_b32_sdwa v3, v2, s97 dst_sel:DWORD dst_unused:UNUSED_PAD src0_sel:BYTE_3 src1_sel:DWORD
                                        ; implicit-def: $vgpr4
                                        ; kill: killed $vgpr4
	s_and_saveexec_b64 s[26:27], vcc
	s_xor_b64 s[30:31], exec, s[26:27]
	s_cbranch_execz .LBB6_921
; %bb.912:                              ;   in Loop: Header=BB6_138 Depth=3
	v_mov_b32_e32 v4, 0
	v_cmp_ne_u32_e32 vcc, 0, v2
	buffer_store_dword v4, off, s[0:3], s33 offset:304 ; 4-byte Folded Spill
	s_and_saveexec_b64 s[34:35], vcc
	s_cbranch_execz .LBB6_920
; %bb.913:                              ;   in Loop: Header=BB6_138 Depth=3
	v_bfe_u32 v5, v2, 23, 8
	v_cmp_gt_u32_e64 s[26:27], s47, v5
	v_sub_u32_e32 v2, 0x71, v5
	v_cmp_eq_u32_e32 vcc, 0, v5
	v_cndmask_b32_e64 v2, 0, v2, s[26:27]
	v_mov_b32_e32 v6, 0x70
	v_cndmask_b32_e32 v6, v2, v6, vcc
	v_add_u32_e32 v2, 21, v6
	v_or_b32_e32 v4, 0x800000, v0
	v_lshlrev_b64 v[7:8], v2, -1
	v_cndmask_b32_e32 v0, v4, v0, vcc
	v_add_u32_e32 v2, 20, v6
	v_bfi_b32 v7, v7, 0, v0
	v_lshlrev_b64 v[15:16], v2, 1
	v_lshrrev_b64 v[0:1], v6, v[0:1]
	v_bfi_b32 v8, v8, 0, 0
	v_cmp_eq_u64_e64 s[26:27], v[7:8], v[15:16]
	v_mov_b32_e32 v2, v1
	v_mov_b32_e32 v1, v0
	s_and_saveexec_b64 s[36:37], s[26:27]
; %bb.914:                              ;   in Loop: Header=BB6_138 Depth=3
	v_bfe_u32 v1, v0, 21, 1
	v_add_co_u32_e64 v1, s[26:27], v0, v1
	v_add_co_u32_e64 v1, s[26:27], -1, v1
; %bb.915:                              ;   in Loop: Header=BB6_138 Depth=3
	s_or_b64 exec, exec, s[36:37]
	v_add_u32_e32 v2, 0xffffff81, v5
	v_mov_b32_e32 v4, 0xffffff82
	v_cndmask_b32_e32 v2, v2, v4, vcc
	v_lshrrev_b32_e32 v4, 23, v0
	v_add3_u32 v6, v6, v2, v4
	v_add_u32_e32 v5, 14, v6
	v_and_b32_e32 v1, 0x1fffff, v1
	v_add_u32_e32 v0, v1, v0
	v_mov_b32_e32 v1, v33
	v_cmp_ne_u32_e32 vcc, 0, v5
                                        ; implicit-def: $vgpr2
	s_and_saveexec_b64 s[26:27], vcc
	s_xor_b64 s[26:27], exec, s[26:27]
; %bb.916:                              ;   in Loop: Header=BB6_138 Depth=3
	v_cmp_lt_u64_e32 vcc, s[88:89], v[0:1]
	v_add_u32_e32 v2, 15, v6
	v_cndmask_b32_e64 v4, 0, 1, vcc
	v_lshrrev_b64 v[0:1], v4, v[0:1]
	v_cndmask_b32_e32 v2, v5, v2, vcc
; %bb.917:                              ;   in Loop: Header=BB6_138 Depth=3
	s_andn2_saveexec_b64 s[26:27], s[26:27]
; %bb.918:                              ;   in Loop: Header=BB6_138 Depth=3
	v_bfe_u32 v2, v0, 23, 1
; %bb.919:                              ;   in Loop: Header=BB6_138 Depth=3
	s_or_b64 exec, exec, s[26:27]
	v_lshrrev_b64 v[0:1], 21, v[0:1]
	v_cmp_gt_i32_e32 vcc, 32, v2
	v_cndmask_b32_e32 v1, 0, v1, vcc
	v_cndmask_b32_e32 v0, 3, v0, vcc
	v_cmp_eq_u64_e64 s[26:27], 0, v[0:1]
	v_min_i32_e32 v1, 31, v2
	v_lshlrev_b32_e32 v1, 2, v1
	v_cmp_eq_u32_e32 vcc, 0, v2
	v_and_b32_e32 v1, 0xfc, v1
	v_and_or_b32 v0, v0, 3, v1
	s_and_b64 s[26:27], vcc, s[26:27]
	v_cndmask_b32_e64 v0, v0, 0, s[26:27]
	v_or_b32_e32 v0, v0, v3
	buffer_store_dword v0, off, s[0:3], s33 offset:304 ; 4-byte Folded Spill
.LBB6_920:                              ;   in Loop: Header=BB6_138 Depth=3
	s_or_b64 exec, exec, s[34:35]
                                        ; implicit-def: $vgpr3
.LBB6_921:                              ;   in Loop: Header=BB6_138 Depth=3
	s_andn2_saveexec_b64 s[26:27], s[30:31]
	s_cbranch_execz .LBB6_923
; %bb.922:                              ;   in Loop: Header=BB6_138 Depth=3
	v_or_b32_e32 v0, 0x7b, v3
	buffer_store_dword v0, off, s[0:3], s33 offset:304 ; 4-byte Folded Spill
.LBB6_923:                              ;   in Loop: Header=BB6_138 Depth=3
	s_or_b64 exec, exec, s[26:27]
                                        ; implicit-def: $vgpr2
                                        ; implicit-def: $vgpr0_vgpr1
.LBB6_924:                              ;   in Loop: Header=BB6_138 Depth=3
	s_andn2_saveexec_b64 s[26:27], s[94:95]
	s_cbranch_execz .LBB6_930
; %bb.925:                              ;   in Loop: Header=BB6_138 Depth=3
	v_cmp_ne_u64_e32 vcc, 0, v[0:1]
                                        ; implicit-def: $vgpr0
                                        ; kill: killed $vgpr0
	s_and_saveexec_b64 s[62:63], vcc
	s_xor_b64 s[94:95], exec, s[62:63]
	s_cbranch_execz .LBB6_927
; %bb.926:                              ;   in Loop: Header=BB6_138 Depth=3
	v_or_b32_sdwa v0, v2, s44 dst_sel:DWORD dst_unused:UNUSED_PAD src0_sel:BYTE_3 src1_sel:DWORD
	buffer_store_dword v0, off, s[0:3], s33 offset:304 ; 4-byte Folded Spill
                                        ; implicit-def: $vgpr2
.LBB6_927:                              ;   in Loop: Header=BB6_138 Depth=3
	s_andn2_saveexec_b64 s[94:95], s[94:95]
	s_cbranch_execz .LBB6_929
; %bb.928:                              ;   in Loop: Header=BB6_138 Depth=3
	v_cmp_lt_i32_e32 vcc, -1, v2
	v_bfrev_b32_e32 v0, 0.5
	v_mov_b32_e32 v1, 0x7c
	v_cndmask_b32_e32 v0, v0, v1, vcc
	buffer_store_dword v0, off, s[0:3], s33 offset:304 ; 4-byte Folded Spill
.LBB6_929:                              ;   in Loop: Header=BB6_138 Depth=3
	s_or_b64 exec, exec, s[94:95]
.LBB6_930:                              ;   in Loop: Header=BB6_138 Depth=3
	s_or_b64 exec, exec, s[26:27]
	v_mov_b32_e32 v0, v11
	v_mov_b32_e32 v1, v33
	v_cmp_ne_u16_sdwa s[62:63], v11, v33 src0_sel:BYTE_0 src1_sel:DWORD
	v_mov_b32_e32 v2, 0
	s_and_saveexec_b64 s[26:27], s[62:63]
	s_cbranch_execz .LBB6_938
; %bb.931:                              ;   in Loop: Header=BB6_138 Depth=3
	v_cmp_ne_u16_sdwa s[62:63], v11, s97 src0_sel:BYTE_0 src1_sel:DWORD
	v_bfrev_b32_e32 v2, 1
	s_and_saveexec_b64 s[94:95], s[62:63]
	s_cbranch_execz .LBB6_937
; %bb.932:                              ;   in Loop: Header=BB6_138 Depth=3
	v_and_b32_e32 v2, 0x7c, v11
	v_and_b32_e32 v3, 3, v11
	v_cmp_ne_u32_e32 vcc, s86, v2
                                        ; implicit-def: $vgpr2
	s_and_saveexec_b64 s[62:63], vcc
	s_xor_b64 s[30:31], exec, s[62:63]
	s_cbranch_execz .LBB6_934
; %bb.933:                              ;   in Loop: Header=BB6_138 Depth=3
	v_ffbh_u32_e32 v2, v3
	v_min_u32_e32 v5, 32, v2
	v_subrev_u32_e32 v2, 29, v5
	v_lshlrev_b64 v[1:2], v2, v[0:1]
	v_bfe_u32 v4, v11, 2, 5
	v_and_b32_e32 v1, 3, v1
	v_cmp_eq_u32_e32 vcc, 0, v4
	v_sub_u32_e32 v2, 30, v5
	v_cndmask_b32_e32 v1, v3, v1, vcc
	v_lshlrev_b32_e32 v3, 24, v11
	v_cndmask_b32_e32 v2, v4, v2, vcc
	v_and_b32_e32 v3, 0x80000000, v3
	v_lshl_add_u32 v2, v2, 23, v3
	v_lshl_or_b32 v1, v1, 21, v2
	v_add_u32_e32 v2, 0x38000000, v1
                                        ; implicit-def: $vgpr3
.LBB6_934:                              ;   in Loop: Header=BB6_138 Depth=3
	s_andn2_saveexec_b64 s[30:31], s[30:31]
; %bb.935:                              ;   in Loop: Header=BB6_138 Depth=3
	v_mov_b32_e32 v1, -1
	v_cmp_gt_i16_sdwa vcc, sext(v11), v1 src0_sel:BYTE_0 src1_sel:DWORD
	v_mov_b32_e32 v1, 0xff800000
	v_mov_b32_e32 v2, 0x7f800000
	v_cndmask_b32_e32 v1, v1, v2, vcc
	v_cmp_eq_u32_e32 vcc, 0, v3
	v_mov_b32_e32 v2, 0x7f800001
	v_cndmask_b32_e32 v2, v2, v1, vcc
; %bb.936:                              ;   in Loop: Header=BB6_138 Depth=3
	s_or_b64 exec, exec, s[30:31]
.LBB6_937:                              ;   in Loop: Header=BB6_138 Depth=3
	s_or_b64 exec, exec, s[94:95]
.LBB6_938:                              ;   in Loop: Header=BB6_138 Depth=3
	s_or_b64 exec, exec, s[26:27]
	v_mul_f32_e32 v3, v14, v2
	v_and_b32_e32 v4, 0x7f800000, v3
	v_mov_b32_e32 v5, v33
	v_cmp_ne_u64_e32 vcc, s[76:77], v[4:5]
	v_and_b32_e32 v1, 0x7fffff, v3
	v_mov_b32_e32 v2, v33
                                        ; implicit-def: $vgpr4
                                        ; kill: killed $vgpr4
	s_and_saveexec_b64 s[26:27], vcc
	s_xor_b64 s[94:95], exec, s[26:27]
	s_cbranch_execz .LBB6_952
; %bb.939:                              ;   in Loop: Header=BB6_138 Depth=3
	v_and_b32_e32 v4, 0x7fffffff, v3
	v_mov_b32_e32 v5, v33
	v_cmp_gt_u64_e32 vcc, s[78:79], v[4:5]
	v_and_b32_sdwa v5, v3, s97 dst_sel:DWORD dst_unused:UNUSED_PAD src0_sel:BYTE_3 src1_sel:DWORD
                                        ; implicit-def: $vgpr4
                                        ; kill: killed $vgpr4
	s_and_saveexec_b64 s[26:27], vcc
	s_xor_b64 s[30:31], exec, s[26:27]
	s_cbranch_execz .LBB6_949
; %bb.940:                              ;   in Loop: Header=BB6_138 Depth=3
	v_mov_b32_e32 v4, 0
	v_cmp_ne_u32_e32 vcc, 0, v3
	buffer_store_dword v4, off, s[0:3], s33 offset:308 ; 4-byte Folded Spill
	s_and_saveexec_b64 s[34:35], vcc
	s_cbranch_execz .LBB6_948
; %bb.941:                              ;   in Loop: Header=BB6_138 Depth=3
	v_bfe_u32 v6, v3, 23, 8
	v_cmp_gt_u32_e64 s[26:27], s47, v6
	v_sub_u32_e32 v3, 0x71, v6
	v_cmp_eq_u32_e32 vcc, 0, v6
	v_cndmask_b32_e64 v3, 0, v3, s[26:27]
	v_mov_b32_e32 v7, 0x70
	v_cndmask_b32_e32 v7, v3, v7, vcc
	v_or_b32_e32 v4, 0x800000, v1
	v_add_u32_e32 v3, 21, v7
	v_cndmask_b32_e32 v1, v4, v1, vcc
	v_lshlrev_b64 v[3:4], v3, -1
	v_add_u32_e32 v8, 20, v7
	v_bfi_b32 v3, v3, 0, v1
	v_lshlrev_b64 v[8:9], v8, 1
	v_lshrrev_b64 v[1:2], v7, v[1:2]
	v_bfi_b32 v4, v4, 0, 0
	v_cmp_eq_u64_e64 s[26:27], v[3:4], v[8:9]
	v_mov_b32_e32 v3, v2
	v_mov_b32_e32 v2, v1
	s_and_saveexec_b64 s[36:37], s[26:27]
; %bb.942:                              ;   in Loop: Header=BB6_138 Depth=3
	v_bfe_u32 v2, v1, 21, 1
	v_add_co_u32_e64 v2, s[26:27], v1, v2
	v_add_co_u32_e64 v2, s[26:27], -1, v2
; %bb.943:                              ;   in Loop: Header=BB6_138 Depth=3
	s_or_b64 exec, exec, s[36:37]
	v_add_u32_e32 v3, 0xffffff81, v6
	v_mov_b32_e32 v4, 0xffffff82
	v_cndmask_b32_e32 v3, v3, v4, vcc
	v_lshrrev_b32_e32 v4, 23, v1
	v_add3_u32 v7, v7, v3, v4
	v_add_u32_e32 v6, 14, v7
	v_and_b32_e32 v2, 0x1fffff, v2
	v_add_u32_e32 v1, v2, v1
	v_mov_b32_e32 v2, v33
	v_cmp_ne_u32_e32 vcc, 0, v6
                                        ; implicit-def: $vgpr3
	s_and_saveexec_b64 s[26:27], vcc
	s_xor_b64 s[26:27], exec, s[26:27]
; %bb.944:                              ;   in Loop: Header=BB6_138 Depth=3
	v_cmp_lt_u64_e32 vcc, s[88:89], v[1:2]
	v_add_u32_e32 v3, 15, v7
	v_cndmask_b32_e64 v4, 0, 1, vcc
	v_lshrrev_b64 v[1:2], v4, v[1:2]
	v_cndmask_b32_e32 v3, v6, v3, vcc
; %bb.945:                              ;   in Loop: Header=BB6_138 Depth=3
	s_andn2_saveexec_b64 s[26:27], s[26:27]
; %bb.946:                              ;   in Loop: Header=BB6_138 Depth=3
	v_bfe_u32 v3, v1, 23, 1
; %bb.947:                              ;   in Loop: Header=BB6_138 Depth=3
	s_or_b64 exec, exec, s[26:27]
	v_lshrrev_b64 v[1:2], 21, v[1:2]
	v_cmp_gt_i32_e32 vcc, 32, v3
	v_cndmask_b32_e32 v2, 0, v2, vcc
	v_cndmask_b32_e32 v1, 3, v1, vcc
	v_cmp_eq_u64_e64 s[26:27], 0, v[1:2]
	v_min_i32_e32 v2, 31, v3
	v_lshlrev_b32_e32 v2, 2, v2
	v_cmp_eq_u32_e32 vcc, 0, v3
	v_and_b32_e32 v2, 0xfc, v2
	v_and_or_b32 v1, v1, 3, v2
	s_and_b64 s[26:27], vcc, s[26:27]
	v_cndmask_b32_e64 v1, v1, 0, s[26:27]
	v_or_b32_e32 v1, v1, v5
	buffer_store_dword v1, off, s[0:3], s33 offset:308 ; 4-byte Folded Spill
.LBB6_948:                              ;   in Loop: Header=BB6_138 Depth=3
	s_or_b64 exec, exec, s[34:35]
                                        ; implicit-def: $vgpr5
.LBB6_949:                              ;   in Loop: Header=BB6_138 Depth=3
	s_andn2_saveexec_b64 s[26:27], s[30:31]
	s_cbranch_execz .LBB6_951
; %bb.950:                              ;   in Loop: Header=BB6_138 Depth=3
	v_or_b32_e32 v1, 0x7b, v5
	buffer_store_dword v1, off, s[0:3], s33 offset:308 ; 4-byte Folded Spill
.LBB6_951:                              ;   in Loop: Header=BB6_138 Depth=3
	s_or_b64 exec, exec, s[26:27]
                                        ; implicit-def: $vgpr3
                                        ; implicit-def: $vgpr1_vgpr2
.LBB6_952:                              ;   in Loop: Header=BB6_138 Depth=3
	s_andn2_saveexec_b64 s[26:27], s[94:95]
	s_cbranch_execz .LBB6_958
; %bb.953:                              ;   in Loop: Header=BB6_138 Depth=3
	v_cmp_ne_u64_e32 vcc, 0, v[1:2]
                                        ; implicit-def: $vgpr1
                                        ; kill: killed $vgpr1
	s_and_saveexec_b64 s[62:63], vcc
	s_xor_b64 s[94:95], exec, s[62:63]
	s_cbranch_execz .LBB6_955
; %bb.954:                              ;   in Loop: Header=BB6_138 Depth=3
	v_or_b32_sdwa v1, v3, s44 dst_sel:DWORD dst_unused:UNUSED_PAD src0_sel:BYTE_3 src1_sel:DWORD
	buffer_store_dword v1, off, s[0:3], s33 offset:308 ; 4-byte Folded Spill
                                        ; implicit-def: $vgpr3
.LBB6_955:                              ;   in Loop: Header=BB6_138 Depth=3
	s_andn2_saveexec_b64 s[94:95], s[94:95]
	s_cbranch_execz .LBB6_957
; %bb.956:                              ;   in Loop: Header=BB6_138 Depth=3
	v_cmp_lt_i32_e32 vcc, -1, v3
	v_bfrev_b32_e32 v1, 0.5
	v_mov_b32_e32 v2, 0x7c
	v_cndmask_b32_e32 v1, v1, v2, vcc
	buffer_store_dword v1, off, s[0:3], s33 offset:308 ; 4-byte Folded Spill
.LBB6_957:                              ;   in Loop: Header=BB6_138 Depth=3
	s_or_b64 exec, exec, s[94:95]
.LBB6_958:                              ;   in Loop: Header=BB6_138 Depth=3
	s_or_b64 exec, exec, s[26:27]
	v_lshrrev_b16_e32 v1, 8, v0
	v_cmp_ne_u16_e32 vcc, 0, v1
	v_mov_b32_e32 v2, 0
	s_and_saveexec_b64 s[26:27], vcc
	s_cbranch_execz .LBB6_966
; %bb.959:                              ;   in Loop: Header=BB6_138 Depth=3
	v_cmp_ne_u16_e32 vcc, s97, v1
	v_bfrev_b32_e32 v2, 1
	s_and_saveexec_b64 s[94:95], vcc
	s_cbranch_execz .LBB6_965
; %bb.960:                              ;   in Loop: Header=BB6_138 Depth=3
	v_and_b32_e32 v2, 0x7c, v1
	v_and_b32_e32 v3, 3, v1
	v_cmp_ne_u32_e32 vcc, s86, v2
                                        ; implicit-def: $vgpr2
	s_and_saveexec_b64 s[62:63], vcc
	s_xor_b64 s[30:31], exec, s[62:63]
	s_cbranch_execz .LBB6_962
; %bb.961:                              ;   in Loop: Header=BB6_138 Depth=3
	v_ffbh_u32_e32 v5, v3
	v_min_u32_e32 v5, 32, v5
	v_mov_b32_e32 v2, v33
	v_subrev_u32_e32 v6, 29, v5
	v_bfe_u32 v4, v1, 2, 5
	v_lshlrev_b64 v[1:2], v6, v[1:2]
	v_sub_u32_e32 v2, 30, v5
	v_cmp_eq_u32_e32 vcc, 0, v4
	v_lshlrev_b32_e32 v0, 16, v0
	v_and_b32_e32 v1, 3, v1
	v_cndmask_b32_e32 v2, v4, v2, vcc
	v_and_b32_e32 v0, 0x80000000, v0
	v_cndmask_b32_e32 v1, v3, v1, vcc
	v_lshl_add_u32 v0, v2, 23, v0
	v_lshl_or_b32 v0, v1, 21, v0
	v_add_u32_e32 v2, 0x38000000, v0
                                        ; implicit-def: $vgpr3
                                        ; implicit-def: $vgpr0_vgpr1
.LBB6_962:                              ;   in Loop: Header=BB6_138 Depth=3
	s_andn2_saveexec_b64 s[30:31], s[30:31]
; %bb.963:                              ;   in Loop: Header=BB6_138 Depth=3
	v_cmp_lt_i16_e32 vcc, -1, v0
	v_mov_b32_e32 v0, 0xff800000
	v_mov_b32_e32 v1, 0x7f800000
	v_cndmask_b32_e32 v0, v0, v1, vcc
	v_cmp_eq_u32_e32 vcc, 0, v3
	v_mov_b32_e32 v1, 0x7f800001
	v_cndmask_b32_e32 v2, v1, v0, vcc
; %bb.964:                              ;   in Loop: Header=BB6_138 Depth=3
	s_or_b64 exec, exec, s[30:31]
.LBB6_965:                              ;   in Loop: Header=BB6_138 Depth=3
	s_or_b64 exec, exec, s[94:95]
.LBB6_966:                              ;   in Loop: Header=BB6_138 Depth=3
	s_or_b64 exec, exec, s[26:27]
	v_mul_f32_e32 v2, v14, v2
	v_and_b32_e32 v3, 0x7f800000, v2
	v_mov_b32_e32 v4, v33
	v_cmp_ne_u64_e32 vcc, s[76:77], v[3:4]
	v_and_b32_e32 v0, 0x7fffff, v2
	v_mov_b32_e32 v1, v33
                                        ; implicit-def: $vgpr3
                                        ; kill: killed $vgpr3
	s_and_saveexec_b64 s[26:27], vcc
	s_xor_b64 s[94:95], exec, s[26:27]
	s_cbranch_execz .LBB6_980
; %bb.967:                              ;   in Loop: Header=BB6_138 Depth=3
	v_and_b32_e32 v3, 0x7fffffff, v2
	v_mov_b32_e32 v4, v33
	v_cmp_gt_u64_e32 vcc, s[78:79], v[3:4]
	v_and_b32_sdwa v3, v2, s97 dst_sel:DWORD dst_unused:UNUSED_PAD src0_sel:BYTE_3 src1_sel:DWORD
                                        ; implicit-def: $vgpr4
                                        ; kill: killed $vgpr4
	s_and_saveexec_b64 s[26:27], vcc
	s_xor_b64 s[30:31], exec, s[26:27]
	s_cbranch_execz .LBB6_977
; %bb.968:                              ;   in Loop: Header=BB6_138 Depth=3
	v_mov_b32_e32 v4, 0
	v_cmp_ne_u32_e32 vcc, 0, v2
	buffer_store_dword v4, off, s[0:3], s33 offset:312 ; 4-byte Folded Spill
	s_and_saveexec_b64 s[34:35], vcc
	s_cbranch_execz .LBB6_976
; %bb.969:                              ;   in Loop: Header=BB6_138 Depth=3
	v_bfe_u32 v5, v2, 23, 8
	v_cmp_gt_u32_e64 s[26:27], s47, v5
	v_sub_u32_e32 v2, 0x71, v5
	v_cmp_eq_u32_e32 vcc, 0, v5
	v_cndmask_b32_e64 v2, 0, v2, s[26:27]
	v_mov_b32_e32 v6, 0x70
	v_cndmask_b32_e32 v6, v2, v6, vcc
	v_add_u32_e32 v2, 21, v6
	v_or_b32_e32 v4, 0x800000, v0
	v_lshlrev_b64 v[7:8], v2, -1
	v_cndmask_b32_e32 v0, v4, v0, vcc
	v_add_u32_e32 v2, 20, v6
	v_bfi_b32 v7, v7, 0, v0
	v_lshlrev_b64 v[15:16], v2, 1
	v_lshrrev_b64 v[0:1], v6, v[0:1]
	v_bfi_b32 v8, v8, 0, 0
	v_cmp_eq_u64_e64 s[26:27], v[7:8], v[15:16]
	v_mov_b32_e32 v2, v1
	v_mov_b32_e32 v1, v0
	s_and_saveexec_b64 s[36:37], s[26:27]
; %bb.970:                              ;   in Loop: Header=BB6_138 Depth=3
	v_bfe_u32 v1, v0, 21, 1
	v_add_co_u32_e64 v1, s[26:27], v0, v1
	v_add_co_u32_e64 v1, s[26:27], -1, v1
; %bb.971:                              ;   in Loop: Header=BB6_138 Depth=3
	s_or_b64 exec, exec, s[36:37]
	v_add_u32_e32 v2, 0xffffff81, v5
	v_mov_b32_e32 v4, 0xffffff82
	v_cndmask_b32_e32 v2, v2, v4, vcc
	v_lshrrev_b32_e32 v4, 23, v0
	v_add3_u32 v6, v6, v2, v4
	v_add_u32_e32 v5, 14, v6
	v_and_b32_e32 v1, 0x1fffff, v1
	v_add_u32_e32 v0, v1, v0
	v_mov_b32_e32 v1, v33
	v_cmp_ne_u32_e32 vcc, 0, v5
                                        ; implicit-def: $vgpr2
	s_and_saveexec_b64 s[26:27], vcc
	s_xor_b64 s[26:27], exec, s[26:27]
; %bb.972:                              ;   in Loop: Header=BB6_138 Depth=3
	v_cmp_lt_u64_e32 vcc, s[88:89], v[0:1]
	v_add_u32_e32 v2, 15, v6
	v_cndmask_b32_e64 v4, 0, 1, vcc
	v_lshrrev_b64 v[0:1], v4, v[0:1]
	v_cndmask_b32_e32 v2, v5, v2, vcc
; %bb.973:                              ;   in Loop: Header=BB6_138 Depth=3
	s_andn2_saveexec_b64 s[26:27], s[26:27]
; %bb.974:                              ;   in Loop: Header=BB6_138 Depth=3
	v_bfe_u32 v2, v0, 23, 1
; %bb.975:                              ;   in Loop: Header=BB6_138 Depth=3
	s_or_b64 exec, exec, s[26:27]
	v_lshrrev_b64 v[0:1], 21, v[0:1]
	v_cmp_gt_i32_e32 vcc, 32, v2
	v_cndmask_b32_e32 v1, 0, v1, vcc
	v_cndmask_b32_e32 v0, 3, v0, vcc
	v_cmp_eq_u64_e64 s[26:27], 0, v[0:1]
	v_min_i32_e32 v1, 31, v2
	v_lshlrev_b32_e32 v1, 2, v1
	v_cmp_eq_u32_e32 vcc, 0, v2
	v_and_b32_e32 v1, 0xfc, v1
	v_and_or_b32 v0, v0, 3, v1
	s_and_b64 s[26:27], vcc, s[26:27]
	v_cndmask_b32_e64 v0, v0, 0, s[26:27]
	v_or_b32_e32 v0, v0, v3
	buffer_store_dword v0, off, s[0:3], s33 offset:312 ; 4-byte Folded Spill
.LBB6_976:                              ;   in Loop: Header=BB6_138 Depth=3
	s_or_b64 exec, exec, s[34:35]
                                        ; implicit-def: $vgpr3
.LBB6_977:                              ;   in Loop: Header=BB6_138 Depth=3
	s_andn2_saveexec_b64 s[26:27], s[30:31]
	s_cbranch_execz .LBB6_979
; %bb.978:                              ;   in Loop: Header=BB6_138 Depth=3
	v_or_b32_e32 v0, 0x7b, v3
	buffer_store_dword v0, off, s[0:3], s33 offset:312 ; 4-byte Folded Spill
.LBB6_979:                              ;   in Loop: Header=BB6_138 Depth=3
	s_or_b64 exec, exec, s[26:27]
                                        ; implicit-def: $vgpr2
                                        ; implicit-def: $vgpr0_vgpr1
.LBB6_980:                              ;   in Loop: Header=BB6_138 Depth=3
	s_andn2_saveexec_b64 s[26:27], s[94:95]
	s_cbranch_execz .LBB6_986
; %bb.981:                              ;   in Loop: Header=BB6_138 Depth=3
	v_cmp_ne_u64_e32 vcc, 0, v[0:1]
                                        ; implicit-def: $vgpr0
                                        ; kill: killed $vgpr0
	s_and_saveexec_b64 s[62:63], vcc
	s_xor_b64 s[94:95], exec, s[62:63]
	s_cbranch_execz .LBB6_983
; %bb.982:                              ;   in Loop: Header=BB6_138 Depth=3
	v_or_b32_sdwa v0, v2, s44 dst_sel:DWORD dst_unused:UNUSED_PAD src0_sel:BYTE_3 src1_sel:DWORD
	buffer_store_dword v0, off, s[0:3], s33 offset:312 ; 4-byte Folded Spill
                                        ; implicit-def: $vgpr2
.LBB6_983:                              ;   in Loop: Header=BB6_138 Depth=3
	s_andn2_saveexec_b64 s[94:95], s[94:95]
	s_cbranch_execz .LBB6_985
; %bb.984:                              ;   in Loop: Header=BB6_138 Depth=3
	v_cmp_lt_i32_e32 vcc, -1, v2
	v_bfrev_b32_e32 v0, 0.5
	v_mov_b32_e32 v1, 0x7c
	v_cndmask_b32_e32 v0, v0, v1, vcc
	buffer_store_dword v0, off, s[0:3], s33 offset:312 ; 4-byte Folded Spill
.LBB6_985:                              ;   in Loop: Header=BB6_138 Depth=3
	s_or_b64 exec, exec, s[94:95]
.LBB6_986:                              ;   in Loop: Header=BB6_138 Depth=3
	s_or_b64 exec, exec, s[26:27]
	v_lshrrev_b32_e32 v0, 16, v11
	v_cmp_ne_u16_sdwa s[62:63], v0, v33 src0_sel:BYTE_0 src1_sel:DWORD
	v_mov_b32_e32 v1, 0
	s_and_saveexec_b64 s[26:27], s[62:63]
	s_cbranch_execz .LBB6_994
; %bb.987:                              ;   in Loop: Header=BB6_138 Depth=3
	v_cmp_ne_u16_sdwa s[62:63], v0, s97 src0_sel:BYTE_0 src1_sel:DWORD
	v_bfrev_b32_e32 v1, 1
	s_and_saveexec_b64 s[94:95], s[62:63]
	s_cbranch_execz .LBB6_993
; %bb.988:                              ;   in Loop: Header=BB6_138 Depth=3
	v_and_b32_e32 v1, 0x7c0000, v11
	v_bfe_u32 v2, v11, 16, 2
	v_cmp_ne_u32_e32 vcc, s45, v1
                                        ; implicit-def: $vgpr1
	s_and_saveexec_b64 s[62:63], vcc
	s_xor_b64 s[30:31], exec, s[62:63]
	s_cbranch_execz .LBB6_990
; %bb.989:                              ;   in Loop: Header=BB6_138 Depth=3
	v_ffbh_u32_e32 v1, v2
	v_min_u32_e32 v4, 32, v1
	v_subrev_u32_e32 v1, 29, v4
	v_lshlrev_b64 v[0:1], v1, v[0:1]
	v_bfe_u32 v3, v11, 18, 5
	v_and_b32_e32 v0, 3, v0
	v_cmp_eq_u32_e32 vcc, 0, v3
	v_sub_u32_e32 v1, 30, v4
	v_cndmask_b32_e32 v0, v2, v0, vcc
	v_lshlrev_b32_e32 v2, 8, v11
	v_cndmask_b32_e32 v1, v3, v1, vcc
	v_and_b32_e32 v2, 0x80000000, v2
	v_lshl_add_u32 v1, v1, 23, v2
	v_lshl_or_b32 v0, v0, 21, v1
	v_add_u32_e32 v1, 0x38000000, v0
                                        ; implicit-def: $vgpr2
                                        ; implicit-def: $vgpr0
.LBB6_990:                              ;   in Loop: Header=BB6_138 Depth=3
	s_andn2_saveexec_b64 s[30:31], s[30:31]
; %bb.991:                              ;   in Loop: Header=BB6_138 Depth=3
	v_mov_b32_e32 v1, -1
	v_cmp_gt_i16_sdwa vcc, sext(v0), v1 src0_sel:BYTE_0 src1_sel:DWORD
	v_mov_b32_e32 v0, 0xff800000
	v_mov_b32_e32 v1, 0x7f800000
	v_cndmask_b32_e32 v0, v0, v1, vcc
	v_cmp_eq_u32_e32 vcc, 0, v2
	v_mov_b32_e32 v1, 0x7f800001
	v_cndmask_b32_e32 v1, v1, v0, vcc
; %bb.992:                              ;   in Loop: Header=BB6_138 Depth=3
	s_or_b64 exec, exec, s[30:31]
.LBB6_993:                              ;   in Loop: Header=BB6_138 Depth=3
	s_or_b64 exec, exec, s[94:95]
.LBB6_994:                              ;   in Loop: Header=BB6_138 Depth=3
	s_or_b64 exec, exec, s[26:27]
	v_mul_f32_e32 v2, v14, v1
	v_and_b32_e32 v3, 0x7f800000, v2
	v_mov_b32_e32 v4, v33
	v_cmp_ne_u64_e32 vcc, s[76:77], v[3:4]
	v_and_b32_e32 v0, 0x7fffff, v2
	v_mov_b32_e32 v1, v33
                                        ; implicit-def: $vgpr3
                                        ; kill: killed $vgpr3
	s_and_saveexec_b64 s[26:27], vcc
	s_xor_b64 s[94:95], exec, s[26:27]
	s_cbranch_execz .LBB6_1008
; %bb.995:                              ;   in Loop: Header=BB6_138 Depth=3
	v_and_b32_e32 v3, 0x7fffffff, v2
	v_mov_b32_e32 v4, v33
	v_cmp_gt_u64_e32 vcc, s[78:79], v[3:4]
	v_and_b32_sdwa v3, v2, s97 dst_sel:DWORD dst_unused:UNUSED_PAD src0_sel:BYTE_3 src1_sel:DWORD
                                        ; implicit-def: $vgpr4
                                        ; kill: killed $vgpr4
	s_and_saveexec_b64 s[26:27], vcc
	s_xor_b64 s[30:31], exec, s[26:27]
	s_cbranch_execz .LBB6_1005
; %bb.996:                              ;   in Loop: Header=BB6_138 Depth=3
	v_mov_b32_e32 v4, 0
	v_cmp_ne_u32_e32 vcc, 0, v2
	buffer_store_dword v4, off, s[0:3], s33 offset:316 ; 4-byte Folded Spill
	s_and_saveexec_b64 s[34:35], vcc
	s_cbranch_execz .LBB6_1004
; %bb.997:                              ;   in Loop: Header=BB6_138 Depth=3
	v_bfe_u32 v5, v2, 23, 8
	v_cmp_gt_u32_e64 s[26:27], s47, v5
	v_sub_u32_e32 v2, 0x71, v5
	v_cmp_eq_u32_e32 vcc, 0, v5
	v_cndmask_b32_e64 v2, 0, v2, s[26:27]
	v_mov_b32_e32 v6, 0x70
	v_cndmask_b32_e32 v6, v2, v6, vcc
	v_add_u32_e32 v2, 21, v6
	v_or_b32_e32 v4, 0x800000, v0
	v_lshlrev_b64 v[7:8], v2, -1
	v_cndmask_b32_e32 v0, v4, v0, vcc
	v_add_u32_e32 v2, 20, v6
	v_bfi_b32 v7, v7, 0, v0
	v_lshlrev_b64 v[15:16], v2, 1
	v_lshrrev_b64 v[0:1], v6, v[0:1]
	v_bfi_b32 v8, v8, 0, 0
	v_cmp_eq_u64_e64 s[26:27], v[7:8], v[15:16]
	v_mov_b32_e32 v2, v1
	v_mov_b32_e32 v1, v0
	s_and_saveexec_b64 s[36:37], s[26:27]
; %bb.998:                              ;   in Loop: Header=BB6_138 Depth=3
	v_bfe_u32 v1, v0, 21, 1
	v_add_co_u32_e64 v1, s[26:27], v0, v1
	v_add_co_u32_e64 v1, s[26:27], -1, v1
; %bb.999:                              ;   in Loop: Header=BB6_138 Depth=3
	s_or_b64 exec, exec, s[36:37]
	v_add_u32_e32 v2, 0xffffff81, v5
	v_mov_b32_e32 v4, 0xffffff82
	v_cndmask_b32_e32 v2, v2, v4, vcc
	v_lshrrev_b32_e32 v4, 23, v0
	v_add3_u32 v6, v6, v2, v4
	v_add_u32_e32 v5, 14, v6
	v_and_b32_e32 v1, 0x1fffff, v1
	v_add_u32_e32 v0, v1, v0
	v_mov_b32_e32 v1, v33
	v_cmp_ne_u32_e32 vcc, 0, v5
                                        ; implicit-def: $vgpr2
	s_and_saveexec_b64 s[26:27], vcc
	s_xor_b64 s[26:27], exec, s[26:27]
; %bb.1000:                             ;   in Loop: Header=BB6_138 Depth=3
	v_cmp_lt_u64_e32 vcc, s[88:89], v[0:1]
	v_add_u32_e32 v2, 15, v6
	v_cndmask_b32_e64 v4, 0, 1, vcc
	v_lshrrev_b64 v[0:1], v4, v[0:1]
	v_cndmask_b32_e32 v2, v5, v2, vcc
; %bb.1001:                             ;   in Loop: Header=BB6_138 Depth=3
	s_andn2_saveexec_b64 s[26:27], s[26:27]
; %bb.1002:                             ;   in Loop: Header=BB6_138 Depth=3
	v_bfe_u32 v2, v0, 23, 1
; %bb.1003:                             ;   in Loop: Header=BB6_138 Depth=3
	s_or_b64 exec, exec, s[26:27]
	v_lshrrev_b64 v[0:1], 21, v[0:1]
	v_cmp_gt_i32_e32 vcc, 32, v2
	v_cndmask_b32_e32 v1, 0, v1, vcc
	v_cndmask_b32_e32 v0, 3, v0, vcc
	v_cmp_eq_u64_e64 s[26:27], 0, v[0:1]
	v_min_i32_e32 v1, 31, v2
	v_lshlrev_b32_e32 v1, 2, v1
	v_cmp_eq_u32_e32 vcc, 0, v2
	v_and_b32_e32 v1, 0xfc, v1
	v_and_or_b32 v0, v0, 3, v1
	s_and_b64 s[26:27], vcc, s[26:27]
	v_cndmask_b32_e64 v0, v0, 0, s[26:27]
	v_or_b32_e32 v0, v0, v3
	buffer_store_dword v0, off, s[0:3], s33 offset:316 ; 4-byte Folded Spill
.LBB6_1004:                             ;   in Loop: Header=BB6_138 Depth=3
	s_or_b64 exec, exec, s[34:35]
                                        ; implicit-def: $vgpr3
.LBB6_1005:                             ;   in Loop: Header=BB6_138 Depth=3
	s_andn2_saveexec_b64 s[26:27], s[30:31]
	s_cbranch_execz .LBB6_1007
; %bb.1006:                             ;   in Loop: Header=BB6_138 Depth=3
	v_or_b32_e32 v0, 0x7b, v3
	buffer_store_dword v0, off, s[0:3], s33 offset:316 ; 4-byte Folded Spill
.LBB6_1007:                             ;   in Loop: Header=BB6_138 Depth=3
	s_or_b64 exec, exec, s[26:27]
                                        ; implicit-def: $vgpr2
                                        ; implicit-def: $vgpr0_vgpr1
.LBB6_1008:                             ;   in Loop: Header=BB6_138 Depth=3
	s_andn2_saveexec_b64 s[26:27], s[94:95]
	s_cbranch_execz .LBB6_1014
; %bb.1009:                             ;   in Loop: Header=BB6_138 Depth=3
	v_cmp_ne_u64_e32 vcc, 0, v[0:1]
                                        ; implicit-def: $vgpr0
                                        ; kill: killed $vgpr0
	s_and_saveexec_b64 s[62:63], vcc
	s_xor_b64 s[94:95], exec, s[62:63]
	s_cbranch_execz .LBB6_1011
; %bb.1010:                             ;   in Loop: Header=BB6_138 Depth=3
	v_or_b32_sdwa v0, v2, s44 dst_sel:DWORD dst_unused:UNUSED_PAD src0_sel:BYTE_3 src1_sel:DWORD
	buffer_store_dword v0, off, s[0:3], s33 offset:316 ; 4-byte Folded Spill
                                        ; implicit-def: $vgpr2
.LBB6_1011:                             ;   in Loop: Header=BB6_138 Depth=3
	s_andn2_saveexec_b64 s[94:95], s[94:95]
	s_cbranch_execz .LBB6_1013
; %bb.1012:                             ;   in Loop: Header=BB6_138 Depth=3
	v_cmp_lt_i32_e32 vcc, -1, v2
	v_bfrev_b32_e32 v0, 0.5
	v_mov_b32_e32 v1, 0x7c
	v_cndmask_b32_e32 v0, v0, v1, vcc
	buffer_store_dword v0, off, s[0:3], s33 offset:316 ; 4-byte Folded Spill
.LBB6_1013:                             ;   in Loop: Header=BB6_138 Depth=3
	s_or_b64 exec, exec, s[94:95]
.LBB6_1014:                             ;   in Loop: Header=BB6_138 Depth=3
	s_or_b64 exec, exec, s[26:27]
	v_cmp_lt_u64_e32 vcc, s[56:57], v[10:11]
	v_mov_b32_e32 v1, 0
	s_and_saveexec_b64 s[26:27], vcc
	s_cbranch_execz .LBB6_1022
; %bb.1015:                             ;   in Loop: Header=BB6_138 Depth=3
	v_lshrrev_b32_e32 v0, 24, v11
	v_cmp_ne_u32_e32 vcc, s97, v0
	v_bfrev_b32_e32 v1, 1
	s_and_saveexec_b64 s[94:95], vcc
	s_cbranch_execz .LBB6_1021
; %bb.1016:                             ;   in Loop: Header=BB6_138 Depth=3
	v_and_b32_e32 v1, 0x7c000000, v11
	v_bfe_u32 v2, v11, 24, 2
	v_cmp_ne_u32_e32 vcc, s68, v1
                                        ; implicit-def: $vgpr1
	s_and_saveexec_b64 s[62:63], vcc
	s_xor_b64 s[30:31], exec, s[62:63]
	s_cbranch_execz .LBB6_1018
; %bb.1017:                             ;   in Loop: Header=BB6_138 Depth=3
	v_ffbh_u32_e32 v1, v2
	v_min_u32_e32 v4, 32, v1
	v_subrev_u32_e32 v1, 29, v4
	v_lshlrev_b64 v[0:1], v1, v[0:1]
	v_bfe_u32 v3, v11, 26, 5
	v_sub_u32_e32 v1, 30, v4
	v_and_b32_e32 v0, 3, v0
	v_cmp_eq_u32_e32 vcc, 0, v3
	v_cndmask_b32_e32 v1, v3, v1, vcc
	v_cndmask_b32_e32 v0, v2, v0, vcc
	v_and_b32_e32 v2, 0x80000000, v11
	v_lshl_add_u32 v1, v1, 23, v2
	v_lshl_or_b32 v0, v0, 21, v1
	v_add_u32_e32 v1, 0x38000000, v0
                                        ; implicit-def: $vgpr2
                                        ; implicit-def: $vgpr10_vgpr11
.LBB6_1018:                             ;   in Loop: Header=BB6_138 Depth=3
	s_andn2_saveexec_b64 s[30:31], s[30:31]
; %bb.1019:                             ;   in Loop: Header=BB6_138 Depth=3
	v_cmp_lt_i64_e32 vcc, -1, v[10:11]
	v_mov_b32_e32 v0, 0xff800000
	v_mov_b32_e32 v1, 0x7f800000
	v_cndmask_b32_e32 v0, v0, v1, vcc
	v_cmp_eq_u32_e32 vcc, 0, v2
	v_mov_b32_e32 v1, 0x7f800001
	v_cndmask_b32_e32 v1, v1, v0, vcc
; %bb.1020:                             ;   in Loop: Header=BB6_138 Depth=3
	s_or_b64 exec, exec, s[30:31]
.LBB6_1021:                             ;   in Loop: Header=BB6_138 Depth=3
	s_or_b64 exec, exec, s[94:95]
.LBB6_1022:                             ;   in Loop: Header=BB6_138 Depth=3
	s_or_b64 exec, exec, s[26:27]
	v_mul_f32_e32 v2, v14, v1
	v_and_b32_e32 v3, 0x7f800000, v2
	v_mov_b32_e32 v4, v33
	v_cmp_ne_u64_e32 vcc, s[76:77], v[3:4]
	v_and_b32_e32 v0, 0x7fffff, v2
	v_mov_b32_e32 v1, v33
                                        ; implicit-def: $vgpr3
                                        ; kill: killed $vgpr3
	s_and_saveexec_b64 s[26:27], vcc
	s_xor_b64 s[94:95], exec, s[26:27]
	s_cbranch_execz .LBB6_1036
; %bb.1023:                             ;   in Loop: Header=BB6_138 Depth=3
	v_and_b32_e32 v3, 0x7fffffff, v2
	v_mov_b32_e32 v4, v33
	v_cmp_gt_u64_e32 vcc, s[78:79], v[3:4]
	v_and_b32_sdwa v3, v2, s97 dst_sel:DWORD dst_unused:UNUSED_PAD src0_sel:BYTE_3 src1_sel:DWORD
                                        ; implicit-def: $vgpr4
                                        ; kill: killed $vgpr4
	s_and_saveexec_b64 s[26:27], vcc
	s_xor_b64 s[30:31], exec, s[26:27]
	s_cbranch_execz .LBB6_1033
; %bb.1024:                             ;   in Loop: Header=BB6_138 Depth=3
	v_mov_b32_e32 v4, 0
	v_cmp_ne_u32_e32 vcc, 0, v2
	buffer_store_dword v4, off, s[0:3], s33 offset:320 ; 4-byte Folded Spill
	s_and_saveexec_b64 s[34:35], vcc
	s_cbranch_execz .LBB6_1032
; %bb.1025:                             ;   in Loop: Header=BB6_138 Depth=3
	v_bfe_u32 v5, v2, 23, 8
	v_cmp_gt_u32_e64 s[26:27], s47, v5
	v_sub_u32_e32 v2, 0x71, v5
	v_cmp_eq_u32_e32 vcc, 0, v5
	v_cndmask_b32_e64 v2, 0, v2, s[26:27]
	v_mov_b32_e32 v6, 0x70
	v_cndmask_b32_e32 v6, v2, v6, vcc
	v_add_u32_e32 v2, 21, v6
	v_or_b32_e32 v4, 0x800000, v0
	v_lshlrev_b64 v[7:8], v2, -1
	v_cndmask_b32_e32 v0, v4, v0, vcc
	v_add_u32_e32 v2, 20, v6
	v_bfi_b32 v7, v7, 0, v0
	v_lshlrev_b64 v[9:10], v2, 1
	v_lshrrev_b64 v[0:1], v6, v[0:1]
	v_bfi_b32 v8, v8, 0, 0
	v_cmp_eq_u64_e64 s[26:27], v[7:8], v[9:10]
	v_mov_b32_e32 v2, v1
	v_mov_b32_e32 v1, v0
	s_and_saveexec_b64 s[36:37], s[26:27]
; %bb.1026:                             ;   in Loop: Header=BB6_138 Depth=3
	v_bfe_u32 v1, v0, 21, 1
	v_add_co_u32_e64 v1, s[26:27], v0, v1
	v_add_co_u32_e64 v1, s[26:27], -1, v1
; %bb.1027:                             ;   in Loop: Header=BB6_138 Depth=3
	s_or_b64 exec, exec, s[36:37]
	v_add_u32_e32 v2, 0xffffff81, v5
	v_mov_b32_e32 v4, 0xffffff82
	v_cndmask_b32_e32 v2, v2, v4, vcc
	v_lshrrev_b32_e32 v4, 23, v0
	v_add3_u32 v6, v6, v2, v4
	v_add_u32_e32 v5, 14, v6
	v_and_b32_e32 v1, 0x1fffff, v1
	v_add_u32_e32 v0, v1, v0
	v_mov_b32_e32 v1, v33
	v_cmp_ne_u32_e32 vcc, 0, v5
                                        ; implicit-def: $vgpr2
	s_and_saveexec_b64 s[26:27], vcc
	s_xor_b64 s[26:27], exec, s[26:27]
; %bb.1028:                             ;   in Loop: Header=BB6_138 Depth=3
	v_cmp_lt_u64_e32 vcc, s[88:89], v[0:1]
	v_add_u32_e32 v2, 15, v6
	v_cndmask_b32_e64 v4, 0, 1, vcc
	v_lshrrev_b64 v[0:1], v4, v[0:1]
	v_cndmask_b32_e32 v2, v5, v2, vcc
; %bb.1029:                             ;   in Loop: Header=BB6_138 Depth=3
	s_andn2_saveexec_b64 s[26:27], s[26:27]
; %bb.1030:                             ;   in Loop: Header=BB6_138 Depth=3
	v_bfe_u32 v2, v0, 23, 1
; %bb.1031:                             ;   in Loop: Header=BB6_138 Depth=3
	s_or_b64 exec, exec, s[26:27]
	v_lshrrev_b64 v[0:1], 21, v[0:1]
	v_cmp_gt_i32_e32 vcc, 32, v2
	v_cndmask_b32_e32 v1, 0, v1, vcc
	v_cndmask_b32_e32 v0, 3, v0, vcc
	v_cmp_eq_u64_e64 s[26:27], 0, v[0:1]
	v_min_i32_e32 v1, 31, v2
	v_lshlrev_b32_e32 v1, 2, v1
	v_cmp_eq_u32_e32 vcc, 0, v2
	v_and_b32_e32 v1, 0xfc, v1
	v_and_or_b32 v0, v0, 3, v1
	s_and_b64 s[26:27], vcc, s[26:27]
	v_cndmask_b32_e64 v0, v0, 0, s[26:27]
	v_or_b32_e32 v0, v0, v3
	buffer_store_dword v0, off, s[0:3], s33 offset:320 ; 4-byte Folded Spill
.LBB6_1032:                             ;   in Loop: Header=BB6_138 Depth=3
	s_or_b64 exec, exec, s[34:35]
                                        ; implicit-def: $vgpr3
.LBB6_1033:                             ;   in Loop: Header=BB6_138 Depth=3
	s_andn2_saveexec_b64 s[26:27], s[30:31]
	s_cbranch_execz .LBB6_1035
; %bb.1034:                             ;   in Loop: Header=BB6_138 Depth=3
	v_or_b32_e32 v0, 0x7b, v3
	buffer_store_dword v0, off, s[0:3], s33 offset:320 ; 4-byte Folded Spill
.LBB6_1035:                             ;   in Loop: Header=BB6_138 Depth=3
	s_or_b64 exec, exec, s[26:27]
                                        ; implicit-def: $vgpr2
                                        ; implicit-def: $vgpr0_vgpr1
.LBB6_1036:                             ;   in Loop: Header=BB6_138 Depth=3
	s_andn2_saveexec_b64 s[26:27], s[94:95]
	s_cbranch_execz .LBB6_1042
; %bb.1037:                             ;   in Loop: Header=BB6_138 Depth=3
	v_cmp_ne_u64_e32 vcc, 0, v[0:1]
                                        ; implicit-def: $vgpr0
                                        ; kill: killed $vgpr0
	s_and_saveexec_b64 s[62:63], vcc
	s_xor_b64 s[94:95], exec, s[62:63]
	s_cbranch_execz .LBB6_1039
; %bb.1038:                             ;   in Loop: Header=BB6_138 Depth=3
	v_or_b32_sdwa v0, v2, s44 dst_sel:DWORD dst_unused:UNUSED_PAD src0_sel:BYTE_3 src1_sel:DWORD
	buffer_store_dword v0, off, s[0:3], s33 offset:320 ; 4-byte Folded Spill
                                        ; implicit-def: $vgpr2
.LBB6_1039:                             ;   in Loop: Header=BB6_138 Depth=3
	s_andn2_saveexec_b64 s[94:95], s[94:95]
	s_cbranch_execz .LBB6_1041
; %bb.1040:                             ;   in Loop: Header=BB6_138 Depth=3
	v_cmp_lt_i32_e32 vcc, -1, v2
	v_bfrev_b32_e32 v0, 0.5
	v_mov_b32_e32 v1, 0x7c
	v_cndmask_b32_e32 v0, v0, v1, vcc
	buffer_store_dword v0, off, s[0:3], s33 offset:320 ; 4-byte Folded Spill
.LBB6_1041:                             ;   in Loop: Header=BB6_138 Depth=3
	s_or_b64 exec, exec, s[94:95]
.LBB6_1042:                             ;   in Loop: Header=BB6_138 Depth=3
	s_or_b64 exec, exec, s[26:27]
	global_load_dwordx4 v[8:11], v[12:13], off offset:2048 glc slc
	v_mov_b32_e32 v0, 0
	s_waitcnt vmcnt(0)
	v_cmp_ne_u16_sdwa s[62:63], v8, v33 src0_sel:BYTE_0 src1_sel:DWORD
	s_and_saveexec_b64 s[26:27], s[62:63]
	s_cbranch_execz .LBB6_1050
; %bb.1043:                             ;   in Loop: Header=BB6_138 Depth=3
	v_cmp_ne_u16_sdwa s[62:63], sext(v8), s46 src0_sel:BYTE_0 src1_sel:DWORD
	v_bfrev_b32_e32 v0, 1
	s_and_saveexec_b64 s[94:95], s[62:63]
	s_cbranch_execz .LBB6_1049
; %bb.1044:                             ;   in Loop: Header=BB6_138 Depth=3
	v_and_b32_e32 v0, 0x7c, v8
	v_and_b32_e32 v1, 3, v8
	v_cmp_ne_u32_e32 vcc, s86, v0
                                        ; implicit-def: $vgpr0
	s_and_saveexec_b64 s[62:63], vcc
	s_xor_b64 s[30:31], exec, s[62:63]
	s_cbranch_execz .LBB6_1046
; %bb.1045:                             ;   in Loop: Header=BB6_138 Depth=3
	v_ffbh_u32_e32 v2, v1
	v_min_u32_e32 v4, 32, v2
	v_subrev_u32_e32 v2, 29, v4
	v_lshlrev_b64 v[2:3], v2, v[8:9]
	v_bfe_u32 v0, v8, 2, 5
	v_and_b32_e32 v2, 3, v2
	v_cmp_eq_u32_e32 vcc, 0, v0
	v_sub_u32_e32 v3, 30, v4
	v_cndmask_b32_e32 v1, v1, v2, vcc
	v_lshlrev_b32_e32 v2, 24, v8
	v_cndmask_b32_e32 v0, v0, v3, vcc
	v_and_b32_e32 v2, 0x80000000, v2
	v_lshl_add_u32 v0, v0, 23, v2
	v_lshl_or_b32 v0, v1, 21, v0
	v_add_u32_e32 v0, 0x38000000, v0
                                        ; implicit-def: $vgpr1
.LBB6_1046:                             ;   in Loop: Header=BB6_138 Depth=3
	s_andn2_saveexec_b64 s[30:31], s[30:31]
; %bb.1047:                             ;   in Loop: Header=BB6_138 Depth=3
	v_mov_b32_e32 v0, -1
	v_cmp_gt_i16_sdwa vcc, sext(v8), v0 src0_sel:BYTE_0 src1_sel:DWORD
	v_mov_b32_e32 v0, 0xff800000
	v_mov_b32_e32 v2, 0x7f800000
	v_cndmask_b32_e32 v0, v0, v2, vcc
	v_cmp_eq_u32_e32 vcc, 0, v1
	v_mov_b32_e32 v1, 0x7f800001
	v_cndmask_b32_e32 v0, v1, v0, vcc
; %bb.1048:                             ;   in Loop: Header=BB6_138 Depth=3
	s_or_b64 exec, exec, s[30:31]
.LBB6_1049:                             ;   in Loop: Header=BB6_138 Depth=3
	s_or_b64 exec, exec, s[94:95]
.LBB6_1050:                             ;   in Loop: Header=BB6_138 Depth=3
	s_or_b64 exec, exec, s[26:27]
	v_mul_f32_e32 v2, v14, v0
	v_and_b32_e32 v3, 0x7f800000, v2
	v_mov_b32_e32 v4, v33
	v_cmp_ne_u64_e32 vcc, s[76:77], v[3:4]
	v_and_b32_e32 v0, 0x7fffff, v2
	v_mov_b32_e32 v1, v33
                                        ; implicit-def: $vgpr3
                                        ; kill: killed $vgpr3
	s_and_saveexec_b64 s[26:27], vcc
	s_xor_b64 s[94:95], exec, s[26:27]
	s_cbranch_execz .LBB6_1064
; %bb.1051:                             ;   in Loop: Header=BB6_138 Depth=3
	v_and_b32_e32 v3, 0x7fffffff, v2
	v_mov_b32_e32 v4, v33
	v_cmp_gt_u64_e32 vcc, s[78:79], v[3:4]
	v_and_b32_sdwa v3, v2, s97 dst_sel:DWORD dst_unused:UNUSED_PAD src0_sel:BYTE_3 src1_sel:DWORD
                                        ; implicit-def: $vgpr4
                                        ; kill: killed $vgpr4
	s_and_saveexec_b64 s[26:27], vcc
	s_xor_b64 s[30:31], exec, s[26:27]
	s_cbranch_execz .LBB6_1061
; %bb.1052:                             ;   in Loop: Header=BB6_138 Depth=3
	v_mov_b32_e32 v4, 0
	v_cmp_ne_u32_e32 vcc, 0, v2
	buffer_store_dword v4, off, s[0:3], s33 offset:324 ; 4-byte Folded Spill
	s_and_saveexec_b64 s[34:35], vcc
	s_cbranch_execz .LBB6_1060
; %bb.1053:                             ;   in Loop: Header=BB6_138 Depth=3
	v_bfe_u32 v5, v2, 23, 8
	v_cmp_gt_u32_e64 s[26:27], s47, v5
	v_sub_u32_e32 v2, 0x71, v5
	v_cmp_eq_u32_e32 vcc, 0, v5
	v_cndmask_b32_e64 v2, 0, v2, s[26:27]
	v_mov_b32_e32 v6, 0x70
	v_cndmask_b32_e32 v6, v2, v6, vcc
	v_add_u32_e32 v2, 21, v6
	v_or_b32_e32 v4, 0x800000, v0
	v_lshlrev_b64 v[15:16], v2, -1
	v_cndmask_b32_e32 v0, v4, v0, vcc
	v_add_u32_e32 v2, 20, v6
	v_bfi_b32 v15, v15, 0, v0
	v_lshlrev_b64 v[17:18], v2, 1
	v_lshrrev_b64 v[0:1], v6, v[0:1]
	v_bfi_b32 v16, v16, 0, 0
	v_cmp_eq_u64_e64 s[26:27], v[15:16], v[17:18]
	v_mov_b32_e32 v2, v1
	v_mov_b32_e32 v1, v0
	s_and_saveexec_b64 s[36:37], s[26:27]
; %bb.1054:                             ;   in Loop: Header=BB6_138 Depth=3
	v_bfe_u32 v1, v0, 21, 1
	v_add_co_u32_e64 v1, s[26:27], v0, v1
	v_add_co_u32_e64 v1, s[26:27], -1, v1
; %bb.1055:                             ;   in Loop: Header=BB6_138 Depth=3
	s_or_b64 exec, exec, s[36:37]
	v_add_u32_e32 v2, 0xffffff81, v5
	v_mov_b32_e32 v4, 0xffffff82
	v_cndmask_b32_e32 v2, v2, v4, vcc
	v_lshrrev_b32_e32 v4, 23, v0
	v_add3_u32 v6, v6, v2, v4
	v_add_u32_e32 v5, 14, v6
	v_and_b32_e32 v1, 0x1fffff, v1
	v_add_u32_e32 v0, v1, v0
	v_mov_b32_e32 v1, v33
	v_cmp_ne_u32_e32 vcc, 0, v5
                                        ; implicit-def: $vgpr2
	s_and_saveexec_b64 s[26:27], vcc
	s_xor_b64 s[26:27], exec, s[26:27]
; %bb.1056:                             ;   in Loop: Header=BB6_138 Depth=3
	v_cmp_lt_u64_e32 vcc, s[88:89], v[0:1]
	v_add_u32_e32 v2, 15, v6
	v_cndmask_b32_e64 v4, 0, 1, vcc
	v_lshrrev_b64 v[0:1], v4, v[0:1]
	v_cndmask_b32_e32 v2, v5, v2, vcc
; %bb.1057:                             ;   in Loop: Header=BB6_138 Depth=3
	s_andn2_saveexec_b64 s[26:27], s[26:27]
; %bb.1058:                             ;   in Loop: Header=BB6_138 Depth=3
	v_bfe_u32 v2, v0, 23, 1
; %bb.1059:                             ;   in Loop: Header=BB6_138 Depth=3
	s_or_b64 exec, exec, s[26:27]
	v_lshrrev_b64 v[0:1], 21, v[0:1]
	v_cmp_gt_i32_e32 vcc, 32, v2
	v_cndmask_b32_e32 v1, 0, v1, vcc
	v_cndmask_b32_e32 v0, 3, v0, vcc
	v_cmp_eq_u64_e64 s[26:27], 0, v[0:1]
	v_min_i32_e32 v1, 31, v2
	v_lshlrev_b32_e32 v1, 2, v1
	v_cmp_eq_u32_e32 vcc, 0, v2
	v_and_b32_e32 v1, 0xfc, v1
	v_and_or_b32 v0, v0, 3, v1
	s_and_b64 s[26:27], vcc, s[26:27]
	v_cndmask_b32_e64 v0, v0, 0, s[26:27]
	v_or_b32_e32 v0, v0, v3
	buffer_store_dword v0, off, s[0:3], s33 offset:324 ; 4-byte Folded Spill
.LBB6_1060:                             ;   in Loop: Header=BB6_138 Depth=3
	s_or_b64 exec, exec, s[34:35]
                                        ; implicit-def: $vgpr3
.LBB6_1061:                             ;   in Loop: Header=BB6_138 Depth=3
	s_andn2_saveexec_b64 s[26:27], s[30:31]
	s_cbranch_execz .LBB6_1063
; %bb.1062:                             ;   in Loop: Header=BB6_138 Depth=3
	v_or_b32_e32 v0, 0x7b, v3
	buffer_store_dword v0, off, s[0:3], s33 offset:324 ; 4-byte Folded Spill
.LBB6_1063:                             ;   in Loop: Header=BB6_138 Depth=3
	s_or_b64 exec, exec, s[26:27]
                                        ; implicit-def: $vgpr2
                                        ; implicit-def: $vgpr0_vgpr1
.LBB6_1064:                             ;   in Loop: Header=BB6_138 Depth=3
	s_andn2_saveexec_b64 s[26:27], s[94:95]
	s_cbranch_execz .LBB6_1070
; %bb.1065:                             ;   in Loop: Header=BB6_138 Depth=3
	v_cmp_ne_u64_e32 vcc, 0, v[0:1]
                                        ; implicit-def: $vgpr0
                                        ; kill: killed $vgpr0
	s_and_saveexec_b64 s[62:63], vcc
	s_xor_b64 s[94:95], exec, s[62:63]
	s_cbranch_execz .LBB6_1067
; %bb.1066:                             ;   in Loop: Header=BB6_138 Depth=3
	v_or_b32_sdwa v0, v2, s44 dst_sel:DWORD dst_unused:UNUSED_PAD src0_sel:BYTE_3 src1_sel:DWORD
	buffer_store_dword v0, off, s[0:3], s33 offset:324 ; 4-byte Folded Spill
                                        ; implicit-def: $vgpr2
.LBB6_1067:                             ;   in Loop: Header=BB6_138 Depth=3
	s_andn2_saveexec_b64 s[94:95], s[94:95]
	s_cbranch_execz .LBB6_1069
; %bb.1068:                             ;   in Loop: Header=BB6_138 Depth=3
	v_cmp_lt_i32_e32 vcc, -1, v2
	v_bfrev_b32_e32 v0, 0.5
	v_mov_b32_e32 v1, 0x7c
	v_cndmask_b32_e32 v0, v0, v1, vcc
	buffer_store_dword v0, off, s[0:3], s33 offset:324 ; 4-byte Folded Spill
.LBB6_1069:                             ;   in Loop: Header=BB6_138 Depth=3
	s_or_b64 exec, exec, s[94:95]
.LBB6_1070:                             ;   in Loop: Header=BB6_138 Depth=3
	s_or_b64 exec, exec, s[26:27]
	v_lshrrev_b16_e32 v0, 8, v8
	v_cmp_ne_u16_e32 vcc, 0, v0
	v_mov_b32_e32 v1, 0
	s_and_saveexec_b64 s[26:27], vcc
	s_cbranch_execz .LBB6_1078
; %bb.1071:                             ;   in Loop: Header=BB6_138 Depth=3
	v_cmp_ne_u16_e32 vcc, s97, v0
	v_bfrev_b32_e32 v1, 1
	s_and_saveexec_b64 s[94:95], vcc
	s_cbranch_execz .LBB6_1077
; %bb.1072:                             ;   in Loop: Header=BB6_138 Depth=3
	v_and_b32_e32 v1, 0x7c, v0
	v_and_b32_e32 v2, 3, v0
	v_cmp_ne_u32_e32 vcc, s86, v1
                                        ; implicit-def: $vgpr1
	s_and_saveexec_b64 s[62:63], vcc
	s_xor_b64 s[30:31], exec, s[62:63]
	s_cbranch_execz .LBB6_1074
; %bb.1073:                             ;   in Loop: Header=BB6_138 Depth=3
	v_ffbh_u32_e32 v4, v2
	v_min_u32_e32 v4, 32, v4
	v_mov_b32_e32 v1, v33
	v_subrev_u32_e32 v5, 29, v4
	v_bfe_u32 v3, v0, 2, 5
	v_lshlrev_b64 v[0:1], v5, v[0:1]
	v_cmp_eq_u32_e32 vcc, 0, v3
	v_and_b32_e32 v0, 3, v0
	v_sub_u32_e32 v1, 30, v4
	v_cndmask_b32_e32 v0, v2, v0, vcc
	v_lshlrev_b32_e32 v2, 16, v8
	v_cndmask_b32_e32 v1, v3, v1, vcc
	v_and_b32_e32 v2, 0x80000000, v2
	v_lshl_add_u32 v1, v1, 23, v2
	v_lshl_or_b32 v0, v0, 21, v1
	v_add_u32_e32 v1, 0x38000000, v0
                                        ; implicit-def: $vgpr2
.LBB6_1074:                             ;   in Loop: Header=BB6_138 Depth=3
	s_andn2_saveexec_b64 s[30:31], s[30:31]
; %bb.1075:                             ;   in Loop: Header=BB6_138 Depth=3
	v_cmp_lt_i16_e32 vcc, -1, v8
	v_mov_b32_e32 v0, 0xff800000
	v_mov_b32_e32 v1, 0x7f800000
	v_cndmask_b32_e32 v0, v0, v1, vcc
	v_cmp_eq_u32_e32 vcc, 0, v2
	v_mov_b32_e32 v1, 0x7f800001
	v_cndmask_b32_e32 v1, v1, v0, vcc
; %bb.1076:                             ;   in Loop: Header=BB6_138 Depth=3
	s_or_b64 exec, exec, s[30:31]
.LBB6_1077:                             ;   in Loop: Header=BB6_138 Depth=3
	s_or_b64 exec, exec, s[94:95]
.LBB6_1078:                             ;   in Loop: Header=BB6_138 Depth=3
	s_or_b64 exec, exec, s[26:27]
	v_mul_f32_e32 v2, v14, v1
	v_and_b32_e32 v3, 0x7f800000, v2
	v_mov_b32_e32 v4, v33
	v_cmp_ne_u64_e32 vcc, s[76:77], v[3:4]
	v_and_b32_e32 v0, 0x7fffff, v2
	v_mov_b32_e32 v1, v33
                                        ; implicit-def: $vgpr3
                                        ; kill: killed $vgpr3
	s_and_saveexec_b64 s[26:27], vcc
	s_xor_b64 s[94:95], exec, s[26:27]
	s_cbranch_execz .LBB6_1092
; %bb.1079:                             ;   in Loop: Header=BB6_138 Depth=3
	v_and_b32_e32 v3, 0x7fffffff, v2
	v_mov_b32_e32 v4, v33
	v_cmp_gt_u64_e32 vcc, s[78:79], v[3:4]
	v_and_b32_sdwa v3, v2, s97 dst_sel:DWORD dst_unused:UNUSED_PAD src0_sel:BYTE_3 src1_sel:DWORD
                                        ; implicit-def: $vgpr4
                                        ; kill: killed $vgpr4
	s_and_saveexec_b64 s[26:27], vcc
	s_xor_b64 s[30:31], exec, s[26:27]
	s_cbranch_execz .LBB6_1089
; %bb.1080:                             ;   in Loop: Header=BB6_138 Depth=3
	v_mov_b32_e32 v4, 0
	v_cmp_ne_u32_e32 vcc, 0, v2
	buffer_store_dword v4, off, s[0:3], s33 offset:328 ; 4-byte Folded Spill
	s_and_saveexec_b64 s[34:35], vcc
	s_cbranch_execz .LBB6_1088
; %bb.1081:                             ;   in Loop: Header=BB6_138 Depth=3
	v_bfe_u32 v5, v2, 23, 8
	v_cmp_gt_u32_e64 s[26:27], s47, v5
	v_sub_u32_e32 v2, 0x71, v5
	v_cmp_eq_u32_e32 vcc, 0, v5
	v_cndmask_b32_e64 v2, 0, v2, s[26:27]
	v_mov_b32_e32 v6, 0x70
	v_cndmask_b32_e32 v6, v2, v6, vcc
	v_add_u32_e32 v2, 21, v6
	v_or_b32_e32 v4, 0x800000, v0
	v_lshlrev_b64 v[15:16], v2, -1
	v_cndmask_b32_e32 v0, v4, v0, vcc
	v_add_u32_e32 v2, 20, v6
	v_bfi_b32 v15, v15, 0, v0
	v_lshlrev_b64 v[17:18], v2, 1
	v_lshrrev_b64 v[0:1], v6, v[0:1]
	v_bfi_b32 v16, v16, 0, 0
	v_cmp_eq_u64_e64 s[26:27], v[15:16], v[17:18]
	v_mov_b32_e32 v2, v1
	v_mov_b32_e32 v1, v0
	s_and_saveexec_b64 s[36:37], s[26:27]
; %bb.1082:                             ;   in Loop: Header=BB6_138 Depth=3
	v_bfe_u32 v1, v0, 21, 1
	v_add_co_u32_e64 v1, s[26:27], v0, v1
	v_add_co_u32_e64 v1, s[26:27], -1, v1
; %bb.1083:                             ;   in Loop: Header=BB6_138 Depth=3
	s_or_b64 exec, exec, s[36:37]
	v_add_u32_e32 v2, 0xffffff81, v5
	v_mov_b32_e32 v4, 0xffffff82
	v_cndmask_b32_e32 v2, v2, v4, vcc
	v_lshrrev_b32_e32 v4, 23, v0
	v_add3_u32 v6, v6, v2, v4
	v_add_u32_e32 v5, 14, v6
	v_and_b32_e32 v1, 0x1fffff, v1
	v_add_u32_e32 v0, v1, v0
	v_mov_b32_e32 v1, v33
	v_cmp_ne_u32_e32 vcc, 0, v5
                                        ; implicit-def: $vgpr2
	s_and_saveexec_b64 s[26:27], vcc
	s_xor_b64 s[26:27], exec, s[26:27]
; %bb.1084:                             ;   in Loop: Header=BB6_138 Depth=3
	v_cmp_lt_u64_e32 vcc, s[88:89], v[0:1]
	v_add_u32_e32 v2, 15, v6
	v_cndmask_b32_e64 v4, 0, 1, vcc
	v_lshrrev_b64 v[0:1], v4, v[0:1]
	v_cndmask_b32_e32 v2, v5, v2, vcc
; %bb.1085:                             ;   in Loop: Header=BB6_138 Depth=3
	s_andn2_saveexec_b64 s[26:27], s[26:27]
; %bb.1086:                             ;   in Loop: Header=BB6_138 Depth=3
	v_bfe_u32 v2, v0, 23, 1
; %bb.1087:                             ;   in Loop: Header=BB6_138 Depth=3
	s_or_b64 exec, exec, s[26:27]
	v_lshrrev_b64 v[0:1], 21, v[0:1]
	v_cmp_gt_i32_e32 vcc, 32, v2
	v_cndmask_b32_e32 v1, 0, v1, vcc
	v_cndmask_b32_e32 v0, 3, v0, vcc
	v_cmp_eq_u64_e64 s[26:27], 0, v[0:1]
	v_min_i32_e32 v1, 31, v2
	v_lshlrev_b32_e32 v1, 2, v1
	v_cmp_eq_u32_e32 vcc, 0, v2
	v_and_b32_e32 v1, 0xfc, v1
	v_and_or_b32 v0, v0, 3, v1
	s_and_b64 s[26:27], vcc, s[26:27]
	v_cndmask_b32_e64 v0, v0, 0, s[26:27]
	v_or_b32_e32 v0, v0, v3
	buffer_store_dword v0, off, s[0:3], s33 offset:328 ; 4-byte Folded Spill
.LBB6_1088:                             ;   in Loop: Header=BB6_138 Depth=3
	s_or_b64 exec, exec, s[34:35]
                                        ; implicit-def: $vgpr3
.LBB6_1089:                             ;   in Loop: Header=BB6_138 Depth=3
	s_andn2_saveexec_b64 s[26:27], s[30:31]
	s_cbranch_execz .LBB6_1091
; %bb.1090:                             ;   in Loop: Header=BB6_138 Depth=3
	v_or_b32_e32 v0, 0x7b, v3
	buffer_store_dword v0, off, s[0:3], s33 offset:328 ; 4-byte Folded Spill
.LBB6_1091:                             ;   in Loop: Header=BB6_138 Depth=3
	s_or_b64 exec, exec, s[26:27]
                                        ; implicit-def: $vgpr2
                                        ; implicit-def: $vgpr0_vgpr1
.LBB6_1092:                             ;   in Loop: Header=BB6_138 Depth=3
	s_andn2_saveexec_b64 s[26:27], s[94:95]
	s_cbranch_execz .LBB6_1098
; %bb.1093:                             ;   in Loop: Header=BB6_138 Depth=3
	v_cmp_ne_u64_e32 vcc, 0, v[0:1]
                                        ; implicit-def: $vgpr0
                                        ; kill: killed $vgpr0
	s_and_saveexec_b64 s[62:63], vcc
	s_xor_b64 s[94:95], exec, s[62:63]
	s_cbranch_execz .LBB6_1095
; %bb.1094:                             ;   in Loop: Header=BB6_138 Depth=3
	v_or_b32_sdwa v0, v2, s44 dst_sel:DWORD dst_unused:UNUSED_PAD src0_sel:BYTE_3 src1_sel:DWORD
	buffer_store_dword v0, off, s[0:3], s33 offset:328 ; 4-byte Folded Spill
                                        ; implicit-def: $vgpr2
.LBB6_1095:                             ;   in Loop: Header=BB6_138 Depth=3
	s_andn2_saveexec_b64 s[94:95], s[94:95]
	s_cbranch_execz .LBB6_1097
; %bb.1096:                             ;   in Loop: Header=BB6_138 Depth=3
	v_cmp_lt_i32_e32 vcc, -1, v2
	v_bfrev_b32_e32 v0, 0.5
	v_mov_b32_e32 v1, 0x7c
	v_cndmask_b32_e32 v0, v0, v1, vcc
	buffer_store_dword v0, off, s[0:3], s33 offset:328 ; 4-byte Folded Spill
.LBB6_1097:                             ;   in Loop: Header=BB6_138 Depth=3
	s_or_b64 exec, exec, s[94:95]
.LBB6_1098:                             ;   in Loop: Header=BB6_138 Depth=3
	s_or_b64 exec, exec, s[26:27]
	v_lshrrev_b32_e32 v0, 16, v8
	v_cmp_ne_u16_sdwa s[62:63], v0, v33 src0_sel:BYTE_0 src1_sel:DWORD
	v_mov_b32_e32 v1, 0
	s_and_saveexec_b64 s[26:27], s[62:63]
	s_cbranch_execz .LBB6_1106
; %bb.1099:                             ;   in Loop: Header=BB6_138 Depth=3
	v_cmp_ne_u16_sdwa s[62:63], v0, s97 src0_sel:BYTE_0 src1_sel:DWORD
	v_bfrev_b32_e32 v1, 1
	s_and_saveexec_b64 s[94:95], s[62:63]
	s_cbranch_execz .LBB6_1105
; %bb.1100:                             ;   in Loop: Header=BB6_138 Depth=3
	v_and_b32_e32 v1, 0x7c0000, v8
	v_bfe_u32 v2, v8, 16, 2
	v_cmp_ne_u32_e32 vcc, s45, v1
                                        ; implicit-def: $vgpr1
	s_and_saveexec_b64 s[62:63], vcc
	s_xor_b64 s[30:31], exec, s[62:63]
	s_cbranch_execz .LBB6_1102
; %bb.1101:                             ;   in Loop: Header=BB6_138 Depth=3
	v_ffbh_u32_e32 v1, v2
	v_min_u32_e32 v4, 32, v1
	v_subrev_u32_e32 v1, 29, v4
	v_lshlrev_b64 v[0:1], v1, v[0:1]
	v_bfe_u32 v3, v8, 18, 5
	v_and_b32_e32 v0, 3, v0
	v_cmp_eq_u32_e32 vcc, 0, v3
	v_sub_u32_e32 v1, 30, v4
	v_cndmask_b32_e32 v0, v2, v0, vcc
	v_lshlrev_b32_e32 v2, 8, v8
	v_cndmask_b32_e32 v1, v3, v1, vcc
	v_and_b32_e32 v2, 0x80000000, v2
	v_lshl_add_u32 v1, v1, 23, v2
	v_lshl_or_b32 v0, v0, 21, v1
	v_add_u32_e32 v1, 0x38000000, v0
                                        ; implicit-def: $vgpr2
                                        ; implicit-def: $vgpr0
.LBB6_1102:                             ;   in Loop: Header=BB6_138 Depth=3
	s_andn2_saveexec_b64 s[30:31], s[30:31]
; %bb.1103:                             ;   in Loop: Header=BB6_138 Depth=3
	v_mov_b32_e32 v1, -1
	v_cmp_gt_i16_sdwa vcc, sext(v0), v1 src0_sel:BYTE_0 src1_sel:DWORD
	v_mov_b32_e32 v0, 0xff800000
	v_mov_b32_e32 v1, 0x7f800000
	v_cndmask_b32_e32 v0, v0, v1, vcc
	v_cmp_eq_u32_e32 vcc, 0, v2
	v_mov_b32_e32 v1, 0x7f800001
	v_cndmask_b32_e32 v1, v1, v0, vcc
; %bb.1104:                             ;   in Loop: Header=BB6_138 Depth=3
	s_or_b64 exec, exec, s[30:31]
.LBB6_1105:                             ;   in Loop: Header=BB6_138 Depth=3
	s_or_b64 exec, exec, s[94:95]
.LBB6_1106:                             ;   in Loop: Header=BB6_138 Depth=3
	s_or_b64 exec, exec, s[26:27]
	v_mul_f32_e32 v2, v14, v1
	v_and_b32_e32 v3, 0x7f800000, v2
	v_mov_b32_e32 v4, v33
	v_cmp_ne_u64_e32 vcc, s[76:77], v[3:4]
	v_and_b32_e32 v0, 0x7fffff, v2
	v_mov_b32_e32 v1, v33
                                        ; implicit-def: $vgpr3
                                        ; kill: killed $vgpr3
	s_and_saveexec_b64 s[26:27], vcc
	s_xor_b64 s[94:95], exec, s[26:27]
	s_cbranch_execz .LBB6_1120
; %bb.1107:                             ;   in Loop: Header=BB6_138 Depth=3
	v_and_b32_e32 v3, 0x7fffffff, v2
	v_mov_b32_e32 v4, v33
	v_cmp_gt_u64_e32 vcc, s[78:79], v[3:4]
	v_and_b32_sdwa v3, v2, s97 dst_sel:DWORD dst_unused:UNUSED_PAD src0_sel:BYTE_3 src1_sel:DWORD
                                        ; implicit-def: $vgpr4
                                        ; kill: killed $vgpr4
	s_and_saveexec_b64 s[26:27], vcc
	s_xor_b64 s[30:31], exec, s[26:27]
	s_cbranch_execz .LBB6_1117
; %bb.1108:                             ;   in Loop: Header=BB6_138 Depth=3
	v_mov_b32_e32 v4, 0
	v_cmp_ne_u32_e32 vcc, 0, v2
	buffer_store_dword v4, off, s[0:3], s33 offset:332 ; 4-byte Folded Spill
	s_and_saveexec_b64 s[34:35], vcc
	s_cbranch_execz .LBB6_1116
; %bb.1109:                             ;   in Loop: Header=BB6_138 Depth=3
	v_bfe_u32 v5, v2, 23, 8
	v_cmp_gt_u32_e64 s[26:27], s47, v5
	v_sub_u32_e32 v2, 0x71, v5
	v_cmp_eq_u32_e32 vcc, 0, v5
	v_cndmask_b32_e64 v2, 0, v2, s[26:27]
	v_mov_b32_e32 v6, 0x70
	v_cndmask_b32_e32 v6, v2, v6, vcc
	v_add_u32_e32 v2, 21, v6
	v_or_b32_e32 v4, 0x800000, v0
	v_lshlrev_b64 v[15:16], v2, -1
	v_cndmask_b32_e32 v0, v4, v0, vcc
	v_add_u32_e32 v2, 20, v6
	v_bfi_b32 v15, v15, 0, v0
	v_lshlrev_b64 v[17:18], v2, 1
	v_lshrrev_b64 v[0:1], v6, v[0:1]
	v_bfi_b32 v16, v16, 0, 0
	v_cmp_eq_u64_e64 s[26:27], v[15:16], v[17:18]
	v_mov_b32_e32 v2, v1
	v_mov_b32_e32 v1, v0
	s_and_saveexec_b64 s[36:37], s[26:27]
; %bb.1110:                             ;   in Loop: Header=BB6_138 Depth=3
	v_bfe_u32 v1, v0, 21, 1
	v_add_co_u32_e64 v1, s[26:27], v0, v1
	v_add_co_u32_e64 v1, s[26:27], -1, v1
; %bb.1111:                             ;   in Loop: Header=BB6_138 Depth=3
	s_or_b64 exec, exec, s[36:37]
	v_add_u32_e32 v2, 0xffffff81, v5
	v_mov_b32_e32 v4, 0xffffff82
	v_cndmask_b32_e32 v2, v2, v4, vcc
	v_lshrrev_b32_e32 v4, 23, v0
	v_add3_u32 v6, v6, v2, v4
	v_add_u32_e32 v5, 14, v6
	v_and_b32_e32 v1, 0x1fffff, v1
	v_add_u32_e32 v0, v1, v0
	v_mov_b32_e32 v1, v33
	v_cmp_ne_u32_e32 vcc, 0, v5
                                        ; implicit-def: $vgpr2
	s_and_saveexec_b64 s[26:27], vcc
	s_xor_b64 s[26:27], exec, s[26:27]
; %bb.1112:                             ;   in Loop: Header=BB6_138 Depth=3
	v_cmp_lt_u64_e32 vcc, s[88:89], v[0:1]
	v_add_u32_e32 v2, 15, v6
	v_cndmask_b32_e64 v4, 0, 1, vcc
	v_lshrrev_b64 v[0:1], v4, v[0:1]
	v_cndmask_b32_e32 v2, v5, v2, vcc
; %bb.1113:                             ;   in Loop: Header=BB6_138 Depth=3
	s_andn2_saveexec_b64 s[26:27], s[26:27]
; %bb.1114:                             ;   in Loop: Header=BB6_138 Depth=3
	v_bfe_u32 v2, v0, 23, 1
; %bb.1115:                             ;   in Loop: Header=BB6_138 Depth=3
	s_or_b64 exec, exec, s[26:27]
	v_lshrrev_b64 v[0:1], 21, v[0:1]
	v_cmp_gt_i32_e32 vcc, 32, v2
	v_cndmask_b32_e32 v1, 0, v1, vcc
	v_cndmask_b32_e32 v0, 3, v0, vcc
	v_cmp_eq_u64_e64 s[26:27], 0, v[0:1]
	v_min_i32_e32 v1, 31, v2
	v_lshlrev_b32_e32 v1, 2, v1
	v_cmp_eq_u32_e32 vcc, 0, v2
	v_and_b32_e32 v1, 0xfc, v1
	v_and_or_b32 v0, v0, 3, v1
	s_and_b64 s[26:27], vcc, s[26:27]
	v_cndmask_b32_e64 v0, v0, 0, s[26:27]
	v_or_b32_e32 v0, v0, v3
	buffer_store_dword v0, off, s[0:3], s33 offset:332 ; 4-byte Folded Spill
.LBB6_1116:                             ;   in Loop: Header=BB6_138 Depth=3
	s_or_b64 exec, exec, s[34:35]
                                        ; implicit-def: $vgpr3
.LBB6_1117:                             ;   in Loop: Header=BB6_138 Depth=3
	s_andn2_saveexec_b64 s[26:27], s[30:31]
	s_cbranch_execz .LBB6_1119
; %bb.1118:                             ;   in Loop: Header=BB6_138 Depth=3
	v_or_b32_e32 v0, 0x7b, v3
	buffer_store_dword v0, off, s[0:3], s33 offset:332 ; 4-byte Folded Spill
.LBB6_1119:                             ;   in Loop: Header=BB6_138 Depth=3
	s_or_b64 exec, exec, s[26:27]
                                        ; implicit-def: $vgpr2
                                        ; implicit-def: $vgpr0_vgpr1
.LBB6_1120:                             ;   in Loop: Header=BB6_138 Depth=3
	s_andn2_saveexec_b64 s[26:27], s[94:95]
	s_cbranch_execz .LBB6_1126
; %bb.1121:                             ;   in Loop: Header=BB6_138 Depth=3
	v_cmp_ne_u64_e32 vcc, 0, v[0:1]
                                        ; implicit-def: $vgpr0
                                        ; kill: killed $vgpr0
	s_and_saveexec_b64 s[62:63], vcc
	s_xor_b64 s[94:95], exec, s[62:63]
	s_cbranch_execz .LBB6_1123
; %bb.1122:                             ;   in Loop: Header=BB6_138 Depth=3
	v_or_b32_sdwa v0, v2, s44 dst_sel:DWORD dst_unused:UNUSED_PAD src0_sel:BYTE_3 src1_sel:DWORD
	buffer_store_dword v0, off, s[0:3], s33 offset:332 ; 4-byte Folded Spill
                                        ; implicit-def: $vgpr2
.LBB6_1123:                             ;   in Loop: Header=BB6_138 Depth=3
	s_andn2_saveexec_b64 s[94:95], s[94:95]
	s_cbranch_execz .LBB6_1125
; %bb.1124:                             ;   in Loop: Header=BB6_138 Depth=3
	v_cmp_lt_i32_e32 vcc, -1, v2
	v_bfrev_b32_e32 v0, 0.5
	v_mov_b32_e32 v1, 0x7c
	v_cndmask_b32_e32 v0, v0, v1, vcc
	buffer_store_dword v0, off, s[0:3], s33 offset:332 ; 4-byte Folded Spill
.LBB6_1125:                             ;   in Loop: Header=BB6_138 Depth=3
	s_or_b64 exec, exec, s[94:95]
.LBB6_1126:                             ;   in Loop: Header=BB6_138 Depth=3
	s_or_b64 exec, exec, s[26:27]
	v_cmp_lt_u32_e32 vcc, s57, v8
	v_mov_b32_e32 v1, 0
	s_and_saveexec_b64 s[26:27], vcc
	s_cbranch_execz .LBB6_1134
; %bb.1127:                             ;   in Loop: Header=BB6_138 Depth=3
	v_lshrrev_b32_e32 v0, 24, v8
	v_cmp_ne_u32_e32 vcc, s97, v0
	v_bfrev_b32_e32 v1, 1
	s_and_saveexec_b64 s[94:95], vcc
	s_cbranch_execz .LBB6_1133
; %bb.1128:                             ;   in Loop: Header=BB6_138 Depth=3
	v_and_b32_e32 v1, 0x7c000000, v8
	v_bfe_u32 v2, v8, 24, 2
	v_cmp_ne_u32_e32 vcc, s68, v1
                                        ; implicit-def: $vgpr1
	s_and_saveexec_b64 s[62:63], vcc
	s_xor_b64 s[30:31], exec, s[62:63]
	s_cbranch_execz .LBB6_1130
; %bb.1129:                             ;   in Loop: Header=BB6_138 Depth=3
	v_ffbh_u32_e32 v1, v2
	v_min_u32_e32 v4, 32, v1
	v_subrev_u32_e32 v1, 29, v4
	v_lshlrev_b64 v[0:1], v1, v[0:1]
	v_bfe_u32 v3, v8, 26, 5
	v_sub_u32_e32 v1, 30, v4
	v_and_b32_e32 v0, 3, v0
	v_cmp_eq_u32_e32 vcc, 0, v3
	v_cndmask_b32_e32 v1, v3, v1, vcc
	v_cndmask_b32_e32 v0, v2, v0, vcc
	v_and_b32_e32 v2, 0x80000000, v8
	v_lshl_add_u32 v1, v1, 23, v2
	v_lshl_or_b32 v0, v0, 21, v1
	v_add_u32_e32 v1, 0x38000000, v0
                                        ; implicit-def: $vgpr2
.LBB6_1130:                             ;   in Loop: Header=BB6_138 Depth=3
	s_andn2_saveexec_b64 s[30:31], s[30:31]
; %bb.1131:                             ;   in Loop: Header=BB6_138 Depth=3
	v_cmp_lt_i32_e32 vcc, -1, v8
	v_mov_b32_e32 v0, 0xff800000
	v_mov_b32_e32 v1, 0x7f800000
	v_cndmask_b32_e32 v0, v0, v1, vcc
	v_cmp_eq_u32_e32 vcc, 0, v2
	v_mov_b32_e32 v1, 0x7f800001
	v_cndmask_b32_e32 v1, v1, v0, vcc
; %bb.1132:                             ;   in Loop: Header=BB6_138 Depth=3
	s_or_b64 exec, exec, s[30:31]
.LBB6_1133:                             ;   in Loop: Header=BB6_138 Depth=3
	s_or_b64 exec, exec, s[94:95]
.LBB6_1134:                             ;   in Loop: Header=BB6_138 Depth=3
	s_or_b64 exec, exec, s[26:27]
	v_mul_f32_e32 v2, v14, v1
	v_and_b32_e32 v3, 0x7f800000, v2
	v_mov_b32_e32 v4, v33
	v_cmp_ne_u64_e32 vcc, s[76:77], v[3:4]
	v_and_b32_e32 v0, 0x7fffff, v2
	v_mov_b32_e32 v1, v33
                                        ; implicit-def: $vgpr3
                                        ; kill: killed $vgpr3
	s_and_saveexec_b64 s[26:27], vcc
	s_xor_b64 s[94:95], exec, s[26:27]
	s_cbranch_execz .LBB6_1148
; %bb.1135:                             ;   in Loop: Header=BB6_138 Depth=3
	v_and_b32_e32 v3, 0x7fffffff, v2
	v_mov_b32_e32 v4, v33
	v_cmp_gt_u64_e32 vcc, s[78:79], v[3:4]
	v_and_b32_sdwa v3, v2, s97 dst_sel:DWORD dst_unused:UNUSED_PAD src0_sel:BYTE_3 src1_sel:DWORD
                                        ; implicit-def: $vgpr4
                                        ; kill: killed $vgpr4
	s_and_saveexec_b64 s[26:27], vcc
	s_xor_b64 s[30:31], exec, s[26:27]
	s_cbranch_execz .LBB6_1145
; %bb.1136:                             ;   in Loop: Header=BB6_138 Depth=3
	v_mov_b32_e32 v4, 0
	v_cmp_ne_u32_e32 vcc, 0, v2
	buffer_store_dword v4, off, s[0:3], s33 offset:336 ; 4-byte Folded Spill
	s_and_saveexec_b64 s[34:35], vcc
	s_cbranch_execz .LBB6_1144
; %bb.1137:                             ;   in Loop: Header=BB6_138 Depth=3
	v_bfe_u32 v5, v2, 23, 8
	v_cmp_gt_u32_e64 s[26:27], s47, v5
	v_sub_u32_e32 v2, 0x71, v5
	v_cmp_eq_u32_e32 vcc, 0, v5
	v_cndmask_b32_e64 v2, 0, v2, s[26:27]
	v_mov_b32_e32 v6, 0x70
	v_cndmask_b32_e32 v6, v2, v6, vcc
	v_add_u32_e32 v2, 21, v6
	v_or_b32_e32 v4, 0x800000, v0
	v_lshlrev_b64 v[15:16], v2, -1
	v_cndmask_b32_e32 v0, v4, v0, vcc
	v_add_u32_e32 v2, 20, v6
	v_bfi_b32 v15, v15, 0, v0
	v_lshlrev_b64 v[17:18], v2, 1
	v_lshrrev_b64 v[0:1], v6, v[0:1]
	v_bfi_b32 v16, v16, 0, 0
	v_cmp_eq_u64_e64 s[26:27], v[15:16], v[17:18]
	v_mov_b32_e32 v2, v1
	v_mov_b32_e32 v1, v0
	s_and_saveexec_b64 s[36:37], s[26:27]
; %bb.1138:                             ;   in Loop: Header=BB6_138 Depth=3
	v_bfe_u32 v1, v0, 21, 1
	v_add_co_u32_e64 v1, s[26:27], v0, v1
	v_add_co_u32_e64 v1, s[26:27], -1, v1
; %bb.1139:                             ;   in Loop: Header=BB6_138 Depth=3
	s_or_b64 exec, exec, s[36:37]
	v_add_u32_e32 v2, 0xffffff81, v5
	v_mov_b32_e32 v4, 0xffffff82
	v_cndmask_b32_e32 v2, v2, v4, vcc
	v_lshrrev_b32_e32 v4, 23, v0
	v_add3_u32 v6, v6, v2, v4
	v_add_u32_e32 v5, 14, v6
	v_and_b32_e32 v1, 0x1fffff, v1
	v_add_u32_e32 v0, v1, v0
	v_mov_b32_e32 v1, v33
	v_cmp_ne_u32_e32 vcc, 0, v5
                                        ; implicit-def: $vgpr2
	s_and_saveexec_b64 s[26:27], vcc
	s_xor_b64 s[26:27], exec, s[26:27]
; %bb.1140:                             ;   in Loop: Header=BB6_138 Depth=3
	v_cmp_lt_u64_e32 vcc, s[88:89], v[0:1]
	v_add_u32_e32 v2, 15, v6
	v_cndmask_b32_e64 v4, 0, 1, vcc
	v_lshrrev_b64 v[0:1], v4, v[0:1]
	v_cndmask_b32_e32 v2, v5, v2, vcc
; %bb.1141:                             ;   in Loop: Header=BB6_138 Depth=3
	s_andn2_saveexec_b64 s[26:27], s[26:27]
; %bb.1142:                             ;   in Loop: Header=BB6_138 Depth=3
	v_bfe_u32 v2, v0, 23, 1
; %bb.1143:                             ;   in Loop: Header=BB6_138 Depth=3
	s_or_b64 exec, exec, s[26:27]
	v_lshrrev_b64 v[0:1], 21, v[0:1]
	v_cmp_gt_i32_e32 vcc, 32, v2
	v_cndmask_b32_e32 v1, 0, v1, vcc
	v_cndmask_b32_e32 v0, 3, v0, vcc
	v_cmp_eq_u64_e64 s[26:27], 0, v[0:1]
	v_min_i32_e32 v1, 31, v2
	v_lshlrev_b32_e32 v1, 2, v1
	v_cmp_eq_u32_e32 vcc, 0, v2
	v_and_b32_e32 v1, 0xfc, v1
	v_and_or_b32 v0, v0, 3, v1
	s_and_b64 s[26:27], vcc, s[26:27]
	v_cndmask_b32_e64 v0, v0, 0, s[26:27]
	v_or_b32_e32 v0, v0, v3
	buffer_store_dword v0, off, s[0:3], s33 offset:336 ; 4-byte Folded Spill
.LBB6_1144:                             ;   in Loop: Header=BB6_138 Depth=3
	s_or_b64 exec, exec, s[34:35]
                                        ; implicit-def: $vgpr3
.LBB6_1145:                             ;   in Loop: Header=BB6_138 Depth=3
	s_andn2_saveexec_b64 s[26:27], s[30:31]
	s_cbranch_execz .LBB6_1147
; %bb.1146:                             ;   in Loop: Header=BB6_138 Depth=3
	v_or_b32_e32 v0, 0x7b, v3
	buffer_store_dword v0, off, s[0:3], s33 offset:336 ; 4-byte Folded Spill
.LBB6_1147:                             ;   in Loop: Header=BB6_138 Depth=3
	s_or_b64 exec, exec, s[26:27]
                                        ; implicit-def: $vgpr2
                                        ; implicit-def: $vgpr0_vgpr1
.LBB6_1148:                             ;   in Loop: Header=BB6_138 Depth=3
	s_andn2_saveexec_b64 s[26:27], s[94:95]
	s_cbranch_execz .LBB6_1154
; %bb.1149:                             ;   in Loop: Header=BB6_138 Depth=3
	v_cmp_ne_u64_e32 vcc, 0, v[0:1]
                                        ; implicit-def: $vgpr0
                                        ; kill: killed $vgpr0
	s_and_saveexec_b64 s[62:63], vcc
	s_xor_b64 s[94:95], exec, s[62:63]
	s_cbranch_execz .LBB6_1151
; %bb.1150:                             ;   in Loop: Header=BB6_138 Depth=3
	v_or_b32_sdwa v0, v2, s44 dst_sel:DWORD dst_unused:UNUSED_PAD src0_sel:BYTE_3 src1_sel:DWORD
	buffer_store_dword v0, off, s[0:3], s33 offset:336 ; 4-byte Folded Spill
                                        ; implicit-def: $vgpr2
.LBB6_1151:                             ;   in Loop: Header=BB6_138 Depth=3
	s_andn2_saveexec_b64 s[94:95], s[94:95]
	s_cbranch_execz .LBB6_1153
; %bb.1152:                             ;   in Loop: Header=BB6_138 Depth=3
	v_cmp_lt_i32_e32 vcc, -1, v2
	v_bfrev_b32_e32 v0, 0.5
	v_mov_b32_e32 v1, 0x7c
	v_cndmask_b32_e32 v0, v0, v1, vcc
	buffer_store_dword v0, off, s[0:3], s33 offset:336 ; 4-byte Folded Spill
.LBB6_1153:                             ;   in Loop: Header=BB6_138 Depth=3
	s_or_b64 exec, exec, s[94:95]
.LBB6_1154:                             ;   in Loop: Header=BB6_138 Depth=3
	s_or_b64 exec, exec, s[26:27]
	v_mov_b32_e32 v0, v9
	v_mov_b32_e32 v1, v33
	v_cmp_ne_u16_sdwa s[62:63], v9, v33 src0_sel:BYTE_0 src1_sel:DWORD
	v_mov_b32_e32 v2, 0
	s_and_saveexec_b64 s[26:27], s[62:63]
	s_cbranch_execz .LBB6_1162
; %bb.1155:                             ;   in Loop: Header=BB6_138 Depth=3
	v_cmp_ne_u16_sdwa s[62:63], v9, s97 src0_sel:BYTE_0 src1_sel:DWORD
	v_bfrev_b32_e32 v2, 1
	s_and_saveexec_b64 s[94:95], s[62:63]
	s_cbranch_execz .LBB6_1161
; %bb.1156:                             ;   in Loop: Header=BB6_138 Depth=3
	v_and_b32_e32 v2, 0x7c, v9
	v_and_b32_e32 v3, 3, v9
	v_cmp_ne_u32_e32 vcc, s86, v2
                                        ; implicit-def: $vgpr2
	s_and_saveexec_b64 s[62:63], vcc
	s_xor_b64 s[30:31], exec, s[62:63]
	s_cbranch_execz .LBB6_1158
; %bb.1157:                             ;   in Loop: Header=BB6_138 Depth=3
	v_ffbh_u32_e32 v2, v3
	v_min_u32_e32 v5, 32, v2
	v_subrev_u32_e32 v2, 29, v5
	v_lshlrev_b64 v[1:2], v2, v[0:1]
	v_bfe_u32 v4, v9, 2, 5
	v_and_b32_e32 v1, 3, v1
	v_cmp_eq_u32_e32 vcc, 0, v4
	v_sub_u32_e32 v2, 30, v5
	v_cndmask_b32_e32 v1, v3, v1, vcc
	v_lshlrev_b32_e32 v3, 24, v9
	v_cndmask_b32_e32 v2, v4, v2, vcc
	v_and_b32_e32 v3, 0x80000000, v3
	v_lshl_add_u32 v2, v2, 23, v3
	v_lshl_or_b32 v1, v1, 21, v2
	v_add_u32_e32 v2, 0x38000000, v1
                                        ; implicit-def: $vgpr3
.LBB6_1158:                             ;   in Loop: Header=BB6_138 Depth=3
	s_andn2_saveexec_b64 s[30:31], s[30:31]
; %bb.1159:                             ;   in Loop: Header=BB6_138 Depth=3
	v_mov_b32_e32 v1, -1
	v_cmp_gt_i16_sdwa vcc, sext(v9), v1 src0_sel:BYTE_0 src1_sel:DWORD
	v_mov_b32_e32 v1, 0xff800000
	v_mov_b32_e32 v2, 0x7f800000
	v_cndmask_b32_e32 v1, v1, v2, vcc
	v_cmp_eq_u32_e32 vcc, 0, v3
	v_mov_b32_e32 v2, 0x7f800001
	v_cndmask_b32_e32 v2, v2, v1, vcc
; %bb.1160:                             ;   in Loop: Header=BB6_138 Depth=3
	s_or_b64 exec, exec, s[30:31]
.LBB6_1161:                             ;   in Loop: Header=BB6_138 Depth=3
	s_or_b64 exec, exec, s[94:95]
.LBB6_1162:                             ;   in Loop: Header=BB6_138 Depth=3
	s_or_b64 exec, exec, s[26:27]
	v_mul_f32_e32 v3, v14, v2
	v_and_b32_e32 v4, 0x7f800000, v3
	v_mov_b32_e32 v5, v33
	v_cmp_ne_u64_e32 vcc, s[76:77], v[4:5]
	v_and_b32_e32 v1, 0x7fffff, v3
	v_mov_b32_e32 v2, v33
                                        ; implicit-def: $vgpr4
                                        ; kill: killed $vgpr4
	s_and_saveexec_b64 s[26:27], vcc
	s_xor_b64 s[94:95], exec, s[26:27]
	s_cbranch_execz .LBB6_1176
; %bb.1163:                             ;   in Loop: Header=BB6_138 Depth=3
	v_and_b32_e32 v4, 0x7fffffff, v3
	v_mov_b32_e32 v5, v33
	v_cmp_gt_u64_e32 vcc, s[78:79], v[4:5]
	v_and_b32_sdwa v5, v3, s97 dst_sel:DWORD dst_unused:UNUSED_PAD src0_sel:BYTE_3 src1_sel:DWORD
                                        ; implicit-def: $vgpr4
                                        ; kill: killed $vgpr4
	s_and_saveexec_b64 s[26:27], vcc
	s_xor_b64 s[30:31], exec, s[26:27]
	s_cbranch_execz .LBB6_1173
; %bb.1164:                             ;   in Loop: Header=BB6_138 Depth=3
	v_mov_b32_e32 v4, 0
	v_cmp_ne_u32_e32 vcc, 0, v3
	buffer_store_dword v4, off, s[0:3], s33 offset:340 ; 4-byte Folded Spill
	s_and_saveexec_b64 s[34:35], vcc
	s_cbranch_execz .LBB6_1172
; %bb.1165:                             ;   in Loop: Header=BB6_138 Depth=3
	v_bfe_u32 v6, v3, 23, 8
	v_cmp_gt_u32_e64 s[26:27], s47, v6
	v_sub_u32_e32 v3, 0x71, v6
	v_cmp_eq_u32_e32 vcc, 0, v6
	v_cndmask_b32_e64 v3, 0, v3, s[26:27]
	v_mov_b32_e32 v7, 0x70
	v_cndmask_b32_e32 v7, v3, v7, vcc
	v_or_b32_e32 v4, 0x800000, v1
	v_add_u32_e32 v3, 21, v7
	v_cndmask_b32_e32 v1, v4, v1, vcc
	v_lshlrev_b64 v[3:4], v3, -1
	v_add_u32_e32 v15, 20, v7
	v_bfi_b32 v3, v3, 0, v1
	v_lshlrev_b64 v[15:16], v15, 1
	v_lshrrev_b64 v[1:2], v7, v[1:2]
	v_bfi_b32 v4, v4, 0, 0
	v_cmp_eq_u64_e64 s[26:27], v[3:4], v[15:16]
	v_mov_b32_e32 v3, v2
	v_mov_b32_e32 v2, v1
	s_and_saveexec_b64 s[36:37], s[26:27]
; %bb.1166:                             ;   in Loop: Header=BB6_138 Depth=3
	v_bfe_u32 v2, v1, 21, 1
	v_add_co_u32_e64 v2, s[26:27], v1, v2
	v_add_co_u32_e64 v2, s[26:27], -1, v2
; %bb.1167:                             ;   in Loop: Header=BB6_138 Depth=3
	s_or_b64 exec, exec, s[36:37]
	v_add_u32_e32 v3, 0xffffff81, v6
	v_mov_b32_e32 v4, 0xffffff82
	v_cndmask_b32_e32 v3, v3, v4, vcc
	v_lshrrev_b32_e32 v4, 23, v1
	v_add3_u32 v7, v7, v3, v4
	v_add_u32_e32 v6, 14, v7
	v_and_b32_e32 v2, 0x1fffff, v2
	v_add_u32_e32 v1, v2, v1
	v_mov_b32_e32 v2, v33
	v_cmp_ne_u32_e32 vcc, 0, v6
                                        ; implicit-def: $vgpr3
	s_and_saveexec_b64 s[26:27], vcc
	s_xor_b64 s[26:27], exec, s[26:27]
; %bb.1168:                             ;   in Loop: Header=BB6_138 Depth=3
	v_cmp_lt_u64_e32 vcc, s[88:89], v[1:2]
	v_add_u32_e32 v3, 15, v7
	v_cndmask_b32_e64 v4, 0, 1, vcc
	v_lshrrev_b64 v[1:2], v4, v[1:2]
	v_cndmask_b32_e32 v3, v6, v3, vcc
; %bb.1169:                             ;   in Loop: Header=BB6_138 Depth=3
	s_andn2_saveexec_b64 s[26:27], s[26:27]
; %bb.1170:                             ;   in Loop: Header=BB6_138 Depth=3
	v_bfe_u32 v3, v1, 23, 1
; %bb.1171:                             ;   in Loop: Header=BB6_138 Depth=3
	s_or_b64 exec, exec, s[26:27]
	v_lshrrev_b64 v[1:2], 21, v[1:2]
	v_cmp_gt_i32_e32 vcc, 32, v3
	v_cndmask_b32_e32 v2, 0, v2, vcc
	v_cndmask_b32_e32 v1, 3, v1, vcc
	v_cmp_eq_u64_e64 s[26:27], 0, v[1:2]
	v_min_i32_e32 v2, 31, v3
	v_lshlrev_b32_e32 v2, 2, v2
	v_cmp_eq_u32_e32 vcc, 0, v3
	v_and_b32_e32 v2, 0xfc, v2
	v_and_or_b32 v1, v1, 3, v2
	s_and_b64 s[26:27], vcc, s[26:27]
	v_cndmask_b32_e64 v1, v1, 0, s[26:27]
	v_or_b32_e32 v1, v1, v5
	buffer_store_dword v1, off, s[0:3], s33 offset:340 ; 4-byte Folded Spill
.LBB6_1172:                             ;   in Loop: Header=BB6_138 Depth=3
	s_or_b64 exec, exec, s[34:35]
                                        ; implicit-def: $vgpr5
.LBB6_1173:                             ;   in Loop: Header=BB6_138 Depth=3
	s_andn2_saveexec_b64 s[26:27], s[30:31]
	s_cbranch_execz .LBB6_1175
; %bb.1174:                             ;   in Loop: Header=BB6_138 Depth=3
	v_or_b32_e32 v1, 0x7b, v5
	buffer_store_dword v1, off, s[0:3], s33 offset:340 ; 4-byte Folded Spill
.LBB6_1175:                             ;   in Loop: Header=BB6_138 Depth=3
	s_or_b64 exec, exec, s[26:27]
                                        ; implicit-def: $vgpr3
                                        ; implicit-def: $vgpr1_vgpr2
.LBB6_1176:                             ;   in Loop: Header=BB6_138 Depth=3
	s_andn2_saveexec_b64 s[26:27], s[94:95]
	s_cbranch_execz .LBB6_1182
; %bb.1177:                             ;   in Loop: Header=BB6_138 Depth=3
	v_cmp_ne_u64_e32 vcc, 0, v[1:2]
                                        ; implicit-def: $vgpr1
                                        ; kill: killed $vgpr1
	s_and_saveexec_b64 s[62:63], vcc
	s_xor_b64 s[94:95], exec, s[62:63]
	s_cbranch_execz .LBB6_1179
; %bb.1178:                             ;   in Loop: Header=BB6_138 Depth=3
	v_or_b32_sdwa v1, v3, s44 dst_sel:DWORD dst_unused:UNUSED_PAD src0_sel:BYTE_3 src1_sel:DWORD
	buffer_store_dword v1, off, s[0:3], s33 offset:340 ; 4-byte Folded Spill
                                        ; implicit-def: $vgpr3
.LBB6_1179:                             ;   in Loop: Header=BB6_138 Depth=3
	s_andn2_saveexec_b64 s[94:95], s[94:95]
	s_cbranch_execz .LBB6_1181
; %bb.1180:                             ;   in Loop: Header=BB6_138 Depth=3
	v_cmp_lt_i32_e32 vcc, -1, v3
	v_bfrev_b32_e32 v1, 0.5
	v_mov_b32_e32 v2, 0x7c
	v_cndmask_b32_e32 v1, v1, v2, vcc
	buffer_store_dword v1, off, s[0:3], s33 offset:340 ; 4-byte Folded Spill
.LBB6_1181:                             ;   in Loop: Header=BB6_138 Depth=3
	s_or_b64 exec, exec, s[94:95]
.LBB6_1182:                             ;   in Loop: Header=BB6_138 Depth=3
	s_or_b64 exec, exec, s[26:27]
	v_lshrrev_b16_e32 v1, 8, v0
	v_cmp_ne_u16_e32 vcc, 0, v1
	v_mov_b32_e32 v2, 0
	s_and_saveexec_b64 s[26:27], vcc
	s_cbranch_execz .LBB6_1190
; %bb.1183:                             ;   in Loop: Header=BB6_138 Depth=3
	v_cmp_ne_u16_e32 vcc, s97, v1
	v_bfrev_b32_e32 v2, 1
	s_and_saveexec_b64 s[94:95], vcc
	s_cbranch_execz .LBB6_1189
; %bb.1184:                             ;   in Loop: Header=BB6_138 Depth=3
	v_and_b32_e32 v2, 0x7c, v1
	v_and_b32_e32 v3, 3, v1
	v_cmp_ne_u32_e32 vcc, s86, v2
                                        ; implicit-def: $vgpr2
	s_and_saveexec_b64 s[62:63], vcc
	s_xor_b64 s[30:31], exec, s[62:63]
	s_cbranch_execz .LBB6_1186
; %bb.1185:                             ;   in Loop: Header=BB6_138 Depth=3
	v_ffbh_u32_e32 v5, v3
	v_min_u32_e32 v5, 32, v5
	v_mov_b32_e32 v2, v33
	v_subrev_u32_e32 v6, 29, v5
	v_bfe_u32 v4, v1, 2, 5
	v_lshlrev_b64 v[1:2], v6, v[1:2]
	v_sub_u32_e32 v2, 30, v5
	v_cmp_eq_u32_e32 vcc, 0, v4
	v_lshlrev_b32_e32 v0, 16, v0
	v_and_b32_e32 v1, 3, v1
	v_cndmask_b32_e32 v2, v4, v2, vcc
	v_and_b32_e32 v0, 0x80000000, v0
	v_cndmask_b32_e32 v1, v3, v1, vcc
	v_lshl_add_u32 v0, v2, 23, v0
	v_lshl_or_b32 v0, v1, 21, v0
	v_add_u32_e32 v2, 0x38000000, v0
                                        ; implicit-def: $vgpr3
                                        ; implicit-def: $vgpr0_vgpr1
.LBB6_1186:                             ;   in Loop: Header=BB6_138 Depth=3
	s_andn2_saveexec_b64 s[30:31], s[30:31]
; %bb.1187:                             ;   in Loop: Header=BB6_138 Depth=3
	v_cmp_lt_i16_e32 vcc, -1, v0
	v_mov_b32_e32 v0, 0xff800000
	v_mov_b32_e32 v1, 0x7f800000
	v_cndmask_b32_e32 v0, v0, v1, vcc
	v_cmp_eq_u32_e32 vcc, 0, v3
	v_mov_b32_e32 v1, 0x7f800001
	v_cndmask_b32_e32 v2, v1, v0, vcc
; %bb.1188:                             ;   in Loop: Header=BB6_138 Depth=3
	s_or_b64 exec, exec, s[30:31]
.LBB6_1189:                             ;   in Loop: Header=BB6_138 Depth=3
	s_or_b64 exec, exec, s[94:95]
.LBB6_1190:                             ;   in Loop: Header=BB6_138 Depth=3
	s_or_b64 exec, exec, s[26:27]
	v_mul_f32_e32 v2, v14, v2
	v_and_b32_e32 v3, 0x7f800000, v2
	v_mov_b32_e32 v4, v33
	v_cmp_ne_u64_e32 vcc, s[76:77], v[3:4]
	v_and_b32_e32 v0, 0x7fffff, v2
	v_mov_b32_e32 v1, v33
                                        ; implicit-def: $vgpr3
                                        ; kill: killed $vgpr3
	s_and_saveexec_b64 s[26:27], vcc
	s_xor_b64 s[94:95], exec, s[26:27]
	s_cbranch_execz .LBB6_1204
; %bb.1191:                             ;   in Loop: Header=BB6_138 Depth=3
	v_and_b32_e32 v3, 0x7fffffff, v2
	v_mov_b32_e32 v4, v33
	v_cmp_gt_u64_e32 vcc, s[78:79], v[3:4]
	v_and_b32_sdwa v3, v2, s97 dst_sel:DWORD dst_unused:UNUSED_PAD src0_sel:BYTE_3 src1_sel:DWORD
                                        ; implicit-def: $vgpr4
                                        ; kill: killed $vgpr4
	s_and_saveexec_b64 s[26:27], vcc
	s_xor_b64 s[30:31], exec, s[26:27]
	s_cbranch_execz .LBB6_1201
; %bb.1192:                             ;   in Loop: Header=BB6_138 Depth=3
	v_mov_b32_e32 v4, 0
	v_cmp_ne_u32_e32 vcc, 0, v2
	buffer_store_dword v4, off, s[0:3], s33 offset:344 ; 4-byte Folded Spill
	s_and_saveexec_b64 s[34:35], vcc
	s_cbranch_execz .LBB6_1200
; %bb.1193:                             ;   in Loop: Header=BB6_138 Depth=3
	v_bfe_u32 v5, v2, 23, 8
	v_cmp_gt_u32_e64 s[26:27], s47, v5
	v_sub_u32_e32 v2, 0x71, v5
	v_cmp_eq_u32_e32 vcc, 0, v5
	v_cndmask_b32_e64 v2, 0, v2, s[26:27]
	v_mov_b32_e32 v6, 0x70
	v_cndmask_b32_e32 v6, v2, v6, vcc
	v_add_u32_e32 v2, 21, v6
	v_or_b32_e32 v4, 0x800000, v0
	v_lshlrev_b64 v[15:16], v2, -1
	v_cndmask_b32_e32 v0, v4, v0, vcc
	v_add_u32_e32 v2, 20, v6
	v_bfi_b32 v15, v15, 0, v0
	v_lshlrev_b64 v[17:18], v2, 1
	v_lshrrev_b64 v[0:1], v6, v[0:1]
	v_bfi_b32 v16, v16, 0, 0
	v_cmp_eq_u64_e64 s[26:27], v[15:16], v[17:18]
	v_mov_b32_e32 v2, v1
	v_mov_b32_e32 v1, v0
	s_and_saveexec_b64 s[36:37], s[26:27]
; %bb.1194:                             ;   in Loop: Header=BB6_138 Depth=3
	v_bfe_u32 v1, v0, 21, 1
	v_add_co_u32_e64 v1, s[26:27], v0, v1
	v_add_co_u32_e64 v1, s[26:27], -1, v1
; %bb.1195:                             ;   in Loop: Header=BB6_138 Depth=3
	s_or_b64 exec, exec, s[36:37]
	v_add_u32_e32 v2, 0xffffff81, v5
	v_mov_b32_e32 v4, 0xffffff82
	v_cndmask_b32_e32 v2, v2, v4, vcc
	v_lshrrev_b32_e32 v4, 23, v0
	v_add3_u32 v6, v6, v2, v4
	v_add_u32_e32 v5, 14, v6
	v_and_b32_e32 v1, 0x1fffff, v1
	v_add_u32_e32 v0, v1, v0
	v_mov_b32_e32 v1, v33
	v_cmp_ne_u32_e32 vcc, 0, v5
                                        ; implicit-def: $vgpr2
	s_and_saveexec_b64 s[26:27], vcc
	s_xor_b64 s[26:27], exec, s[26:27]
; %bb.1196:                             ;   in Loop: Header=BB6_138 Depth=3
	v_cmp_lt_u64_e32 vcc, s[88:89], v[0:1]
	v_add_u32_e32 v2, 15, v6
	v_cndmask_b32_e64 v4, 0, 1, vcc
	v_lshrrev_b64 v[0:1], v4, v[0:1]
	v_cndmask_b32_e32 v2, v5, v2, vcc
; %bb.1197:                             ;   in Loop: Header=BB6_138 Depth=3
	s_andn2_saveexec_b64 s[26:27], s[26:27]
; %bb.1198:                             ;   in Loop: Header=BB6_138 Depth=3
	v_bfe_u32 v2, v0, 23, 1
; %bb.1199:                             ;   in Loop: Header=BB6_138 Depth=3
	s_or_b64 exec, exec, s[26:27]
	v_lshrrev_b64 v[0:1], 21, v[0:1]
	v_cmp_gt_i32_e32 vcc, 32, v2
	v_cndmask_b32_e32 v1, 0, v1, vcc
	v_cndmask_b32_e32 v0, 3, v0, vcc
	v_cmp_eq_u64_e64 s[26:27], 0, v[0:1]
	v_min_i32_e32 v1, 31, v2
	v_lshlrev_b32_e32 v1, 2, v1
	v_cmp_eq_u32_e32 vcc, 0, v2
	v_and_b32_e32 v1, 0xfc, v1
	v_and_or_b32 v0, v0, 3, v1
	s_and_b64 s[26:27], vcc, s[26:27]
	v_cndmask_b32_e64 v0, v0, 0, s[26:27]
	v_or_b32_e32 v0, v0, v3
	buffer_store_dword v0, off, s[0:3], s33 offset:344 ; 4-byte Folded Spill
.LBB6_1200:                             ;   in Loop: Header=BB6_138 Depth=3
	s_or_b64 exec, exec, s[34:35]
                                        ; implicit-def: $vgpr3
.LBB6_1201:                             ;   in Loop: Header=BB6_138 Depth=3
	s_andn2_saveexec_b64 s[26:27], s[30:31]
	s_cbranch_execz .LBB6_1203
; %bb.1202:                             ;   in Loop: Header=BB6_138 Depth=3
	v_or_b32_e32 v0, 0x7b, v3
	buffer_store_dword v0, off, s[0:3], s33 offset:344 ; 4-byte Folded Spill
.LBB6_1203:                             ;   in Loop: Header=BB6_138 Depth=3
	s_or_b64 exec, exec, s[26:27]
                                        ; implicit-def: $vgpr2
                                        ; implicit-def: $vgpr0_vgpr1
.LBB6_1204:                             ;   in Loop: Header=BB6_138 Depth=3
	s_andn2_saveexec_b64 s[26:27], s[94:95]
	s_cbranch_execz .LBB6_1210
; %bb.1205:                             ;   in Loop: Header=BB6_138 Depth=3
	v_cmp_ne_u64_e32 vcc, 0, v[0:1]
                                        ; implicit-def: $vgpr0
                                        ; kill: killed $vgpr0
	s_and_saveexec_b64 s[62:63], vcc
	s_xor_b64 s[94:95], exec, s[62:63]
	s_cbranch_execz .LBB6_1207
; %bb.1206:                             ;   in Loop: Header=BB6_138 Depth=3
	v_or_b32_sdwa v0, v2, s44 dst_sel:DWORD dst_unused:UNUSED_PAD src0_sel:BYTE_3 src1_sel:DWORD
	buffer_store_dword v0, off, s[0:3], s33 offset:344 ; 4-byte Folded Spill
                                        ; implicit-def: $vgpr2
.LBB6_1207:                             ;   in Loop: Header=BB6_138 Depth=3
	s_andn2_saveexec_b64 s[94:95], s[94:95]
	s_cbranch_execz .LBB6_1209
; %bb.1208:                             ;   in Loop: Header=BB6_138 Depth=3
	v_cmp_lt_i32_e32 vcc, -1, v2
	v_bfrev_b32_e32 v0, 0.5
	v_mov_b32_e32 v1, 0x7c
	v_cndmask_b32_e32 v0, v0, v1, vcc
	buffer_store_dword v0, off, s[0:3], s33 offset:344 ; 4-byte Folded Spill
.LBB6_1209:                             ;   in Loop: Header=BB6_138 Depth=3
	s_or_b64 exec, exec, s[94:95]
.LBB6_1210:                             ;   in Loop: Header=BB6_138 Depth=3
	s_or_b64 exec, exec, s[26:27]
	v_lshrrev_b32_e32 v0, 16, v9
	v_cmp_ne_u16_sdwa s[62:63], v0, v33 src0_sel:BYTE_0 src1_sel:DWORD
	v_mov_b32_e32 v1, 0
	s_and_saveexec_b64 s[26:27], s[62:63]
	s_cbranch_execz .LBB6_1218
; %bb.1211:                             ;   in Loop: Header=BB6_138 Depth=3
	v_cmp_ne_u16_sdwa s[62:63], v0, s97 src0_sel:BYTE_0 src1_sel:DWORD
	v_bfrev_b32_e32 v1, 1
	s_and_saveexec_b64 s[94:95], s[62:63]
	s_cbranch_execz .LBB6_1217
; %bb.1212:                             ;   in Loop: Header=BB6_138 Depth=3
	v_and_b32_e32 v1, 0x7c0000, v9
	v_bfe_u32 v2, v9, 16, 2
	v_cmp_ne_u32_e32 vcc, s45, v1
                                        ; implicit-def: $vgpr1
	s_and_saveexec_b64 s[62:63], vcc
	s_xor_b64 s[30:31], exec, s[62:63]
	s_cbranch_execz .LBB6_1214
; %bb.1213:                             ;   in Loop: Header=BB6_138 Depth=3
	v_ffbh_u32_e32 v1, v2
	v_min_u32_e32 v4, 32, v1
	v_subrev_u32_e32 v1, 29, v4
	v_lshlrev_b64 v[0:1], v1, v[0:1]
	v_bfe_u32 v3, v9, 18, 5
	v_and_b32_e32 v0, 3, v0
	v_cmp_eq_u32_e32 vcc, 0, v3
	v_sub_u32_e32 v1, 30, v4
	v_cndmask_b32_e32 v0, v2, v0, vcc
	v_lshlrev_b32_e32 v2, 8, v9
	v_cndmask_b32_e32 v1, v3, v1, vcc
	v_and_b32_e32 v2, 0x80000000, v2
	v_lshl_add_u32 v1, v1, 23, v2
	v_lshl_or_b32 v0, v0, 21, v1
	v_add_u32_e32 v1, 0x38000000, v0
                                        ; implicit-def: $vgpr2
                                        ; implicit-def: $vgpr0
.LBB6_1214:                             ;   in Loop: Header=BB6_138 Depth=3
	s_andn2_saveexec_b64 s[30:31], s[30:31]
; %bb.1215:                             ;   in Loop: Header=BB6_138 Depth=3
	v_mov_b32_e32 v1, -1
	v_cmp_gt_i16_sdwa vcc, sext(v0), v1 src0_sel:BYTE_0 src1_sel:DWORD
	v_mov_b32_e32 v0, 0xff800000
	v_mov_b32_e32 v1, 0x7f800000
	v_cndmask_b32_e32 v0, v0, v1, vcc
	v_cmp_eq_u32_e32 vcc, 0, v2
	v_mov_b32_e32 v1, 0x7f800001
	v_cndmask_b32_e32 v1, v1, v0, vcc
; %bb.1216:                             ;   in Loop: Header=BB6_138 Depth=3
	s_or_b64 exec, exec, s[30:31]
.LBB6_1217:                             ;   in Loop: Header=BB6_138 Depth=3
	s_or_b64 exec, exec, s[94:95]
.LBB6_1218:                             ;   in Loop: Header=BB6_138 Depth=3
	s_or_b64 exec, exec, s[26:27]
	v_mul_f32_e32 v2, v14, v1
	v_and_b32_e32 v3, 0x7f800000, v2
	v_mov_b32_e32 v4, v33
	v_cmp_ne_u64_e32 vcc, s[76:77], v[3:4]
	v_and_b32_e32 v0, 0x7fffff, v2
	v_mov_b32_e32 v1, v33
                                        ; implicit-def: $vgpr3
                                        ; kill: killed $vgpr3
	s_and_saveexec_b64 s[26:27], vcc
	s_xor_b64 s[94:95], exec, s[26:27]
	s_cbranch_execz .LBB6_1232
; %bb.1219:                             ;   in Loop: Header=BB6_138 Depth=3
	v_and_b32_e32 v3, 0x7fffffff, v2
	v_mov_b32_e32 v4, v33
	v_cmp_gt_u64_e32 vcc, s[78:79], v[3:4]
	v_and_b32_sdwa v3, v2, s97 dst_sel:DWORD dst_unused:UNUSED_PAD src0_sel:BYTE_3 src1_sel:DWORD
                                        ; implicit-def: $vgpr4
                                        ; kill: killed $vgpr4
	s_and_saveexec_b64 s[26:27], vcc
	s_xor_b64 s[30:31], exec, s[26:27]
	s_cbranch_execz .LBB6_1229
; %bb.1220:                             ;   in Loop: Header=BB6_138 Depth=3
	v_mov_b32_e32 v4, 0
	v_cmp_ne_u32_e32 vcc, 0, v2
	buffer_store_dword v4, off, s[0:3], s33 offset:348 ; 4-byte Folded Spill
	s_and_saveexec_b64 s[34:35], vcc
	s_cbranch_execz .LBB6_1228
; %bb.1221:                             ;   in Loop: Header=BB6_138 Depth=3
	v_bfe_u32 v5, v2, 23, 8
	v_cmp_gt_u32_e64 s[26:27], s47, v5
	v_sub_u32_e32 v2, 0x71, v5
	v_cmp_eq_u32_e32 vcc, 0, v5
	v_cndmask_b32_e64 v2, 0, v2, s[26:27]
	v_mov_b32_e32 v6, 0x70
	v_cndmask_b32_e32 v6, v2, v6, vcc
	v_add_u32_e32 v2, 21, v6
	v_or_b32_e32 v4, 0x800000, v0
	v_lshlrev_b64 v[15:16], v2, -1
	v_cndmask_b32_e32 v0, v4, v0, vcc
	v_add_u32_e32 v2, 20, v6
	v_bfi_b32 v15, v15, 0, v0
	v_lshlrev_b64 v[17:18], v2, 1
	v_lshrrev_b64 v[0:1], v6, v[0:1]
	v_bfi_b32 v16, v16, 0, 0
	v_cmp_eq_u64_e64 s[26:27], v[15:16], v[17:18]
	v_mov_b32_e32 v2, v1
	v_mov_b32_e32 v1, v0
	s_and_saveexec_b64 s[36:37], s[26:27]
; %bb.1222:                             ;   in Loop: Header=BB6_138 Depth=3
	v_bfe_u32 v1, v0, 21, 1
	v_add_co_u32_e64 v1, s[26:27], v0, v1
	v_add_co_u32_e64 v1, s[26:27], -1, v1
; %bb.1223:                             ;   in Loop: Header=BB6_138 Depth=3
	s_or_b64 exec, exec, s[36:37]
	v_add_u32_e32 v2, 0xffffff81, v5
	v_mov_b32_e32 v4, 0xffffff82
	v_cndmask_b32_e32 v2, v2, v4, vcc
	v_lshrrev_b32_e32 v4, 23, v0
	v_add3_u32 v6, v6, v2, v4
	v_add_u32_e32 v5, 14, v6
	v_and_b32_e32 v1, 0x1fffff, v1
	v_add_u32_e32 v0, v1, v0
	v_mov_b32_e32 v1, v33
	v_cmp_ne_u32_e32 vcc, 0, v5
                                        ; implicit-def: $vgpr2
	s_and_saveexec_b64 s[26:27], vcc
	s_xor_b64 s[26:27], exec, s[26:27]
; %bb.1224:                             ;   in Loop: Header=BB6_138 Depth=3
	v_cmp_lt_u64_e32 vcc, s[88:89], v[0:1]
	v_add_u32_e32 v2, 15, v6
	v_cndmask_b32_e64 v4, 0, 1, vcc
	v_lshrrev_b64 v[0:1], v4, v[0:1]
	v_cndmask_b32_e32 v2, v5, v2, vcc
; %bb.1225:                             ;   in Loop: Header=BB6_138 Depth=3
	s_andn2_saveexec_b64 s[26:27], s[26:27]
; %bb.1226:                             ;   in Loop: Header=BB6_138 Depth=3
	v_bfe_u32 v2, v0, 23, 1
; %bb.1227:                             ;   in Loop: Header=BB6_138 Depth=3
	s_or_b64 exec, exec, s[26:27]
	v_lshrrev_b64 v[0:1], 21, v[0:1]
	v_cmp_gt_i32_e32 vcc, 32, v2
	v_cndmask_b32_e32 v1, 0, v1, vcc
	v_cndmask_b32_e32 v0, 3, v0, vcc
	v_cmp_eq_u64_e64 s[26:27], 0, v[0:1]
	v_min_i32_e32 v1, 31, v2
	v_lshlrev_b32_e32 v1, 2, v1
	v_cmp_eq_u32_e32 vcc, 0, v2
	v_and_b32_e32 v1, 0xfc, v1
	v_and_or_b32 v0, v0, 3, v1
	s_and_b64 s[26:27], vcc, s[26:27]
	v_cndmask_b32_e64 v0, v0, 0, s[26:27]
	v_or_b32_e32 v0, v0, v3
	buffer_store_dword v0, off, s[0:3], s33 offset:348 ; 4-byte Folded Spill
.LBB6_1228:                             ;   in Loop: Header=BB6_138 Depth=3
	s_or_b64 exec, exec, s[34:35]
                                        ; implicit-def: $vgpr3
.LBB6_1229:                             ;   in Loop: Header=BB6_138 Depth=3
	s_andn2_saveexec_b64 s[26:27], s[30:31]
	s_cbranch_execz .LBB6_1231
; %bb.1230:                             ;   in Loop: Header=BB6_138 Depth=3
	v_or_b32_e32 v0, 0x7b, v3
	buffer_store_dword v0, off, s[0:3], s33 offset:348 ; 4-byte Folded Spill
.LBB6_1231:                             ;   in Loop: Header=BB6_138 Depth=3
	s_or_b64 exec, exec, s[26:27]
                                        ; implicit-def: $vgpr2
                                        ; implicit-def: $vgpr0_vgpr1
.LBB6_1232:                             ;   in Loop: Header=BB6_138 Depth=3
	s_andn2_saveexec_b64 s[26:27], s[94:95]
	s_cbranch_execz .LBB6_1238
; %bb.1233:                             ;   in Loop: Header=BB6_138 Depth=3
	v_cmp_ne_u64_e32 vcc, 0, v[0:1]
                                        ; implicit-def: $vgpr0
                                        ; kill: killed $vgpr0
	s_and_saveexec_b64 s[62:63], vcc
	s_xor_b64 s[94:95], exec, s[62:63]
	s_cbranch_execz .LBB6_1235
; %bb.1234:                             ;   in Loop: Header=BB6_138 Depth=3
	v_or_b32_sdwa v0, v2, s44 dst_sel:DWORD dst_unused:UNUSED_PAD src0_sel:BYTE_3 src1_sel:DWORD
	buffer_store_dword v0, off, s[0:3], s33 offset:348 ; 4-byte Folded Spill
                                        ; implicit-def: $vgpr2
.LBB6_1235:                             ;   in Loop: Header=BB6_138 Depth=3
	s_andn2_saveexec_b64 s[94:95], s[94:95]
	s_cbranch_execz .LBB6_1237
; %bb.1236:                             ;   in Loop: Header=BB6_138 Depth=3
	v_cmp_lt_i32_e32 vcc, -1, v2
	v_bfrev_b32_e32 v0, 0.5
	v_mov_b32_e32 v1, 0x7c
	v_cndmask_b32_e32 v0, v0, v1, vcc
	buffer_store_dword v0, off, s[0:3], s33 offset:348 ; 4-byte Folded Spill
.LBB6_1237:                             ;   in Loop: Header=BB6_138 Depth=3
	s_or_b64 exec, exec, s[94:95]
.LBB6_1238:                             ;   in Loop: Header=BB6_138 Depth=3
	s_or_b64 exec, exec, s[26:27]
	v_cmp_lt_u64_e32 vcc, s[56:57], v[8:9]
	v_mov_b32_e32 v1, 0
	s_and_saveexec_b64 s[26:27], vcc
	s_cbranch_execz .LBB6_1246
; %bb.1239:                             ;   in Loop: Header=BB6_138 Depth=3
	v_lshrrev_b32_e32 v0, 24, v9
	v_cmp_ne_u32_e32 vcc, s97, v0
	v_bfrev_b32_e32 v1, 1
	s_and_saveexec_b64 s[94:95], vcc
	s_cbranch_execz .LBB6_1245
; %bb.1240:                             ;   in Loop: Header=BB6_138 Depth=3
	v_and_b32_e32 v1, 0x7c000000, v9
	v_bfe_u32 v2, v9, 24, 2
	v_cmp_ne_u32_e32 vcc, s68, v1
                                        ; implicit-def: $vgpr1
	s_and_saveexec_b64 s[62:63], vcc
	s_xor_b64 s[30:31], exec, s[62:63]
	s_cbranch_execz .LBB6_1242
; %bb.1241:                             ;   in Loop: Header=BB6_138 Depth=3
	v_ffbh_u32_e32 v1, v2
	v_min_u32_e32 v4, 32, v1
	v_subrev_u32_e32 v1, 29, v4
	v_lshlrev_b64 v[0:1], v1, v[0:1]
	v_bfe_u32 v3, v9, 26, 5
	v_sub_u32_e32 v1, 30, v4
	v_and_b32_e32 v0, 3, v0
	v_cmp_eq_u32_e32 vcc, 0, v3
	v_cndmask_b32_e32 v1, v3, v1, vcc
	v_cndmask_b32_e32 v0, v2, v0, vcc
	v_and_b32_e32 v2, 0x80000000, v9
	v_lshl_add_u32 v1, v1, 23, v2
	v_lshl_or_b32 v0, v0, 21, v1
	v_add_u32_e32 v1, 0x38000000, v0
                                        ; implicit-def: $vgpr2
.LBB6_1242:                             ;   in Loop: Header=BB6_138 Depth=3
	s_andn2_saveexec_b64 s[30:31], s[30:31]
; %bb.1243:                             ;   in Loop: Header=BB6_138 Depth=3
	v_cmp_lt_i64_e32 vcc, -1, v[8:9]
	v_mov_b32_e32 v0, 0xff800000
	v_mov_b32_e32 v1, 0x7f800000
	v_cndmask_b32_e32 v0, v0, v1, vcc
	v_cmp_eq_u32_e32 vcc, 0, v2
	v_mov_b32_e32 v1, 0x7f800001
	v_cndmask_b32_e32 v1, v1, v0, vcc
; %bb.1244:                             ;   in Loop: Header=BB6_138 Depth=3
	s_or_b64 exec, exec, s[30:31]
.LBB6_1245:                             ;   in Loop: Header=BB6_138 Depth=3
	s_or_b64 exec, exec, s[94:95]
.LBB6_1246:                             ;   in Loop: Header=BB6_138 Depth=3
	s_or_b64 exec, exec, s[26:27]
	v_mul_f32_e32 v2, v14, v1
	v_and_b32_e32 v3, 0x7f800000, v2
	v_mov_b32_e32 v4, v33
	v_cmp_ne_u64_e32 vcc, s[76:77], v[3:4]
	v_and_b32_e32 v0, 0x7fffff, v2
	v_mov_b32_e32 v1, v33
                                        ; implicit-def: $vgpr3
                                        ; kill: killed $vgpr3
	s_and_saveexec_b64 s[26:27], vcc
	s_xor_b64 s[94:95], exec, s[26:27]
	s_cbranch_execz .LBB6_1260
; %bb.1247:                             ;   in Loop: Header=BB6_138 Depth=3
	v_and_b32_e32 v3, 0x7fffffff, v2
	v_mov_b32_e32 v4, v33
	v_cmp_gt_u64_e32 vcc, s[78:79], v[3:4]
	v_and_b32_sdwa v3, v2, s97 dst_sel:DWORD dst_unused:UNUSED_PAD src0_sel:BYTE_3 src1_sel:DWORD
                                        ; implicit-def: $vgpr4
                                        ; kill: killed $vgpr4
	s_and_saveexec_b64 s[26:27], vcc
	s_xor_b64 s[30:31], exec, s[26:27]
	s_cbranch_execz .LBB6_1257
; %bb.1248:                             ;   in Loop: Header=BB6_138 Depth=3
	v_mov_b32_e32 v4, 0
	v_cmp_ne_u32_e32 vcc, 0, v2
	buffer_store_dword v4, off, s[0:3], s33 offset:352 ; 4-byte Folded Spill
	s_and_saveexec_b64 s[34:35], vcc
	s_cbranch_execz .LBB6_1256
; %bb.1249:                             ;   in Loop: Header=BB6_138 Depth=3
	v_bfe_u32 v5, v2, 23, 8
	v_cmp_gt_u32_e64 s[26:27], s47, v5
	v_sub_u32_e32 v2, 0x71, v5
	v_cmp_eq_u32_e32 vcc, 0, v5
	v_cndmask_b32_e64 v2, 0, v2, s[26:27]
	v_mov_b32_e32 v6, 0x70
	v_cndmask_b32_e32 v6, v2, v6, vcc
	v_add_u32_e32 v2, 21, v6
	v_or_b32_e32 v4, 0x800000, v0
	v_lshlrev_b64 v[7:8], v2, -1
	v_cndmask_b32_e32 v0, v4, v0, vcc
	v_add_u32_e32 v2, 20, v6
	v_bfi_b32 v7, v7, 0, v0
	v_lshlrev_b64 v[15:16], v2, 1
	v_lshrrev_b64 v[0:1], v6, v[0:1]
	v_bfi_b32 v8, v8, 0, 0
	v_cmp_eq_u64_e64 s[26:27], v[7:8], v[15:16]
	v_mov_b32_e32 v2, v1
	v_mov_b32_e32 v1, v0
	s_and_saveexec_b64 s[36:37], s[26:27]
; %bb.1250:                             ;   in Loop: Header=BB6_138 Depth=3
	v_bfe_u32 v1, v0, 21, 1
	v_add_co_u32_e64 v1, s[26:27], v0, v1
	v_add_co_u32_e64 v1, s[26:27], -1, v1
; %bb.1251:                             ;   in Loop: Header=BB6_138 Depth=3
	s_or_b64 exec, exec, s[36:37]
	v_add_u32_e32 v2, 0xffffff81, v5
	v_mov_b32_e32 v4, 0xffffff82
	v_cndmask_b32_e32 v2, v2, v4, vcc
	v_lshrrev_b32_e32 v4, 23, v0
	v_add3_u32 v6, v6, v2, v4
	v_add_u32_e32 v5, 14, v6
	v_and_b32_e32 v1, 0x1fffff, v1
	v_add_u32_e32 v0, v1, v0
	v_mov_b32_e32 v1, v33
	v_cmp_ne_u32_e32 vcc, 0, v5
                                        ; implicit-def: $vgpr2
	s_and_saveexec_b64 s[26:27], vcc
	s_xor_b64 s[26:27], exec, s[26:27]
; %bb.1252:                             ;   in Loop: Header=BB6_138 Depth=3
	v_cmp_lt_u64_e32 vcc, s[88:89], v[0:1]
	v_add_u32_e32 v2, 15, v6
	v_cndmask_b32_e64 v4, 0, 1, vcc
	v_lshrrev_b64 v[0:1], v4, v[0:1]
	v_cndmask_b32_e32 v2, v5, v2, vcc
; %bb.1253:                             ;   in Loop: Header=BB6_138 Depth=3
	s_andn2_saveexec_b64 s[26:27], s[26:27]
; %bb.1254:                             ;   in Loop: Header=BB6_138 Depth=3
	v_bfe_u32 v2, v0, 23, 1
; %bb.1255:                             ;   in Loop: Header=BB6_138 Depth=3
	s_or_b64 exec, exec, s[26:27]
	v_lshrrev_b64 v[0:1], 21, v[0:1]
	v_cmp_gt_i32_e32 vcc, 32, v2
	v_cndmask_b32_e32 v1, 0, v1, vcc
	v_cndmask_b32_e32 v0, 3, v0, vcc
	v_cmp_eq_u64_e64 s[26:27], 0, v[0:1]
	v_min_i32_e32 v1, 31, v2
	v_lshlrev_b32_e32 v1, 2, v1
	v_cmp_eq_u32_e32 vcc, 0, v2
	v_and_b32_e32 v1, 0xfc, v1
	v_and_or_b32 v0, v0, 3, v1
	s_and_b64 s[26:27], vcc, s[26:27]
	v_cndmask_b32_e64 v0, v0, 0, s[26:27]
	v_or_b32_e32 v0, v0, v3
	buffer_store_dword v0, off, s[0:3], s33 offset:352 ; 4-byte Folded Spill
.LBB6_1256:                             ;   in Loop: Header=BB6_138 Depth=3
	s_or_b64 exec, exec, s[34:35]
                                        ; implicit-def: $vgpr3
.LBB6_1257:                             ;   in Loop: Header=BB6_138 Depth=3
	s_andn2_saveexec_b64 s[26:27], s[30:31]
	s_cbranch_execz .LBB6_1259
; %bb.1258:                             ;   in Loop: Header=BB6_138 Depth=3
	v_or_b32_e32 v0, 0x7b, v3
	buffer_store_dword v0, off, s[0:3], s33 offset:352 ; 4-byte Folded Spill
.LBB6_1259:                             ;   in Loop: Header=BB6_138 Depth=3
	s_or_b64 exec, exec, s[26:27]
                                        ; implicit-def: $vgpr2
                                        ; implicit-def: $vgpr0_vgpr1
.LBB6_1260:                             ;   in Loop: Header=BB6_138 Depth=3
	s_andn2_saveexec_b64 s[26:27], s[94:95]
	s_cbranch_execz .LBB6_1266
; %bb.1261:                             ;   in Loop: Header=BB6_138 Depth=3
	v_cmp_ne_u64_e32 vcc, 0, v[0:1]
                                        ; implicit-def: $vgpr0
                                        ; kill: killed $vgpr0
	s_and_saveexec_b64 s[62:63], vcc
	s_xor_b64 s[94:95], exec, s[62:63]
	s_cbranch_execz .LBB6_1263
; %bb.1262:                             ;   in Loop: Header=BB6_138 Depth=3
	v_or_b32_sdwa v0, v2, s44 dst_sel:DWORD dst_unused:UNUSED_PAD src0_sel:BYTE_3 src1_sel:DWORD
	buffer_store_dword v0, off, s[0:3], s33 offset:352 ; 4-byte Folded Spill
                                        ; implicit-def: $vgpr2
.LBB6_1263:                             ;   in Loop: Header=BB6_138 Depth=3
	s_andn2_saveexec_b64 s[94:95], s[94:95]
	s_cbranch_execz .LBB6_1265
; %bb.1264:                             ;   in Loop: Header=BB6_138 Depth=3
	v_cmp_lt_i32_e32 vcc, -1, v2
	v_bfrev_b32_e32 v0, 0.5
	v_mov_b32_e32 v1, 0x7c
	v_cndmask_b32_e32 v0, v0, v1, vcc
	buffer_store_dword v0, off, s[0:3], s33 offset:352 ; 4-byte Folded Spill
.LBB6_1265:                             ;   in Loop: Header=BB6_138 Depth=3
	s_or_b64 exec, exec, s[94:95]
.LBB6_1266:                             ;   in Loop: Header=BB6_138 Depth=3
	s_or_b64 exec, exec, s[26:27]
	v_cmp_ne_u16_sdwa s[62:63], v10, v33 src0_sel:BYTE_0 src1_sel:DWORD
	v_mov_b32_e32 v0, 0
	s_and_saveexec_b64 s[26:27], s[62:63]
	s_cbranch_execz .LBB6_1274
; %bb.1267:                             ;   in Loop: Header=BB6_138 Depth=3
	v_cmp_ne_u16_sdwa s[62:63], sext(v10), s46 src0_sel:BYTE_0 src1_sel:DWORD
	v_bfrev_b32_e32 v0, 1
	s_and_saveexec_b64 s[94:95], s[62:63]
	s_cbranch_execz .LBB6_1273
; %bb.1268:                             ;   in Loop: Header=BB6_138 Depth=3
	v_and_b32_e32 v0, 0x7c, v10
	v_and_b32_e32 v1, 3, v10
	v_cmp_ne_u32_e32 vcc, s86, v0
                                        ; implicit-def: $vgpr0
	s_and_saveexec_b64 s[62:63], vcc
	s_xor_b64 s[30:31], exec, s[62:63]
	s_cbranch_execz .LBB6_1270
; %bb.1269:                             ;   in Loop: Header=BB6_138 Depth=3
	v_ffbh_u32_e32 v2, v1
	v_min_u32_e32 v4, 32, v2
	v_subrev_u32_e32 v2, 29, v4
	v_lshlrev_b64 v[2:3], v2, v[10:11]
	v_bfe_u32 v0, v10, 2, 5
	v_and_b32_e32 v2, 3, v2
	v_cmp_eq_u32_e32 vcc, 0, v0
	v_sub_u32_e32 v3, 30, v4
	v_cndmask_b32_e32 v1, v1, v2, vcc
	v_lshlrev_b32_e32 v2, 24, v10
	v_cndmask_b32_e32 v0, v0, v3, vcc
	v_and_b32_e32 v2, 0x80000000, v2
	v_lshl_add_u32 v0, v0, 23, v2
	v_lshl_or_b32 v0, v1, 21, v0
	v_add_u32_e32 v0, 0x38000000, v0
                                        ; implicit-def: $vgpr1
.LBB6_1270:                             ;   in Loop: Header=BB6_138 Depth=3
	s_andn2_saveexec_b64 s[30:31], s[30:31]
; %bb.1271:                             ;   in Loop: Header=BB6_138 Depth=3
	v_mov_b32_e32 v0, -1
	v_cmp_gt_i16_sdwa vcc, sext(v10), v0 src0_sel:BYTE_0 src1_sel:DWORD
	v_mov_b32_e32 v0, 0xff800000
	v_mov_b32_e32 v2, 0x7f800000
	v_cndmask_b32_e32 v0, v0, v2, vcc
	v_cmp_eq_u32_e32 vcc, 0, v1
	v_mov_b32_e32 v1, 0x7f800001
	v_cndmask_b32_e32 v0, v1, v0, vcc
; %bb.1272:                             ;   in Loop: Header=BB6_138 Depth=3
	s_or_b64 exec, exec, s[30:31]
.LBB6_1273:                             ;   in Loop: Header=BB6_138 Depth=3
	s_or_b64 exec, exec, s[94:95]
.LBB6_1274:                             ;   in Loop: Header=BB6_138 Depth=3
	s_or_b64 exec, exec, s[26:27]
	v_mul_f32_e32 v2, v14, v0
	v_and_b32_e32 v3, 0x7f800000, v2
	v_mov_b32_e32 v4, v33
	v_cmp_ne_u64_e32 vcc, s[76:77], v[3:4]
	v_and_b32_e32 v0, 0x7fffff, v2
	v_mov_b32_e32 v1, v33
                                        ; implicit-def: $vgpr3
                                        ; kill: killed $vgpr3
	s_and_saveexec_b64 s[26:27], vcc
	s_xor_b64 s[94:95], exec, s[26:27]
	s_cbranch_execz .LBB6_1288
; %bb.1275:                             ;   in Loop: Header=BB6_138 Depth=3
	v_and_b32_e32 v3, 0x7fffffff, v2
	v_mov_b32_e32 v4, v33
	v_cmp_gt_u64_e32 vcc, s[78:79], v[3:4]
	v_and_b32_sdwa v3, v2, s97 dst_sel:DWORD dst_unused:UNUSED_PAD src0_sel:BYTE_3 src1_sel:DWORD
                                        ; implicit-def: $vgpr4
                                        ; kill: killed $vgpr4
	s_and_saveexec_b64 s[26:27], vcc
	s_xor_b64 s[30:31], exec, s[26:27]
	s_cbranch_execz .LBB6_1285
; %bb.1276:                             ;   in Loop: Header=BB6_138 Depth=3
	v_mov_b32_e32 v4, 0
	v_cmp_ne_u32_e32 vcc, 0, v2
	buffer_store_dword v4, off, s[0:3], s33 offset:356 ; 4-byte Folded Spill
	s_and_saveexec_b64 s[34:35], vcc
	s_cbranch_execz .LBB6_1284
; %bb.1277:                             ;   in Loop: Header=BB6_138 Depth=3
	v_bfe_u32 v5, v2, 23, 8
	v_cmp_gt_u32_e64 s[26:27], s47, v5
	v_sub_u32_e32 v2, 0x71, v5
	v_cmp_eq_u32_e32 vcc, 0, v5
	v_cndmask_b32_e64 v2, 0, v2, s[26:27]
	v_mov_b32_e32 v6, 0x70
	v_cndmask_b32_e32 v6, v2, v6, vcc
	v_add_u32_e32 v2, 21, v6
	v_or_b32_e32 v4, 0x800000, v0
	v_lshlrev_b64 v[7:8], v2, -1
	v_cndmask_b32_e32 v0, v4, v0, vcc
	v_add_u32_e32 v2, 20, v6
	v_bfi_b32 v7, v7, 0, v0
	v_lshlrev_b64 v[15:16], v2, 1
	v_lshrrev_b64 v[0:1], v6, v[0:1]
	v_bfi_b32 v8, v8, 0, 0
	v_cmp_eq_u64_e64 s[26:27], v[7:8], v[15:16]
	v_mov_b32_e32 v2, v1
	v_mov_b32_e32 v1, v0
	s_and_saveexec_b64 s[36:37], s[26:27]
; %bb.1278:                             ;   in Loop: Header=BB6_138 Depth=3
	v_bfe_u32 v1, v0, 21, 1
	v_add_co_u32_e64 v1, s[26:27], v0, v1
	v_add_co_u32_e64 v1, s[26:27], -1, v1
; %bb.1279:                             ;   in Loop: Header=BB6_138 Depth=3
	s_or_b64 exec, exec, s[36:37]
	v_add_u32_e32 v2, 0xffffff81, v5
	v_mov_b32_e32 v4, 0xffffff82
	v_cndmask_b32_e32 v2, v2, v4, vcc
	v_lshrrev_b32_e32 v4, 23, v0
	v_add3_u32 v6, v6, v2, v4
	v_add_u32_e32 v5, 14, v6
	v_and_b32_e32 v1, 0x1fffff, v1
	v_add_u32_e32 v0, v1, v0
	v_mov_b32_e32 v1, v33
	v_cmp_ne_u32_e32 vcc, 0, v5
                                        ; implicit-def: $vgpr2
	s_and_saveexec_b64 s[26:27], vcc
	s_xor_b64 s[26:27], exec, s[26:27]
; %bb.1280:                             ;   in Loop: Header=BB6_138 Depth=3
	v_cmp_lt_u64_e32 vcc, s[88:89], v[0:1]
	v_add_u32_e32 v2, 15, v6
	v_cndmask_b32_e64 v4, 0, 1, vcc
	v_lshrrev_b64 v[0:1], v4, v[0:1]
	v_cndmask_b32_e32 v2, v5, v2, vcc
; %bb.1281:                             ;   in Loop: Header=BB6_138 Depth=3
	s_andn2_saveexec_b64 s[26:27], s[26:27]
; %bb.1282:                             ;   in Loop: Header=BB6_138 Depth=3
	v_bfe_u32 v2, v0, 23, 1
; %bb.1283:                             ;   in Loop: Header=BB6_138 Depth=3
	s_or_b64 exec, exec, s[26:27]
	v_lshrrev_b64 v[0:1], 21, v[0:1]
	v_cmp_gt_i32_e32 vcc, 32, v2
	v_cndmask_b32_e32 v1, 0, v1, vcc
	v_cndmask_b32_e32 v0, 3, v0, vcc
	v_cmp_eq_u64_e64 s[26:27], 0, v[0:1]
	v_min_i32_e32 v1, 31, v2
	v_lshlrev_b32_e32 v1, 2, v1
	v_cmp_eq_u32_e32 vcc, 0, v2
	v_and_b32_e32 v1, 0xfc, v1
	v_and_or_b32 v0, v0, 3, v1
	s_and_b64 s[26:27], vcc, s[26:27]
	v_cndmask_b32_e64 v0, v0, 0, s[26:27]
	v_or_b32_e32 v0, v0, v3
	buffer_store_dword v0, off, s[0:3], s33 offset:356 ; 4-byte Folded Spill
.LBB6_1284:                             ;   in Loop: Header=BB6_138 Depth=3
	s_or_b64 exec, exec, s[34:35]
                                        ; implicit-def: $vgpr3
.LBB6_1285:                             ;   in Loop: Header=BB6_138 Depth=3
	s_andn2_saveexec_b64 s[26:27], s[30:31]
	s_cbranch_execz .LBB6_1287
; %bb.1286:                             ;   in Loop: Header=BB6_138 Depth=3
	v_or_b32_e32 v0, 0x7b, v3
	buffer_store_dword v0, off, s[0:3], s33 offset:356 ; 4-byte Folded Spill
.LBB6_1287:                             ;   in Loop: Header=BB6_138 Depth=3
	s_or_b64 exec, exec, s[26:27]
                                        ; implicit-def: $vgpr2
                                        ; implicit-def: $vgpr0_vgpr1
.LBB6_1288:                             ;   in Loop: Header=BB6_138 Depth=3
	s_andn2_saveexec_b64 s[26:27], s[94:95]
	s_cbranch_execz .LBB6_1294
; %bb.1289:                             ;   in Loop: Header=BB6_138 Depth=3
	v_cmp_ne_u64_e32 vcc, 0, v[0:1]
                                        ; implicit-def: $vgpr0
                                        ; kill: killed $vgpr0
	s_and_saveexec_b64 s[62:63], vcc
	s_xor_b64 s[94:95], exec, s[62:63]
	s_cbranch_execz .LBB6_1291
; %bb.1290:                             ;   in Loop: Header=BB6_138 Depth=3
	v_or_b32_sdwa v0, v2, s44 dst_sel:DWORD dst_unused:UNUSED_PAD src0_sel:BYTE_3 src1_sel:DWORD
	buffer_store_dword v0, off, s[0:3], s33 offset:356 ; 4-byte Folded Spill
                                        ; implicit-def: $vgpr2
.LBB6_1291:                             ;   in Loop: Header=BB6_138 Depth=3
	s_andn2_saveexec_b64 s[94:95], s[94:95]
	s_cbranch_execz .LBB6_1293
; %bb.1292:                             ;   in Loop: Header=BB6_138 Depth=3
	v_cmp_lt_i32_e32 vcc, -1, v2
	v_bfrev_b32_e32 v0, 0.5
	v_mov_b32_e32 v1, 0x7c
	v_cndmask_b32_e32 v0, v0, v1, vcc
	buffer_store_dword v0, off, s[0:3], s33 offset:356 ; 4-byte Folded Spill
.LBB6_1293:                             ;   in Loop: Header=BB6_138 Depth=3
	s_or_b64 exec, exec, s[94:95]
.LBB6_1294:                             ;   in Loop: Header=BB6_138 Depth=3
	s_or_b64 exec, exec, s[26:27]
	v_lshrrev_b16_e32 v0, 8, v10
	v_cmp_ne_u16_e32 vcc, 0, v0
	v_mov_b32_e32 v1, 0
	s_and_saveexec_b64 s[26:27], vcc
	s_cbranch_execz .LBB6_1302
; %bb.1295:                             ;   in Loop: Header=BB6_138 Depth=3
	v_cmp_ne_u16_e32 vcc, s97, v0
	v_bfrev_b32_e32 v1, 1
	s_and_saveexec_b64 s[94:95], vcc
	s_cbranch_execz .LBB6_1301
; %bb.1296:                             ;   in Loop: Header=BB6_138 Depth=3
	v_and_b32_e32 v1, 0x7c, v0
	v_and_b32_e32 v2, 3, v0
	v_cmp_ne_u32_e32 vcc, s86, v1
                                        ; implicit-def: $vgpr1
	s_and_saveexec_b64 s[62:63], vcc
	s_xor_b64 s[30:31], exec, s[62:63]
	s_cbranch_execz .LBB6_1298
; %bb.1297:                             ;   in Loop: Header=BB6_138 Depth=3
	v_ffbh_u32_e32 v4, v2
	v_min_u32_e32 v4, 32, v4
	v_mov_b32_e32 v1, v33
	v_subrev_u32_e32 v5, 29, v4
	v_bfe_u32 v3, v0, 2, 5
	v_lshlrev_b64 v[0:1], v5, v[0:1]
	v_cmp_eq_u32_e32 vcc, 0, v3
	v_and_b32_e32 v0, 3, v0
	v_sub_u32_e32 v1, 30, v4
	v_cndmask_b32_e32 v0, v2, v0, vcc
	v_lshlrev_b32_e32 v2, 16, v10
	v_cndmask_b32_e32 v1, v3, v1, vcc
	v_and_b32_e32 v2, 0x80000000, v2
	v_lshl_add_u32 v1, v1, 23, v2
	v_lshl_or_b32 v0, v0, 21, v1
	v_add_u32_e32 v1, 0x38000000, v0
                                        ; implicit-def: $vgpr2
.LBB6_1298:                             ;   in Loop: Header=BB6_138 Depth=3
	s_andn2_saveexec_b64 s[30:31], s[30:31]
; %bb.1299:                             ;   in Loop: Header=BB6_138 Depth=3
	v_cmp_lt_i16_e32 vcc, -1, v10
	v_mov_b32_e32 v0, 0xff800000
	v_mov_b32_e32 v1, 0x7f800000
	v_cndmask_b32_e32 v0, v0, v1, vcc
	v_cmp_eq_u32_e32 vcc, 0, v2
	v_mov_b32_e32 v1, 0x7f800001
	v_cndmask_b32_e32 v1, v1, v0, vcc
; %bb.1300:                             ;   in Loop: Header=BB6_138 Depth=3
	s_or_b64 exec, exec, s[30:31]
.LBB6_1301:                             ;   in Loop: Header=BB6_138 Depth=3
	s_or_b64 exec, exec, s[94:95]
.LBB6_1302:                             ;   in Loop: Header=BB6_138 Depth=3
	s_or_b64 exec, exec, s[26:27]
	v_mul_f32_e32 v2, v14, v1
	v_and_b32_e32 v3, 0x7f800000, v2
	v_mov_b32_e32 v4, v33
	v_cmp_ne_u64_e32 vcc, s[76:77], v[3:4]
	v_and_b32_e32 v0, 0x7fffff, v2
	v_mov_b32_e32 v1, v33
                                        ; implicit-def: $vgpr3
                                        ; kill: killed $vgpr3
	s_and_saveexec_b64 s[26:27], vcc
	s_xor_b64 s[94:95], exec, s[26:27]
	s_cbranch_execz .LBB6_1316
; %bb.1303:                             ;   in Loop: Header=BB6_138 Depth=3
	v_and_b32_e32 v3, 0x7fffffff, v2
	v_mov_b32_e32 v4, v33
	v_cmp_gt_u64_e32 vcc, s[78:79], v[3:4]
	v_and_b32_sdwa v3, v2, s97 dst_sel:DWORD dst_unused:UNUSED_PAD src0_sel:BYTE_3 src1_sel:DWORD
                                        ; implicit-def: $vgpr4
                                        ; kill: killed $vgpr4
	s_and_saveexec_b64 s[26:27], vcc
	s_xor_b64 s[30:31], exec, s[26:27]
	s_cbranch_execz .LBB6_1313
; %bb.1304:                             ;   in Loop: Header=BB6_138 Depth=3
	v_mov_b32_e32 v4, 0
	v_cmp_ne_u32_e32 vcc, 0, v2
	buffer_store_dword v4, off, s[0:3], s33 offset:360 ; 4-byte Folded Spill
	s_and_saveexec_b64 s[34:35], vcc
	s_cbranch_execz .LBB6_1312
; %bb.1305:                             ;   in Loop: Header=BB6_138 Depth=3
	v_bfe_u32 v5, v2, 23, 8
	v_cmp_gt_u32_e64 s[26:27], s47, v5
	v_sub_u32_e32 v2, 0x71, v5
	v_cmp_eq_u32_e32 vcc, 0, v5
	v_cndmask_b32_e64 v2, 0, v2, s[26:27]
	v_mov_b32_e32 v6, 0x70
	v_cndmask_b32_e32 v6, v2, v6, vcc
	v_add_u32_e32 v2, 21, v6
	v_or_b32_e32 v4, 0x800000, v0
	v_lshlrev_b64 v[7:8], v2, -1
	v_cndmask_b32_e32 v0, v4, v0, vcc
	v_add_u32_e32 v2, 20, v6
	v_bfi_b32 v7, v7, 0, v0
	v_lshlrev_b64 v[15:16], v2, 1
	v_lshrrev_b64 v[0:1], v6, v[0:1]
	v_bfi_b32 v8, v8, 0, 0
	v_cmp_eq_u64_e64 s[26:27], v[7:8], v[15:16]
	v_mov_b32_e32 v2, v1
	v_mov_b32_e32 v1, v0
	s_and_saveexec_b64 s[36:37], s[26:27]
; %bb.1306:                             ;   in Loop: Header=BB6_138 Depth=3
	v_bfe_u32 v1, v0, 21, 1
	v_add_co_u32_e64 v1, s[26:27], v0, v1
	v_add_co_u32_e64 v1, s[26:27], -1, v1
; %bb.1307:                             ;   in Loop: Header=BB6_138 Depth=3
	s_or_b64 exec, exec, s[36:37]
	v_add_u32_e32 v2, 0xffffff81, v5
	v_mov_b32_e32 v4, 0xffffff82
	v_cndmask_b32_e32 v2, v2, v4, vcc
	v_lshrrev_b32_e32 v4, 23, v0
	v_add3_u32 v6, v6, v2, v4
	v_add_u32_e32 v5, 14, v6
	v_and_b32_e32 v1, 0x1fffff, v1
	v_add_u32_e32 v0, v1, v0
	v_mov_b32_e32 v1, v33
	v_cmp_ne_u32_e32 vcc, 0, v5
                                        ; implicit-def: $vgpr2
	s_and_saveexec_b64 s[26:27], vcc
	s_xor_b64 s[26:27], exec, s[26:27]
; %bb.1308:                             ;   in Loop: Header=BB6_138 Depth=3
	v_cmp_lt_u64_e32 vcc, s[88:89], v[0:1]
	v_add_u32_e32 v2, 15, v6
	v_cndmask_b32_e64 v4, 0, 1, vcc
	v_lshrrev_b64 v[0:1], v4, v[0:1]
	v_cndmask_b32_e32 v2, v5, v2, vcc
; %bb.1309:                             ;   in Loop: Header=BB6_138 Depth=3
	s_andn2_saveexec_b64 s[26:27], s[26:27]
; %bb.1310:                             ;   in Loop: Header=BB6_138 Depth=3
	v_bfe_u32 v2, v0, 23, 1
; %bb.1311:                             ;   in Loop: Header=BB6_138 Depth=3
	s_or_b64 exec, exec, s[26:27]
	v_lshrrev_b64 v[0:1], 21, v[0:1]
	v_cmp_gt_i32_e32 vcc, 32, v2
	v_cndmask_b32_e32 v1, 0, v1, vcc
	v_cndmask_b32_e32 v0, 3, v0, vcc
	v_cmp_eq_u64_e64 s[26:27], 0, v[0:1]
	v_min_i32_e32 v1, 31, v2
	v_lshlrev_b32_e32 v1, 2, v1
	v_cmp_eq_u32_e32 vcc, 0, v2
	v_and_b32_e32 v1, 0xfc, v1
	v_and_or_b32 v0, v0, 3, v1
	s_and_b64 s[26:27], vcc, s[26:27]
	v_cndmask_b32_e64 v0, v0, 0, s[26:27]
	v_or_b32_e32 v0, v0, v3
	buffer_store_dword v0, off, s[0:3], s33 offset:360 ; 4-byte Folded Spill
.LBB6_1312:                             ;   in Loop: Header=BB6_138 Depth=3
	s_or_b64 exec, exec, s[34:35]
                                        ; implicit-def: $vgpr3
.LBB6_1313:                             ;   in Loop: Header=BB6_138 Depth=3
	s_andn2_saveexec_b64 s[26:27], s[30:31]
	s_cbranch_execz .LBB6_1315
; %bb.1314:                             ;   in Loop: Header=BB6_138 Depth=3
	v_or_b32_e32 v0, 0x7b, v3
	buffer_store_dword v0, off, s[0:3], s33 offset:360 ; 4-byte Folded Spill
.LBB6_1315:                             ;   in Loop: Header=BB6_138 Depth=3
	s_or_b64 exec, exec, s[26:27]
                                        ; implicit-def: $vgpr2
                                        ; implicit-def: $vgpr0_vgpr1
.LBB6_1316:                             ;   in Loop: Header=BB6_138 Depth=3
	s_andn2_saveexec_b64 s[26:27], s[94:95]
	s_cbranch_execz .LBB6_1322
; %bb.1317:                             ;   in Loop: Header=BB6_138 Depth=3
	v_cmp_ne_u64_e32 vcc, 0, v[0:1]
                                        ; implicit-def: $vgpr0
                                        ; kill: killed $vgpr0
	s_and_saveexec_b64 s[62:63], vcc
	s_xor_b64 s[94:95], exec, s[62:63]
	s_cbranch_execz .LBB6_1319
; %bb.1318:                             ;   in Loop: Header=BB6_138 Depth=3
	v_or_b32_sdwa v0, v2, s44 dst_sel:DWORD dst_unused:UNUSED_PAD src0_sel:BYTE_3 src1_sel:DWORD
	buffer_store_dword v0, off, s[0:3], s33 offset:360 ; 4-byte Folded Spill
                                        ; implicit-def: $vgpr2
.LBB6_1319:                             ;   in Loop: Header=BB6_138 Depth=3
	s_andn2_saveexec_b64 s[94:95], s[94:95]
	s_cbranch_execz .LBB6_1321
; %bb.1320:                             ;   in Loop: Header=BB6_138 Depth=3
	v_cmp_lt_i32_e32 vcc, -1, v2
	v_bfrev_b32_e32 v0, 0.5
	v_mov_b32_e32 v1, 0x7c
	v_cndmask_b32_e32 v0, v0, v1, vcc
	buffer_store_dword v0, off, s[0:3], s33 offset:360 ; 4-byte Folded Spill
.LBB6_1321:                             ;   in Loop: Header=BB6_138 Depth=3
	s_or_b64 exec, exec, s[94:95]
.LBB6_1322:                             ;   in Loop: Header=BB6_138 Depth=3
	s_or_b64 exec, exec, s[26:27]
	v_lshrrev_b32_e32 v0, 16, v10
	v_cmp_ne_u16_sdwa s[62:63], v0, v33 src0_sel:BYTE_0 src1_sel:DWORD
	v_mov_b32_e32 v1, 0
	s_and_saveexec_b64 s[26:27], s[62:63]
	s_cbranch_execz .LBB6_1330
; %bb.1323:                             ;   in Loop: Header=BB6_138 Depth=3
	v_cmp_ne_u16_sdwa s[62:63], v0, s97 src0_sel:BYTE_0 src1_sel:DWORD
	v_bfrev_b32_e32 v1, 1
	s_and_saveexec_b64 s[94:95], s[62:63]
	s_cbranch_execz .LBB6_1329
; %bb.1324:                             ;   in Loop: Header=BB6_138 Depth=3
	v_and_b32_e32 v1, 0x7c0000, v10
	v_bfe_u32 v2, v10, 16, 2
	v_cmp_ne_u32_e32 vcc, s45, v1
                                        ; implicit-def: $vgpr1
	s_and_saveexec_b64 s[62:63], vcc
	s_xor_b64 s[30:31], exec, s[62:63]
	s_cbranch_execz .LBB6_1326
; %bb.1325:                             ;   in Loop: Header=BB6_138 Depth=3
	v_ffbh_u32_e32 v1, v2
	v_min_u32_e32 v4, 32, v1
	v_subrev_u32_e32 v1, 29, v4
	v_lshlrev_b64 v[0:1], v1, v[0:1]
	v_bfe_u32 v3, v10, 18, 5
	v_and_b32_e32 v0, 3, v0
	v_cmp_eq_u32_e32 vcc, 0, v3
	v_sub_u32_e32 v1, 30, v4
	v_cndmask_b32_e32 v0, v2, v0, vcc
	v_lshlrev_b32_e32 v2, 8, v10
	v_cndmask_b32_e32 v1, v3, v1, vcc
	v_and_b32_e32 v2, 0x80000000, v2
	v_lshl_add_u32 v1, v1, 23, v2
	v_lshl_or_b32 v0, v0, 21, v1
	v_add_u32_e32 v1, 0x38000000, v0
                                        ; implicit-def: $vgpr2
                                        ; implicit-def: $vgpr0
.LBB6_1326:                             ;   in Loop: Header=BB6_138 Depth=3
	s_andn2_saveexec_b64 s[30:31], s[30:31]
; %bb.1327:                             ;   in Loop: Header=BB6_138 Depth=3
	v_mov_b32_e32 v1, -1
	v_cmp_gt_i16_sdwa vcc, sext(v0), v1 src0_sel:BYTE_0 src1_sel:DWORD
	v_mov_b32_e32 v0, 0xff800000
	v_mov_b32_e32 v1, 0x7f800000
	v_cndmask_b32_e32 v0, v0, v1, vcc
	v_cmp_eq_u32_e32 vcc, 0, v2
	v_mov_b32_e32 v1, 0x7f800001
	v_cndmask_b32_e32 v1, v1, v0, vcc
; %bb.1328:                             ;   in Loop: Header=BB6_138 Depth=3
	s_or_b64 exec, exec, s[30:31]
.LBB6_1329:                             ;   in Loop: Header=BB6_138 Depth=3
	s_or_b64 exec, exec, s[94:95]
.LBB6_1330:                             ;   in Loop: Header=BB6_138 Depth=3
	s_or_b64 exec, exec, s[26:27]
	v_mul_f32_e32 v2, v14, v1
	v_and_b32_e32 v3, 0x7f800000, v2
	v_mov_b32_e32 v4, v33
	v_cmp_ne_u64_e32 vcc, s[76:77], v[3:4]
	v_and_b32_e32 v0, 0x7fffff, v2
	v_mov_b32_e32 v1, v33
                                        ; implicit-def: $vgpr3
                                        ; kill: killed $vgpr3
	s_and_saveexec_b64 s[26:27], vcc
	s_xor_b64 s[94:95], exec, s[26:27]
	s_cbranch_execz .LBB6_1344
; %bb.1331:                             ;   in Loop: Header=BB6_138 Depth=3
	v_and_b32_e32 v3, 0x7fffffff, v2
	v_mov_b32_e32 v4, v33
	v_cmp_gt_u64_e32 vcc, s[78:79], v[3:4]
	v_and_b32_sdwa v3, v2, s97 dst_sel:DWORD dst_unused:UNUSED_PAD src0_sel:BYTE_3 src1_sel:DWORD
                                        ; implicit-def: $vgpr4
                                        ; kill: killed $vgpr4
	s_and_saveexec_b64 s[26:27], vcc
	s_xor_b64 s[30:31], exec, s[26:27]
	s_cbranch_execz .LBB6_1341
; %bb.1332:                             ;   in Loop: Header=BB6_138 Depth=3
	v_mov_b32_e32 v4, 0
	v_cmp_ne_u32_e32 vcc, 0, v2
	buffer_store_dword v4, off, s[0:3], s33 offset:364 ; 4-byte Folded Spill
	s_and_saveexec_b64 s[34:35], vcc
	s_cbranch_execz .LBB6_1340
; %bb.1333:                             ;   in Loop: Header=BB6_138 Depth=3
	v_bfe_u32 v5, v2, 23, 8
	v_cmp_gt_u32_e64 s[26:27], s47, v5
	v_sub_u32_e32 v2, 0x71, v5
	v_cmp_eq_u32_e32 vcc, 0, v5
	v_cndmask_b32_e64 v2, 0, v2, s[26:27]
	v_mov_b32_e32 v6, 0x70
	v_cndmask_b32_e32 v6, v2, v6, vcc
	v_add_u32_e32 v2, 21, v6
	v_or_b32_e32 v4, 0x800000, v0
	v_lshlrev_b64 v[7:8], v2, -1
	v_cndmask_b32_e32 v0, v4, v0, vcc
	v_add_u32_e32 v2, 20, v6
	v_bfi_b32 v7, v7, 0, v0
	v_lshlrev_b64 v[15:16], v2, 1
	v_lshrrev_b64 v[0:1], v6, v[0:1]
	v_bfi_b32 v8, v8, 0, 0
	v_cmp_eq_u64_e64 s[26:27], v[7:8], v[15:16]
	v_mov_b32_e32 v2, v1
	v_mov_b32_e32 v1, v0
	s_and_saveexec_b64 s[36:37], s[26:27]
; %bb.1334:                             ;   in Loop: Header=BB6_138 Depth=3
	v_bfe_u32 v1, v0, 21, 1
	v_add_co_u32_e64 v1, s[26:27], v0, v1
	v_add_co_u32_e64 v1, s[26:27], -1, v1
; %bb.1335:                             ;   in Loop: Header=BB6_138 Depth=3
	s_or_b64 exec, exec, s[36:37]
	v_add_u32_e32 v2, 0xffffff81, v5
	v_mov_b32_e32 v4, 0xffffff82
	v_cndmask_b32_e32 v2, v2, v4, vcc
	v_lshrrev_b32_e32 v4, 23, v0
	v_add3_u32 v6, v6, v2, v4
	v_add_u32_e32 v5, 14, v6
	v_and_b32_e32 v1, 0x1fffff, v1
	v_add_u32_e32 v0, v1, v0
	v_mov_b32_e32 v1, v33
	v_cmp_ne_u32_e32 vcc, 0, v5
                                        ; implicit-def: $vgpr2
	s_and_saveexec_b64 s[26:27], vcc
	s_xor_b64 s[26:27], exec, s[26:27]
; %bb.1336:                             ;   in Loop: Header=BB6_138 Depth=3
	v_cmp_lt_u64_e32 vcc, s[88:89], v[0:1]
	v_add_u32_e32 v2, 15, v6
	v_cndmask_b32_e64 v4, 0, 1, vcc
	v_lshrrev_b64 v[0:1], v4, v[0:1]
	v_cndmask_b32_e32 v2, v5, v2, vcc
; %bb.1337:                             ;   in Loop: Header=BB6_138 Depth=3
	s_andn2_saveexec_b64 s[26:27], s[26:27]
; %bb.1338:                             ;   in Loop: Header=BB6_138 Depth=3
	v_bfe_u32 v2, v0, 23, 1
; %bb.1339:                             ;   in Loop: Header=BB6_138 Depth=3
	s_or_b64 exec, exec, s[26:27]
	v_lshrrev_b64 v[0:1], 21, v[0:1]
	v_cmp_gt_i32_e32 vcc, 32, v2
	v_cndmask_b32_e32 v1, 0, v1, vcc
	v_cndmask_b32_e32 v0, 3, v0, vcc
	v_cmp_eq_u64_e64 s[26:27], 0, v[0:1]
	v_min_i32_e32 v1, 31, v2
	v_lshlrev_b32_e32 v1, 2, v1
	v_cmp_eq_u32_e32 vcc, 0, v2
	v_and_b32_e32 v1, 0xfc, v1
	v_and_or_b32 v0, v0, 3, v1
	s_and_b64 s[26:27], vcc, s[26:27]
	v_cndmask_b32_e64 v0, v0, 0, s[26:27]
	v_or_b32_e32 v0, v0, v3
	buffer_store_dword v0, off, s[0:3], s33 offset:364 ; 4-byte Folded Spill
.LBB6_1340:                             ;   in Loop: Header=BB6_138 Depth=3
	s_or_b64 exec, exec, s[34:35]
                                        ; implicit-def: $vgpr3
.LBB6_1341:                             ;   in Loop: Header=BB6_138 Depth=3
	s_andn2_saveexec_b64 s[26:27], s[30:31]
	s_cbranch_execz .LBB6_1343
; %bb.1342:                             ;   in Loop: Header=BB6_138 Depth=3
	v_or_b32_e32 v0, 0x7b, v3
	buffer_store_dword v0, off, s[0:3], s33 offset:364 ; 4-byte Folded Spill
.LBB6_1343:                             ;   in Loop: Header=BB6_138 Depth=3
	s_or_b64 exec, exec, s[26:27]
                                        ; implicit-def: $vgpr2
                                        ; implicit-def: $vgpr0_vgpr1
.LBB6_1344:                             ;   in Loop: Header=BB6_138 Depth=3
	s_andn2_saveexec_b64 s[26:27], s[94:95]
	s_cbranch_execz .LBB6_1350
; %bb.1345:                             ;   in Loop: Header=BB6_138 Depth=3
	v_cmp_ne_u64_e32 vcc, 0, v[0:1]
                                        ; implicit-def: $vgpr0
                                        ; kill: killed $vgpr0
	s_and_saveexec_b64 s[62:63], vcc
	s_xor_b64 s[94:95], exec, s[62:63]
	s_cbranch_execz .LBB6_1347
; %bb.1346:                             ;   in Loop: Header=BB6_138 Depth=3
	v_or_b32_sdwa v0, v2, s44 dst_sel:DWORD dst_unused:UNUSED_PAD src0_sel:BYTE_3 src1_sel:DWORD
	buffer_store_dword v0, off, s[0:3], s33 offset:364 ; 4-byte Folded Spill
                                        ; implicit-def: $vgpr2
.LBB6_1347:                             ;   in Loop: Header=BB6_138 Depth=3
	s_andn2_saveexec_b64 s[94:95], s[94:95]
	s_cbranch_execz .LBB6_1349
; %bb.1348:                             ;   in Loop: Header=BB6_138 Depth=3
	v_cmp_lt_i32_e32 vcc, -1, v2
	v_bfrev_b32_e32 v0, 0.5
	v_mov_b32_e32 v1, 0x7c
	v_cndmask_b32_e32 v0, v0, v1, vcc
	buffer_store_dword v0, off, s[0:3], s33 offset:364 ; 4-byte Folded Spill
.LBB6_1349:                             ;   in Loop: Header=BB6_138 Depth=3
	s_or_b64 exec, exec, s[94:95]
.LBB6_1350:                             ;   in Loop: Header=BB6_138 Depth=3
	s_or_b64 exec, exec, s[26:27]
	v_cmp_lt_u32_e32 vcc, s57, v10
	v_mov_b32_e32 v1, 0
	s_and_saveexec_b64 s[26:27], vcc
	s_cbranch_execz .LBB6_1358
; %bb.1351:                             ;   in Loop: Header=BB6_138 Depth=3
	v_lshrrev_b32_e32 v0, 24, v10
	v_cmp_ne_u32_e32 vcc, s97, v0
	v_bfrev_b32_e32 v1, 1
	s_and_saveexec_b64 s[94:95], vcc
	s_cbranch_execz .LBB6_1357
; %bb.1352:                             ;   in Loop: Header=BB6_138 Depth=3
	v_and_b32_e32 v1, 0x7c000000, v10
	v_bfe_u32 v2, v10, 24, 2
	v_cmp_ne_u32_e32 vcc, s68, v1
                                        ; implicit-def: $vgpr1
	s_and_saveexec_b64 s[62:63], vcc
	s_xor_b64 s[30:31], exec, s[62:63]
	s_cbranch_execz .LBB6_1354
; %bb.1353:                             ;   in Loop: Header=BB6_138 Depth=3
	v_ffbh_u32_e32 v1, v2
	v_min_u32_e32 v4, 32, v1
	v_subrev_u32_e32 v1, 29, v4
	v_lshlrev_b64 v[0:1], v1, v[0:1]
	v_bfe_u32 v3, v10, 26, 5
	v_sub_u32_e32 v1, 30, v4
	v_and_b32_e32 v0, 3, v0
	v_cmp_eq_u32_e32 vcc, 0, v3
	v_cndmask_b32_e32 v1, v3, v1, vcc
	v_cndmask_b32_e32 v0, v2, v0, vcc
	v_and_b32_e32 v2, 0x80000000, v10
	v_lshl_add_u32 v1, v1, 23, v2
	v_lshl_or_b32 v0, v0, 21, v1
	v_add_u32_e32 v1, 0x38000000, v0
                                        ; implicit-def: $vgpr2
.LBB6_1354:                             ;   in Loop: Header=BB6_138 Depth=3
	s_andn2_saveexec_b64 s[30:31], s[30:31]
; %bb.1355:                             ;   in Loop: Header=BB6_138 Depth=3
	v_cmp_lt_i32_e32 vcc, -1, v10
	v_mov_b32_e32 v0, 0xff800000
	v_mov_b32_e32 v1, 0x7f800000
	v_cndmask_b32_e32 v0, v0, v1, vcc
	v_cmp_eq_u32_e32 vcc, 0, v2
	v_mov_b32_e32 v1, 0x7f800001
	v_cndmask_b32_e32 v1, v1, v0, vcc
; %bb.1356:                             ;   in Loop: Header=BB6_138 Depth=3
	s_or_b64 exec, exec, s[30:31]
.LBB6_1357:                             ;   in Loop: Header=BB6_138 Depth=3
	s_or_b64 exec, exec, s[94:95]
.LBB6_1358:                             ;   in Loop: Header=BB6_138 Depth=3
	s_or_b64 exec, exec, s[26:27]
	v_mul_f32_e32 v2, v14, v1
	v_and_b32_e32 v3, 0x7f800000, v2
	v_mov_b32_e32 v4, v33
	v_cmp_ne_u64_e32 vcc, s[76:77], v[3:4]
	v_and_b32_e32 v0, 0x7fffff, v2
	v_mov_b32_e32 v1, v33
                                        ; implicit-def: $vgpr3
                                        ; kill: killed $vgpr3
	s_and_saveexec_b64 s[26:27], vcc
	s_xor_b64 s[94:95], exec, s[26:27]
	s_cbranch_execz .LBB6_1372
; %bb.1359:                             ;   in Loop: Header=BB6_138 Depth=3
	v_and_b32_e32 v3, 0x7fffffff, v2
	v_mov_b32_e32 v4, v33
	v_cmp_gt_u64_e32 vcc, s[78:79], v[3:4]
	v_and_b32_sdwa v3, v2, s97 dst_sel:DWORD dst_unused:UNUSED_PAD src0_sel:BYTE_3 src1_sel:DWORD
                                        ; implicit-def: $vgpr4
                                        ; kill: killed $vgpr4
	s_and_saveexec_b64 s[26:27], vcc
	s_xor_b64 s[30:31], exec, s[26:27]
	s_cbranch_execz .LBB6_1369
; %bb.1360:                             ;   in Loop: Header=BB6_138 Depth=3
	v_mov_b32_e32 v4, 0
	v_cmp_ne_u32_e32 vcc, 0, v2
	buffer_store_dword v4, off, s[0:3], s33 offset:368 ; 4-byte Folded Spill
	s_and_saveexec_b64 s[34:35], vcc
	s_cbranch_execz .LBB6_1368
; %bb.1361:                             ;   in Loop: Header=BB6_138 Depth=3
	v_bfe_u32 v5, v2, 23, 8
	v_cmp_gt_u32_e64 s[26:27], s47, v5
	v_sub_u32_e32 v2, 0x71, v5
	v_cmp_eq_u32_e32 vcc, 0, v5
	v_cndmask_b32_e64 v2, 0, v2, s[26:27]
	v_mov_b32_e32 v6, 0x70
	v_cndmask_b32_e32 v6, v2, v6, vcc
	v_add_u32_e32 v2, 21, v6
	v_or_b32_e32 v4, 0x800000, v0
	v_lshlrev_b64 v[7:8], v2, -1
	v_cndmask_b32_e32 v0, v4, v0, vcc
	v_add_u32_e32 v2, 20, v6
	v_bfi_b32 v7, v7, 0, v0
	v_lshlrev_b64 v[15:16], v2, 1
	v_lshrrev_b64 v[0:1], v6, v[0:1]
	v_bfi_b32 v8, v8, 0, 0
	v_cmp_eq_u64_e64 s[26:27], v[7:8], v[15:16]
	v_mov_b32_e32 v2, v1
	v_mov_b32_e32 v1, v0
	s_and_saveexec_b64 s[36:37], s[26:27]
; %bb.1362:                             ;   in Loop: Header=BB6_138 Depth=3
	v_bfe_u32 v1, v0, 21, 1
	v_add_co_u32_e64 v1, s[26:27], v0, v1
	v_add_co_u32_e64 v1, s[26:27], -1, v1
; %bb.1363:                             ;   in Loop: Header=BB6_138 Depth=3
	s_or_b64 exec, exec, s[36:37]
	v_add_u32_e32 v2, 0xffffff81, v5
	v_mov_b32_e32 v4, 0xffffff82
	v_cndmask_b32_e32 v2, v2, v4, vcc
	v_lshrrev_b32_e32 v4, 23, v0
	v_add3_u32 v6, v6, v2, v4
	v_add_u32_e32 v5, 14, v6
	v_and_b32_e32 v1, 0x1fffff, v1
	v_add_u32_e32 v0, v1, v0
	v_mov_b32_e32 v1, v33
	v_cmp_ne_u32_e32 vcc, 0, v5
                                        ; implicit-def: $vgpr2
	s_and_saveexec_b64 s[26:27], vcc
	s_xor_b64 s[26:27], exec, s[26:27]
; %bb.1364:                             ;   in Loop: Header=BB6_138 Depth=3
	v_cmp_lt_u64_e32 vcc, s[88:89], v[0:1]
	v_add_u32_e32 v2, 15, v6
	v_cndmask_b32_e64 v4, 0, 1, vcc
	v_lshrrev_b64 v[0:1], v4, v[0:1]
	v_cndmask_b32_e32 v2, v5, v2, vcc
; %bb.1365:                             ;   in Loop: Header=BB6_138 Depth=3
	s_andn2_saveexec_b64 s[26:27], s[26:27]
; %bb.1366:                             ;   in Loop: Header=BB6_138 Depth=3
	v_bfe_u32 v2, v0, 23, 1
; %bb.1367:                             ;   in Loop: Header=BB6_138 Depth=3
	s_or_b64 exec, exec, s[26:27]
	v_lshrrev_b64 v[0:1], 21, v[0:1]
	v_cmp_gt_i32_e32 vcc, 32, v2
	v_cndmask_b32_e32 v1, 0, v1, vcc
	v_cndmask_b32_e32 v0, 3, v0, vcc
	v_cmp_eq_u64_e64 s[26:27], 0, v[0:1]
	v_min_i32_e32 v1, 31, v2
	v_lshlrev_b32_e32 v1, 2, v1
	v_cmp_eq_u32_e32 vcc, 0, v2
	v_and_b32_e32 v1, 0xfc, v1
	v_and_or_b32 v0, v0, 3, v1
	s_and_b64 s[26:27], vcc, s[26:27]
	v_cndmask_b32_e64 v0, v0, 0, s[26:27]
	v_or_b32_e32 v0, v0, v3
	buffer_store_dword v0, off, s[0:3], s33 offset:368 ; 4-byte Folded Spill
.LBB6_1368:                             ;   in Loop: Header=BB6_138 Depth=3
	s_or_b64 exec, exec, s[34:35]
                                        ; implicit-def: $vgpr3
.LBB6_1369:                             ;   in Loop: Header=BB6_138 Depth=3
	s_andn2_saveexec_b64 s[26:27], s[30:31]
	s_cbranch_execz .LBB6_1371
; %bb.1370:                             ;   in Loop: Header=BB6_138 Depth=3
	v_or_b32_e32 v0, 0x7b, v3
	buffer_store_dword v0, off, s[0:3], s33 offset:368 ; 4-byte Folded Spill
.LBB6_1371:                             ;   in Loop: Header=BB6_138 Depth=3
	s_or_b64 exec, exec, s[26:27]
                                        ; implicit-def: $vgpr2
                                        ; implicit-def: $vgpr0_vgpr1
.LBB6_1372:                             ;   in Loop: Header=BB6_138 Depth=3
	s_andn2_saveexec_b64 s[26:27], s[94:95]
	s_cbranch_execz .LBB6_1378
; %bb.1373:                             ;   in Loop: Header=BB6_138 Depth=3
	v_cmp_ne_u64_e32 vcc, 0, v[0:1]
                                        ; implicit-def: $vgpr0
                                        ; kill: killed $vgpr0
	s_and_saveexec_b64 s[62:63], vcc
	s_xor_b64 s[94:95], exec, s[62:63]
	s_cbranch_execz .LBB6_1375
; %bb.1374:                             ;   in Loop: Header=BB6_138 Depth=3
	v_or_b32_sdwa v0, v2, s44 dst_sel:DWORD dst_unused:UNUSED_PAD src0_sel:BYTE_3 src1_sel:DWORD
	buffer_store_dword v0, off, s[0:3], s33 offset:368 ; 4-byte Folded Spill
                                        ; implicit-def: $vgpr2
.LBB6_1375:                             ;   in Loop: Header=BB6_138 Depth=3
	s_andn2_saveexec_b64 s[94:95], s[94:95]
	s_cbranch_execz .LBB6_1377
; %bb.1376:                             ;   in Loop: Header=BB6_138 Depth=3
	v_cmp_lt_i32_e32 vcc, -1, v2
	v_bfrev_b32_e32 v0, 0.5
	v_mov_b32_e32 v1, 0x7c
	v_cndmask_b32_e32 v0, v0, v1, vcc
	buffer_store_dword v0, off, s[0:3], s33 offset:368 ; 4-byte Folded Spill
.LBB6_1377:                             ;   in Loop: Header=BB6_138 Depth=3
	s_or_b64 exec, exec, s[94:95]
.LBB6_1378:                             ;   in Loop: Header=BB6_138 Depth=3
	s_or_b64 exec, exec, s[26:27]
	v_mov_b32_e32 v0, v11
	v_mov_b32_e32 v1, v33
	v_cmp_ne_u16_sdwa s[62:63], v11, v33 src0_sel:BYTE_0 src1_sel:DWORD
	v_mov_b32_e32 v2, 0
	s_and_saveexec_b64 s[26:27], s[62:63]
	s_cbranch_execz .LBB6_1386
; %bb.1379:                             ;   in Loop: Header=BB6_138 Depth=3
	v_cmp_ne_u16_sdwa s[62:63], v11, s97 src0_sel:BYTE_0 src1_sel:DWORD
	v_bfrev_b32_e32 v2, 1
	s_and_saveexec_b64 s[94:95], s[62:63]
	s_cbranch_execz .LBB6_1385
; %bb.1380:                             ;   in Loop: Header=BB6_138 Depth=3
	v_and_b32_e32 v2, 0x7c, v11
	v_and_b32_e32 v3, 3, v11
	v_cmp_ne_u32_e32 vcc, s86, v2
                                        ; implicit-def: $vgpr2
	s_and_saveexec_b64 s[62:63], vcc
	s_xor_b64 s[30:31], exec, s[62:63]
	s_cbranch_execz .LBB6_1382
; %bb.1381:                             ;   in Loop: Header=BB6_138 Depth=3
	v_ffbh_u32_e32 v2, v3
	v_min_u32_e32 v5, 32, v2
	v_subrev_u32_e32 v2, 29, v5
	v_lshlrev_b64 v[1:2], v2, v[0:1]
	v_bfe_u32 v4, v11, 2, 5
	v_and_b32_e32 v1, 3, v1
	v_cmp_eq_u32_e32 vcc, 0, v4
	v_sub_u32_e32 v2, 30, v5
	v_cndmask_b32_e32 v1, v3, v1, vcc
	v_lshlrev_b32_e32 v3, 24, v11
	v_cndmask_b32_e32 v2, v4, v2, vcc
	v_and_b32_e32 v3, 0x80000000, v3
	v_lshl_add_u32 v2, v2, 23, v3
	v_lshl_or_b32 v1, v1, 21, v2
	v_add_u32_e32 v2, 0x38000000, v1
                                        ; implicit-def: $vgpr3
.LBB6_1382:                             ;   in Loop: Header=BB6_138 Depth=3
	s_andn2_saveexec_b64 s[30:31], s[30:31]
; %bb.1383:                             ;   in Loop: Header=BB6_138 Depth=3
	v_mov_b32_e32 v1, -1
	v_cmp_gt_i16_sdwa vcc, sext(v11), v1 src0_sel:BYTE_0 src1_sel:DWORD
	v_mov_b32_e32 v1, 0xff800000
	v_mov_b32_e32 v2, 0x7f800000
	v_cndmask_b32_e32 v1, v1, v2, vcc
	v_cmp_eq_u32_e32 vcc, 0, v3
	v_mov_b32_e32 v2, 0x7f800001
	v_cndmask_b32_e32 v2, v2, v1, vcc
; %bb.1384:                             ;   in Loop: Header=BB6_138 Depth=3
	s_or_b64 exec, exec, s[30:31]
.LBB6_1385:                             ;   in Loop: Header=BB6_138 Depth=3
	s_or_b64 exec, exec, s[94:95]
.LBB6_1386:                             ;   in Loop: Header=BB6_138 Depth=3
	s_or_b64 exec, exec, s[26:27]
	v_mul_f32_e32 v3, v14, v2
	v_and_b32_e32 v4, 0x7f800000, v3
	v_mov_b32_e32 v5, v33
	v_cmp_ne_u64_e32 vcc, s[76:77], v[4:5]
	v_and_b32_e32 v1, 0x7fffff, v3
	v_mov_b32_e32 v2, v33
                                        ; implicit-def: $vgpr4
                                        ; kill: killed $vgpr4
	s_and_saveexec_b64 s[26:27], vcc
	s_xor_b64 s[94:95], exec, s[26:27]
	s_cbranch_execz .LBB6_1400
; %bb.1387:                             ;   in Loop: Header=BB6_138 Depth=3
	v_and_b32_e32 v4, 0x7fffffff, v3
	v_mov_b32_e32 v5, v33
	v_cmp_gt_u64_e32 vcc, s[78:79], v[4:5]
	v_and_b32_sdwa v5, v3, s97 dst_sel:DWORD dst_unused:UNUSED_PAD src0_sel:BYTE_3 src1_sel:DWORD
                                        ; implicit-def: $vgpr4
                                        ; kill: killed $vgpr4
	s_and_saveexec_b64 s[26:27], vcc
	s_xor_b64 s[30:31], exec, s[26:27]
	s_cbranch_execz .LBB6_1397
; %bb.1388:                             ;   in Loop: Header=BB6_138 Depth=3
	v_mov_b32_e32 v4, 0
	v_cmp_ne_u32_e32 vcc, 0, v3
	buffer_store_dword v4, off, s[0:3], s33 offset:372 ; 4-byte Folded Spill
	s_and_saveexec_b64 s[34:35], vcc
	s_cbranch_execz .LBB6_1396
; %bb.1389:                             ;   in Loop: Header=BB6_138 Depth=3
	v_bfe_u32 v6, v3, 23, 8
	v_cmp_gt_u32_e64 s[26:27], s47, v6
	v_sub_u32_e32 v3, 0x71, v6
	v_cmp_eq_u32_e32 vcc, 0, v6
	v_cndmask_b32_e64 v3, 0, v3, s[26:27]
	v_mov_b32_e32 v7, 0x70
	v_cndmask_b32_e32 v7, v3, v7, vcc
	v_or_b32_e32 v4, 0x800000, v1
	v_add_u32_e32 v3, 21, v7
	v_cndmask_b32_e32 v1, v4, v1, vcc
	v_lshlrev_b64 v[3:4], v3, -1
	v_add_u32_e32 v8, 20, v7
	v_bfi_b32 v3, v3, 0, v1
	v_lshlrev_b64 v[8:9], v8, 1
	v_lshrrev_b64 v[1:2], v7, v[1:2]
	v_bfi_b32 v4, v4, 0, 0
	v_cmp_eq_u64_e64 s[26:27], v[3:4], v[8:9]
	v_mov_b32_e32 v3, v2
	v_mov_b32_e32 v2, v1
	s_and_saveexec_b64 s[36:37], s[26:27]
; %bb.1390:                             ;   in Loop: Header=BB6_138 Depth=3
	v_bfe_u32 v2, v1, 21, 1
	v_add_co_u32_e64 v2, s[26:27], v1, v2
	v_add_co_u32_e64 v2, s[26:27], -1, v2
; %bb.1391:                             ;   in Loop: Header=BB6_138 Depth=3
	s_or_b64 exec, exec, s[36:37]
	v_add_u32_e32 v3, 0xffffff81, v6
	v_mov_b32_e32 v4, 0xffffff82
	v_cndmask_b32_e32 v3, v3, v4, vcc
	v_lshrrev_b32_e32 v4, 23, v1
	v_add3_u32 v7, v7, v3, v4
	v_add_u32_e32 v6, 14, v7
	v_and_b32_e32 v2, 0x1fffff, v2
	v_add_u32_e32 v1, v2, v1
	v_mov_b32_e32 v2, v33
	v_cmp_ne_u32_e32 vcc, 0, v6
                                        ; implicit-def: $vgpr3
	s_and_saveexec_b64 s[26:27], vcc
	s_xor_b64 s[26:27], exec, s[26:27]
; %bb.1392:                             ;   in Loop: Header=BB6_138 Depth=3
	v_cmp_lt_u64_e32 vcc, s[88:89], v[1:2]
	v_add_u32_e32 v3, 15, v7
	v_cndmask_b32_e64 v4, 0, 1, vcc
	v_lshrrev_b64 v[1:2], v4, v[1:2]
	v_cndmask_b32_e32 v3, v6, v3, vcc
; %bb.1393:                             ;   in Loop: Header=BB6_138 Depth=3
	s_andn2_saveexec_b64 s[26:27], s[26:27]
; %bb.1394:                             ;   in Loop: Header=BB6_138 Depth=3
	v_bfe_u32 v3, v1, 23, 1
; %bb.1395:                             ;   in Loop: Header=BB6_138 Depth=3
	s_or_b64 exec, exec, s[26:27]
	v_lshrrev_b64 v[1:2], 21, v[1:2]
	v_cmp_gt_i32_e32 vcc, 32, v3
	v_cndmask_b32_e32 v2, 0, v2, vcc
	v_cndmask_b32_e32 v1, 3, v1, vcc
	v_cmp_eq_u64_e64 s[26:27], 0, v[1:2]
	v_min_i32_e32 v2, 31, v3
	v_lshlrev_b32_e32 v2, 2, v2
	v_cmp_eq_u32_e32 vcc, 0, v3
	v_and_b32_e32 v2, 0xfc, v2
	v_and_or_b32 v1, v1, 3, v2
	s_and_b64 s[26:27], vcc, s[26:27]
	v_cndmask_b32_e64 v1, v1, 0, s[26:27]
	v_or_b32_e32 v1, v1, v5
	buffer_store_dword v1, off, s[0:3], s33 offset:372 ; 4-byte Folded Spill
.LBB6_1396:                             ;   in Loop: Header=BB6_138 Depth=3
	s_or_b64 exec, exec, s[34:35]
                                        ; implicit-def: $vgpr5
.LBB6_1397:                             ;   in Loop: Header=BB6_138 Depth=3
	s_andn2_saveexec_b64 s[26:27], s[30:31]
	s_cbranch_execz .LBB6_1399
; %bb.1398:                             ;   in Loop: Header=BB6_138 Depth=3
	v_or_b32_e32 v1, 0x7b, v5
	buffer_store_dword v1, off, s[0:3], s33 offset:372 ; 4-byte Folded Spill
.LBB6_1399:                             ;   in Loop: Header=BB6_138 Depth=3
	s_or_b64 exec, exec, s[26:27]
                                        ; implicit-def: $vgpr3
                                        ; implicit-def: $vgpr1_vgpr2
.LBB6_1400:                             ;   in Loop: Header=BB6_138 Depth=3
	s_andn2_saveexec_b64 s[26:27], s[94:95]
	s_cbranch_execz .LBB6_1406
; %bb.1401:                             ;   in Loop: Header=BB6_138 Depth=3
	v_cmp_ne_u64_e32 vcc, 0, v[1:2]
                                        ; implicit-def: $vgpr1
                                        ; kill: killed $vgpr1
	s_and_saveexec_b64 s[62:63], vcc
	s_xor_b64 s[94:95], exec, s[62:63]
	s_cbranch_execz .LBB6_1403
; %bb.1402:                             ;   in Loop: Header=BB6_138 Depth=3
	v_or_b32_sdwa v1, v3, s44 dst_sel:DWORD dst_unused:UNUSED_PAD src0_sel:BYTE_3 src1_sel:DWORD
	buffer_store_dword v1, off, s[0:3], s33 offset:372 ; 4-byte Folded Spill
                                        ; implicit-def: $vgpr3
.LBB6_1403:                             ;   in Loop: Header=BB6_138 Depth=3
	s_andn2_saveexec_b64 s[94:95], s[94:95]
	s_cbranch_execz .LBB6_1405
; %bb.1404:                             ;   in Loop: Header=BB6_138 Depth=3
	v_cmp_lt_i32_e32 vcc, -1, v3
	v_bfrev_b32_e32 v1, 0.5
	v_mov_b32_e32 v2, 0x7c
	v_cndmask_b32_e32 v1, v1, v2, vcc
	buffer_store_dword v1, off, s[0:3], s33 offset:372 ; 4-byte Folded Spill
.LBB6_1405:                             ;   in Loop: Header=BB6_138 Depth=3
	s_or_b64 exec, exec, s[94:95]
.LBB6_1406:                             ;   in Loop: Header=BB6_138 Depth=3
	s_or_b64 exec, exec, s[26:27]
	v_lshrrev_b16_e32 v1, 8, v0
	v_cmp_ne_u16_e32 vcc, 0, v1
	v_mov_b32_e32 v2, 0
	s_and_saveexec_b64 s[26:27], vcc
	s_cbranch_execz .LBB6_1414
; %bb.1407:                             ;   in Loop: Header=BB6_138 Depth=3
	v_cmp_ne_u16_e32 vcc, s97, v1
	v_bfrev_b32_e32 v2, 1
	s_and_saveexec_b64 s[94:95], vcc
	s_cbranch_execz .LBB6_1413
; %bb.1408:                             ;   in Loop: Header=BB6_138 Depth=3
	v_and_b32_e32 v2, 0x7c, v1
	v_and_b32_e32 v3, 3, v1
	v_cmp_ne_u32_e32 vcc, s86, v2
                                        ; implicit-def: $vgpr2
	s_and_saveexec_b64 s[62:63], vcc
	s_xor_b64 s[30:31], exec, s[62:63]
	s_cbranch_execz .LBB6_1410
; %bb.1409:                             ;   in Loop: Header=BB6_138 Depth=3
	v_ffbh_u32_e32 v5, v3
	v_min_u32_e32 v5, 32, v5
	v_mov_b32_e32 v2, v33
	v_subrev_u32_e32 v6, 29, v5
	v_bfe_u32 v4, v1, 2, 5
	v_lshlrev_b64 v[1:2], v6, v[1:2]
	v_sub_u32_e32 v2, 30, v5
	v_cmp_eq_u32_e32 vcc, 0, v4
	v_lshlrev_b32_e32 v0, 16, v0
	v_and_b32_e32 v1, 3, v1
	v_cndmask_b32_e32 v2, v4, v2, vcc
	v_and_b32_e32 v0, 0x80000000, v0
	v_cndmask_b32_e32 v1, v3, v1, vcc
	v_lshl_add_u32 v0, v2, 23, v0
	v_lshl_or_b32 v0, v1, 21, v0
	v_add_u32_e32 v2, 0x38000000, v0
                                        ; implicit-def: $vgpr3
                                        ; implicit-def: $vgpr0_vgpr1
.LBB6_1410:                             ;   in Loop: Header=BB6_138 Depth=3
	s_andn2_saveexec_b64 s[30:31], s[30:31]
; %bb.1411:                             ;   in Loop: Header=BB6_138 Depth=3
	v_cmp_lt_i16_e32 vcc, -1, v0
	v_mov_b32_e32 v0, 0xff800000
	v_mov_b32_e32 v1, 0x7f800000
	v_cndmask_b32_e32 v0, v0, v1, vcc
	v_cmp_eq_u32_e32 vcc, 0, v3
	v_mov_b32_e32 v1, 0x7f800001
	v_cndmask_b32_e32 v2, v1, v0, vcc
; %bb.1412:                             ;   in Loop: Header=BB6_138 Depth=3
	s_or_b64 exec, exec, s[30:31]
.LBB6_1413:                             ;   in Loop: Header=BB6_138 Depth=3
	s_or_b64 exec, exec, s[94:95]
.LBB6_1414:                             ;   in Loop: Header=BB6_138 Depth=3
	s_or_b64 exec, exec, s[26:27]
	v_mul_f32_e32 v2, v14, v2
	v_and_b32_e32 v3, 0x7f800000, v2
	v_mov_b32_e32 v4, v33
	v_cmp_ne_u64_e32 vcc, s[76:77], v[3:4]
	v_and_b32_e32 v0, 0x7fffff, v2
	v_mov_b32_e32 v1, v33
                                        ; implicit-def: $vgpr3
                                        ; kill: killed $vgpr3
	s_and_saveexec_b64 s[26:27], vcc
	s_xor_b64 s[94:95], exec, s[26:27]
	s_cbranch_execz .LBB6_1428
; %bb.1415:                             ;   in Loop: Header=BB6_138 Depth=3
	v_and_b32_e32 v3, 0x7fffffff, v2
	v_mov_b32_e32 v4, v33
	v_cmp_gt_u64_e32 vcc, s[78:79], v[3:4]
	v_and_b32_sdwa v3, v2, s97 dst_sel:DWORD dst_unused:UNUSED_PAD src0_sel:BYTE_3 src1_sel:DWORD
                                        ; implicit-def: $vgpr4
                                        ; kill: killed $vgpr4
	s_and_saveexec_b64 s[26:27], vcc
	s_xor_b64 s[30:31], exec, s[26:27]
	s_cbranch_execz .LBB6_1425
; %bb.1416:                             ;   in Loop: Header=BB6_138 Depth=3
	v_mov_b32_e32 v4, 0
	v_cmp_ne_u32_e32 vcc, 0, v2
	buffer_store_dword v4, off, s[0:3], s33 offset:376 ; 4-byte Folded Spill
	s_and_saveexec_b64 s[34:35], vcc
	s_cbranch_execz .LBB6_1424
; %bb.1417:                             ;   in Loop: Header=BB6_138 Depth=3
	v_bfe_u32 v5, v2, 23, 8
	v_cmp_gt_u32_e64 s[26:27], s47, v5
	v_sub_u32_e32 v2, 0x71, v5
	v_cmp_eq_u32_e32 vcc, 0, v5
	v_cndmask_b32_e64 v2, 0, v2, s[26:27]
	v_mov_b32_e32 v6, 0x70
	v_cndmask_b32_e32 v6, v2, v6, vcc
	v_add_u32_e32 v2, 21, v6
	v_or_b32_e32 v4, 0x800000, v0
	v_lshlrev_b64 v[7:8], v2, -1
	v_cndmask_b32_e32 v0, v4, v0, vcc
	v_add_u32_e32 v2, 20, v6
	v_bfi_b32 v7, v7, 0, v0
	v_lshlrev_b64 v[15:16], v2, 1
	v_lshrrev_b64 v[0:1], v6, v[0:1]
	v_bfi_b32 v8, v8, 0, 0
	v_cmp_eq_u64_e64 s[26:27], v[7:8], v[15:16]
	v_mov_b32_e32 v2, v1
	v_mov_b32_e32 v1, v0
	s_and_saveexec_b64 s[36:37], s[26:27]
; %bb.1418:                             ;   in Loop: Header=BB6_138 Depth=3
	v_bfe_u32 v1, v0, 21, 1
	v_add_co_u32_e64 v1, s[26:27], v0, v1
	v_add_co_u32_e64 v1, s[26:27], -1, v1
; %bb.1419:                             ;   in Loop: Header=BB6_138 Depth=3
	s_or_b64 exec, exec, s[36:37]
	v_add_u32_e32 v2, 0xffffff81, v5
	v_mov_b32_e32 v4, 0xffffff82
	v_cndmask_b32_e32 v2, v2, v4, vcc
	v_lshrrev_b32_e32 v4, 23, v0
	v_add3_u32 v6, v6, v2, v4
	v_add_u32_e32 v5, 14, v6
	v_and_b32_e32 v1, 0x1fffff, v1
	v_add_u32_e32 v0, v1, v0
	v_mov_b32_e32 v1, v33
	v_cmp_ne_u32_e32 vcc, 0, v5
                                        ; implicit-def: $vgpr2
	s_and_saveexec_b64 s[26:27], vcc
	s_xor_b64 s[26:27], exec, s[26:27]
; %bb.1420:                             ;   in Loop: Header=BB6_138 Depth=3
	v_cmp_lt_u64_e32 vcc, s[88:89], v[0:1]
	v_add_u32_e32 v2, 15, v6
	v_cndmask_b32_e64 v4, 0, 1, vcc
	v_lshrrev_b64 v[0:1], v4, v[0:1]
	v_cndmask_b32_e32 v2, v5, v2, vcc
; %bb.1421:                             ;   in Loop: Header=BB6_138 Depth=3
	s_andn2_saveexec_b64 s[26:27], s[26:27]
; %bb.1422:                             ;   in Loop: Header=BB6_138 Depth=3
	v_bfe_u32 v2, v0, 23, 1
; %bb.1423:                             ;   in Loop: Header=BB6_138 Depth=3
	s_or_b64 exec, exec, s[26:27]
	v_lshrrev_b64 v[0:1], 21, v[0:1]
	v_cmp_gt_i32_e32 vcc, 32, v2
	v_cndmask_b32_e32 v1, 0, v1, vcc
	v_cndmask_b32_e32 v0, 3, v0, vcc
	v_cmp_eq_u64_e64 s[26:27], 0, v[0:1]
	v_min_i32_e32 v1, 31, v2
	v_lshlrev_b32_e32 v1, 2, v1
	v_cmp_eq_u32_e32 vcc, 0, v2
	v_and_b32_e32 v1, 0xfc, v1
	v_and_or_b32 v0, v0, 3, v1
	s_and_b64 s[26:27], vcc, s[26:27]
	v_cndmask_b32_e64 v0, v0, 0, s[26:27]
	v_or_b32_e32 v0, v0, v3
	buffer_store_dword v0, off, s[0:3], s33 offset:376 ; 4-byte Folded Spill
.LBB6_1424:                             ;   in Loop: Header=BB6_138 Depth=3
	s_or_b64 exec, exec, s[34:35]
                                        ; implicit-def: $vgpr3
.LBB6_1425:                             ;   in Loop: Header=BB6_138 Depth=3
	s_andn2_saveexec_b64 s[26:27], s[30:31]
	s_cbranch_execz .LBB6_1427
; %bb.1426:                             ;   in Loop: Header=BB6_138 Depth=3
	v_or_b32_e32 v0, 0x7b, v3
	buffer_store_dword v0, off, s[0:3], s33 offset:376 ; 4-byte Folded Spill
.LBB6_1427:                             ;   in Loop: Header=BB6_138 Depth=3
	s_or_b64 exec, exec, s[26:27]
                                        ; implicit-def: $vgpr2
                                        ; implicit-def: $vgpr0_vgpr1
.LBB6_1428:                             ;   in Loop: Header=BB6_138 Depth=3
	s_andn2_saveexec_b64 s[26:27], s[94:95]
	s_cbranch_execz .LBB6_1434
; %bb.1429:                             ;   in Loop: Header=BB6_138 Depth=3
	v_cmp_ne_u64_e32 vcc, 0, v[0:1]
                                        ; implicit-def: $vgpr0
                                        ; kill: killed $vgpr0
	s_and_saveexec_b64 s[62:63], vcc
	s_xor_b64 s[94:95], exec, s[62:63]
	s_cbranch_execz .LBB6_1431
; %bb.1430:                             ;   in Loop: Header=BB6_138 Depth=3
	v_or_b32_sdwa v0, v2, s44 dst_sel:DWORD dst_unused:UNUSED_PAD src0_sel:BYTE_3 src1_sel:DWORD
	buffer_store_dword v0, off, s[0:3], s33 offset:376 ; 4-byte Folded Spill
                                        ; implicit-def: $vgpr2
.LBB6_1431:                             ;   in Loop: Header=BB6_138 Depth=3
	s_andn2_saveexec_b64 s[94:95], s[94:95]
	s_cbranch_execz .LBB6_1433
; %bb.1432:                             ;   in Loop: Header=BB6_138 Depth=3
	v_cmp_lt_i32_e32 vcc, -1, v2
	v_bfrev_b32_e32 v0, 0.5
	v_mov_b32_e32 v1, 0x7c
	v_cndmask_b32_e32 v0, v0, v1, vcc
	buffer_store_dword v0, off, s[0:3], s33 offset:376 ; 4-byte Folded Spill
.LBB6_1433:                             ;   in Loop: Header=BB6_138 Depth=3
	s_or_b64 exec, exec, s[94:95]
.LBB6_1434:                             ;   in Loop: Header=BB6_138 Depth=3
	s_or_b64 exec, exec, s[26:27]
	v_lshrrev_b32_e32 v0, 16, v11
	v_cmp_ne_u16_sdwa s[62:63], v0, v33 src0_sel:BYTE_0 src1_sel:DWORD
	v_mov_b32_e32 v1, 0
	s_and_saveexec_b64 s[26:27], s[62:63]
	s_cbranch_execz .LBB6_1442
; %bb.1435:                             ;   in Loop: Header=BB6_138 Depth=3
	v_cmp_ne_u16_sdwa s[62:63], v0, s97 src0_sel:BYTE_0 src1_sel:DWORD
	v_bfrev_b32_e32 v1, 1
	s_and_saveexec_b64 s[94:95], s[62:63]
	s_cbranch_execz .LBB6_1441
; %bb.1436:                             ;   in Loop: Header=BB6_138 Depth=3
	v_and_b32_e32 v1, 0x7c0000, v11
	v_bfe_u32 v2, v11, 16, 2
	v_cmp_ne_u32_e32 vcc, s45, v1
                                        ; implicit-def: $vgpr1
	s_and_saveexec_b64 s[62:63], vcc
	s_xor_b64 s[30:31], exec, s[62:63]
	s_cbranch_execz .LBB6_1438
; %bb.1437:                             ;   in Loop: Header=BB6_138 Depth=3
	v_ffbh_u32_e32 v1, v2
	v_min_u32_e32 v4, 32, v1
	v_subrev_u32_e32 v1, 29, v4
	v_lshlrev_b64 v[0:1], v1, v[0:1]
	v_bfe_u32 v3, v11, 18, 5
	v_and_b32_e32 v0, 3, v0
	v_cmp_eq_u32_e32 vcc, 0, v3
	v_sub_u32_e32 v1, 30, v4
	v_cndmask_b32_e32 v0, v2, v0, vcc
	v_lshlrev_b32_e32 v2, 8, v11
	v_cndmask_b32_e32 v1, v3, v1, vcc
	v_and_b32_e32 v2, 0x80000000, v2
	v_lshl_add_u32 v1, v1, 23, v2
	v_lshl_or_b32 v0, v0, 21, v1
	v_add_u32_e32 v1, 0x38000000, v0
                                        ; implicit-def: $vgpr2
                                        ; implicit-def: $vgpr0
.LBB6_1438:                             ;   in Loop: Header=BB6_138 Depth=3
	s_andn2_saveexec_b64 s[30:31], s[30:31]
; %bb.1439:                             ;   in Loop: Header=BB6_138 Depth=3
	v_mov_b32_e32 v1, -1
	v_cmp_gt_i16_sdwa vcc, sext(v0), v1 src0_sel:BYTE_0 src1_sel:DWORD
	v_mov_b32_e32 v0, 0xff800000
	v_mov_b32_e32 v1, 0x7f800000
	v_cndmask_b32_e32 v0, v0, v1, vcc
	v_cmp_eq_u32_e32 vcc, 0, v2
	v_mov_b32_e32 v1, 0x7f800001
	v_cndmask_b32_e32 v1, v1, v0, vcc
; %bb.1440:                             ;   in Loop: Header=BB6_138 Depth=3
	s_or_b64 exec, exec, s[30:31]
.LBB6_1441:                             ;   in Loop: Header=BB6_138 Depth=3
	s_or_b64 exec, exec, s[94:95]
.LBB6_1442:                             ;   in Loop: Header=BB6_138 Depth=3
	s_or_b64 exec, exec, s[26:27]
	v_mul_f32_e32 v2, v14, v1
	v_and_b32_e32 v3, 0x7f800000, v2
	v_mov_b32_e32 v4, v33
	v_cmp_ne_u64_e32 vcc, s[76:77], v[3:4]
	v_and_b32_e32 v0, 0x7fffff, v2
	v_mov_b32_e32 v1, v33
                                        ; implicit-def: $vgpr3
                                        ; kill: killed $vgpr3
	s_and_saveexec_b64 s[26:27], vcc
	s_xor_b64 s[94:95], exec, s[26:27]
	s_cbranch_execz .LBB6_1456
; %bb.1443:                             ;   in Loop: Header=BB6_138 Depth=3
	v_and_b32_e32 v3, 0x7fffffff, v2
	v_mov_b32_e32 v4, v33
	v_cmp_gt_u64_e32 vcc, s[78:79], v[3:4]
	v_and_b32_sdwa v3, v2, s97 dst_sel:DWORD dst_unused:UNUSED_PAD src0_sel:BYTE_3 src1_sel:DWORD
                                        ; implicit-def: $vgpr4
                                        ; kill: killed $vgpr4
	s_and_saveexec_b64 s[26:27], vcc
	s_xor_b64 s[30:31], exec, s[26:27]
	s_cbranch_execz .LBB6_1453
; %bb.1444:                             ;   in Loop: Header=BB6_138 Depth=3
	v_mov_b32_e32 v4, 0
	v_cmp_ne_u32_e32 vcc, 0, v2
	buffer_store_dword v4, off, s[0:3], s33 offset:380 ; 4-byte Folded Spill
	s_and_saveexec_b64 s[34:35], vcc
	s_cbranch_execz .LBB6_1452
; %bb.1445:                             ;   in Loop: Header=BB6_138 Depth=3
	v_bfe_u32 v5, v2, 23, 8
	v_cmp_gt_u32_e64 s[26:27], s47, v5
	v_sub_u32_e32 v2, 0x71, v5
	v_cmp_eq_u32_e32 vcc, 0, v5
	v_cndmask_b32_e64 v2, 0, v2, s[26:27]
	v_mov_b32_e32 v6, 0x70
	v_cndmask_b32_e32 v6, v2, v6, vcc
	v_add_u32_e32 v2, 21, v6
	v_or_b32_e32 v4, 0x800000, v0
	v_lshlrev_b64 v[7:8], v2, -1
	v_cndmask_b32_e32 v0, v4, v0, vcc
	v_add_u32_e32 v2, 20, v6
	v_bfi_b32 v7, v7, 0, v0
	v_lshlrev_b64 v[15:16], v2, 1
	v_lshrrev_b64 v[0:1], v6, v[0:1]
	v_bfi_b32 v8, v8, 0, 0
	v_cmp_eq_u64_e64 s[26:27], v[7:8], v[15:16]
	v_mov_b32_e32 v2, v1
	v_mov_b32_e32 v1, v0
	s_and_saveexec_b64 s[36:37], s[26:27]
; %bb.1446:                             ;   in Loop: Header=BB6_138 Depth=3
	v_bfe_u32 v1, v0, 21, 1
	v_add_co_u32_e64 v1, s[26:27], v0, v1
	v_add_co_u32_e64 v1, s[26:27], -1, v1
; %bb.1447:                             ;   in Loop: Header=BB6_138 Depth=3
	s_or_b64 exec, exec, s[36:37]
	v_add_u32_e32 v2, 0xffffff81, v5
	v_mov_b32_e32 v4, 0xffffff82
	v_cndmask_b32_e32 v2, v2, v4, vcc
	v_lshrrev_b32_e32 v4, 23, v0
	v_add3_u32 v6, v6, v2, v4
	v_add_u32_e32 v5, 14, v6
	v_and_b32_e32 v1, 0x1fffff, v1
	v_add_u32_e32 v0, v1, v0
	v_mov_b32_e32 v1, v33
	v_cmp_ne_u32_e32 vcc, 0, v5
                                        ; implicit-def: $vgpr2
	s_and_saveexec_b64 s[26:27], vcc
	s_xor_b64 s[26:27], exec, s[26:27]
; %bb.1448:                             ;   in Loop: Header=BB6_138 Depth=3
	v_cmp_lt_u64_e32 vcc, s[88:89], v[0:1]
	v_add_u32_e32 v2, 15, v6
	v_cndmask_b32_e64 v4, 0, 1, vcc
	v_lshrrev_b64 v[0:1], v4, v[0:1]
	v_cndmask_b32_e32 v2, v5, v2, vcc
; %bb.1449:                             ;   in Loop: Header=BB6_138 Depth=3
	s_andn2_saveexec_b64 s[26:27], s[26:27]
; %bb.1450:                             ;   in Loop: Header=BB6_138 Depth=3
	v_bfe_u32 v2, v0, 23, 1
; %bb.1451:                             ;   in Loop: Header=BB6_138 Depth=3
	s_or_b64 exec, exec, s[26:27]
	v_lshrrev_b64 v[0:1], 21, v[0:1]
	v_cmp_gt_i32_e32 vcc, 32, v2
	v_cndmask_b32_e32 v1, 0, v1, vcc
	v_cndmask_b32_e32 v0, 3, v0, vcc
	v_cmp_eq_u64_e64 s[26:27], 0, v[0:1]
	v_min_i32_e32 v1, 31, v2
	v_lshlrev_b32_e32 v1, 2, v1
	v_cmp_eq_u32_e32 vcc, 0, v2
	v_and_b32_e32 v1, 0xfc, v1
	v_and_or_b32 v0, v0, 3, v1
	s_and_b64 s[26:27], vcc, s[26:27]
	v_cndmask_b32_e64 v0, v0, 0, s[26:27]
	v_or_b32_e32 v0, v0, v3
	buffer_store_dword v0, off, s[0:3], s33 offset:380 ; 4-byte Folded Spill
.LBB6_1452:                             ;   in Loop: Header=BB6_138 Depth=3
	s_or_b64 exec, exec, s[34:35]
                                        ; implicit-def: $vgpr3
.LBB6_1453:                             ;   in Loop: Header=BB6_138 Depth=3
	s_andn2_saveexec_b64 s[26:27], s[30:31]
	s_cbranch_execz .LBB6_1455
; %bb.1454:                             ;   in Loop: Header=BB6_138 Depth=3
	v_or_b32_e32 v0, 0x7b, v3
	buffer_store_dword v0, off, s[0:3], s33 offset:380 ; 4-byte Folded Spill
.LBB6_1455:                             ;   in Loop: Header=BB6_138 Depth=3
	s_or_b64 exec, exec, s[26:27]
                                        ; implicit-def: $vgpr2
                                        ; implicit-def: $vgpr0_vgpr1
.LBB6_1456:                             ;   in Loop: Header=BB6_138 Depth=3
	s_andn2_saveexec_b64 s[26:27], s[94:95]
	s_cbranch_execz .LBB6_1462
; %bb.1457:                             ;   in Loop: Header=BB6_138 Depth=3
	v_cmp_ne_u64_e32 vcc, 0, v[0:1]
                                        ; implicit-def: $vgpr0
                                        ; kill: killed $vgpr0
	s_and_saveexec_b64 s[62:63], vcc
	s_xor_b64 s[94:95], exec, s[62:63]
	s_cbranch_execz .LBB6_1459
; %bb.1458:                             ;   in Loop: Header=BB6_138 Depth=3
	v_or_b32_sdwa v0, v2, s44 dst_sel:DWORD dst_unused:UNUSED_PAD src0_sel:BYTE_3 src1_sel:DWORD
	buffer_store_dword v0, off, s[0:3], s33 offset:380 ; 4-byte Folded Spill
                                        ; implicit-def: $vgpr2
.LBB6_1459:                             ;   in Loop: Header=BB6_138 Depth=3
	s_andn2_saveexec_b64 s[94:95], s[94:95]
	s_cbranch_execz .LBB6_1461
; %bb.1460:                             ;   in Loop: Header=BB6_138 Depth=3
	v_cmp_lt_i32_e32 vcc, -1, v2
	v_bfrev_b32_e32 v0, 0.5
	v_mov_b32_e32 v1, 0x7c
	v_cndmask_b32_e32 v0, v0, v1, vcc
	buffer_store_dword v0, off, s[0:3], s33 offset:380 ; 4-byte Folded Spill
.LBB6_1461:                             ;   in Loop: Header=BB6_138 Depth=3
	s_or_b64 exec, exec, s[94:95]
.LBB6_1462:                             ;   in Loop: Header=BB6_138 Depth=3
	s_or_b64 exec, exec, s[26:27]
	v_cmp_lt_u64_e32 vcc, s[56:57], v[10:11]
	v_mov_b32_e32 v1, 0
	s_and_saveexec_b64 s[26:27], vcc
	s_cbranch_execz .LBB6_1470
; %bb.1463:                             ;   in Loop: Header=BB6_138 Depth=3
	v_lshrrev_b32_e32 v0, 24, v11
	v_cmp_ne_u32_e32 vcc, s97, v0
	v_bfrev_b32_e32 v1, 1
	s_and_saveexec_b64 s[94:95], vcc
	s_cbranch_execz .LBB6_1469
; %bb.1464:                             ;   in Loop: Header=BB6_138 Depth=3
	v_and_b32_e32 v1, 0x7c000000, v11
	v_bfe_u32 v2, v11, 24, 2
	v_cmp_ne_u32_e32 vcc, s68, v1
                                        ; implicit-def: $vgpr1
	s_and_saveexec_b64 s[62:63], vcc
	s_xor_b64 s[30:31], exec, s[62:63]
	s_cbranch_execz .LBB6_1466
; %bb.1465:                             ;   in Loop: Header=BB6_138 Depth=3
	v_ffbh_u32_e32 v1, v2
	v_min_u32_e32 v4, 32, v1
	v_subrev_u32_e32 v1, 29, v4
	v_lshlrev_b64 v[0:1], v1, v[0:1]
	v_bfe_u32 v3, v11, 26, 5
	v_sub_u32_e32 v1, 30, v4
	v_and_b32_e32 v0, 3, v0
	v_cmp_eq_u32_e32 vcc, 0, v3
	v_cndmask_b32_e32 v1, v3, v1, vcc
	v_cndmask_b32_e32 v0, v2, v0, vcc
	v_and_b32_e32 v2, 0x80000000, v11
	v_lshl_add_u32 v1, v1, 23, v2
	v_lshl_or_b32 v0, v0, 21, v1
	v_add_u32_e32 v1, 0x38000000, v0
                                        ; implicit-def: $vgpr2
                                        ; implicit-def: $vgpr10_vgpr11
.LBB6_1466:                             ;   in Loop: Header=BB6_138 Depth=3
	s_andn2_saveexec_b64 s[30:31], s[30:31]
; %bb.1467:                             ;   in Loop: Header=BB6_138 Depth=3
	v_cmp_lt_i64_e32 vcc, -1, v[10:11]
	v_mov_b32_e32 v0, 0xff800000
	v_mov_b32_e32 v1, 0x7f800000
	v_cndmask_b32_e32 v0, v0, v1, vcc
	v_cmp_eq_u32_e32 vcc, 0, v2
	v_mov_b32_e32 v1, 0x7f800001
	v_cndmask_b32_e32 v1, v1, v0, vcc
; %bb.1468:                             ;   in Loop: Header=BB6_138 Depth=3
	s_or_b64 exec, exec, s[30:31]
.LBB6_1469:                             ;   in Loop: Header=BB6_138 Depth=3
	s_or_b64 exec, exec, s[94:95]
.LBB6_1470:                             ;   in Loop: Header=BB6_138 Depth=3
	s_or_b64 exec, exec, s[26:27]
	v_mul_f32_e32 v2, v14, v1
	v_and_b32_e32 v3, 0x7f800000, v2
	v_mov_b32_e32 v4, v33
	v_cmp_ne_u64_e32 vcc, s[76:77], v[3:4]
	v_and_b32_e32 v0, 0x7fffff, v2
	v_mov_b32_e32 v1, v33
                                        ; implicit-def: $vgpr3
                                        ; kill: killed $vgpr3
	s_and_saveexec_b64 s[26:27], vcc
	s_xor_b64 s[94:95], exec, s[26:27]
	s_cbranch_execz .LBB6_1484
; %bb.1471:                             ;   in Loop: Header=BB6_138 Depth=3
	v_and_b32_e32 v3, 0x7fffffff, v2
	v_mov_b32_e32 v4, v33
	v_cmp_gt_u64_e32 vcc, s[78:79], v[3:4]
	v_and_b32_sdwa v3, v2, s97 dst_sel:DWORD dst_unused:UNUSED_PAD src0_sel:BYTE_3 src1_sel:DWORD
                                        ; implicit-def: $vgpr4
                                        ; kill: killed $vgpr4
	s_and_saveexec_b64 s[26:27], vcc
	s_xor_b64 s[30:31], exec, s[26:27]
	s_cbranch_execz .LBB6_1481
; %bb.1472:                             ;   in Loop: Header=BB6_138 Depth=3
	v_mov_b32_e32 v4, 0
	v_cmp_ne_u32_e32 vcc, 0, v2
	buffer_store_dword v4, off, s[0:3], s33 offset:384 ; 4-byte Folded Spill
	s_and_saveexec_b64 s[34:35], vcc
	s_cbranch_execz .LBB6_1480
; %bb.1473:                             ;   in Loop: Header=BB6_138 Depth=3
	v_bfe_u32 v5, v2, 23, 8
	v_cmp_gt_u32_e64 s[26:27], s47, v5
	v_sub_u32_e32 v2, 0x71, v5
	v_cmp_eq_u32_e32 vcc, 0, v5
	v_cndmask_b32_e64 v2, 0, v2, s[26:27]
	v_mov_b32_e32 v6, 0x70
	v_cndmask_b32_e32 v6, v2, v6, vcc
	v_add_u32_e32 v2, 21, v6
	v_or_b32_e32 v4, 0x800000, v0
	v_lshlrev_b64 v[7:8], v2, -1
	v_cndmask_b32_e32 v0, v4, v0, vcc
	v_add_u32_e32 v2, 20, v6
	v_bfi_b32 v7, v7, 0, v0
	v_lshlrev_b64 v[9:10], v2, 1
	v_lshrrev_b64 v[0:1], v6, v[0:1]
	v_bfi_b32 v8, v8, 0, 0
	v_cmp_eq_u64_e64 s[26:27], v[7:8], v[9:10]
	v_mov_b32_e32 v2, v1
	v_mov_b32_e32 v1, v0
	s_and_saveexec_b64 s[36:37], s[26:27]
; %bb.1474:                             ;   in Loop: Header=BB6_138 Depth=3
	v_bfe_u32 v1, v0, 21, 1
	v_add_co_u32_e64 v1, s[26:27], v0, v1
	v_add_co_u32_e64 v1, s[26:27], -1, v1
; %bb.1475:                             ;   in Loop: Header=BB6_138 Depth=3
	s_or_b64 exec, exec, s[36:37]
	v_add_u32_e32 v2, 0xffffff81, v5
	v_mov_b32_e32 v4, 0xffffff82
	v_cndmask_b32_e32 v2, v2, v4, vcc
	v_lshrrev_b32_e32 v4, 23, v0
	v_add3_u32 v6, v6, v2, v4
	v_add_u32_e32 v5, 14, v6
	v_and_b32_e32 v1, 0x1fffff, v1
	v_add_u32_e32 v0, v1, v0
	v_mov_b32_e32 v1, v33
	v_cmp_ne_u32_e32 vcc, 0, v5
                                        ; implicit-def: $vgpr2
	s_and_saveexec_b64 s[26:27], vcc
	s_xor_b64 s[26:27], exec, s[26:27]
; %bb.1476:                             ;   in Loop: Header=BB6_138 Depth=3
	v_cmp_lt_u64_e32 vcc, s[88:89], v[0:1]
	v_add_u32_e32 v2, 15, v6
	v_cndmask_b32_e64 v4, 0, 1, vcc
	v_lshrrev_b64 v[0:1], v4, v[0:1]
	v_cndmask_b32_e32 v2, v5, v2, vcc
; %bb.1477:                             ;   in Loop: Header=BB6_138 Depth=3
	s_andn2_saveexec_b64 s[26:27], s[26:27]
; %bb.1478:                             ;   in Loop: Header=BB6_138 Depth=3
	v_bfe_u32 v2, v0, 23, 1
; %bb.1479:                             ;   in Loop: Header=BB6_138 Depth=3
	s_or_b64 exec, exec, s[26:27]
	v_lshrrev_b64 v[0:1], 21, v[0:1]
	v_cmp_gt_i32_e32 vcc, 32, v2
	v_cndmask_b32_e32 v1, 0, v1, vcc
	v_cndmask_b32_e32 v0, 3, v0, vcc
	v_cmp_eq_u64_e64 s[26:27], 0, v[0:1]
	v_min_i32_e32 v1, 31, v2
	v_lshlrev_b32_e32 v1, 2, v1
	v_cmp_eq_u32_e32 vcc, 0, v2
	v_and_b32_e32 v1, 0xfc, v1
	v_and_or_b32 v0, v0, 3, v1
	s_and_b64 s[26:27], vcc, s[26:27]
	v_cndmask_b32_e64 v0, v0, 0, s[26:27]
	v_or_b32_e32 v0, v0, v3
	buffer_store_dword v0, off, s[0:3], s33 offset:384 ; 4-byte Folded Spill
.LBB6_1480:                             ;   in Loop: Header=BB6_138 Depth=3
	s_or_b64 exec, exec, s[34:35]
                                        ; implicit-def: $vgpr3
.LBB6_1481:                             ;   in Loop: Header=BB6_138 Depth=3
	s_andn2_saveexec_b64 s[26:27], s[30:31]
	s_cbranch_execz .LBB6_1483
; %bb.1482:                             ;   in Loop: Header=BB6_138 Depth=3
	v_or_b32_e32 v0, 0x7b, v3
	buffer_store_dword v0, off, s[0:3], s33 offset:384 ; 4-byte Folded Spill
.LBB6_1483:                             ;   in Loop: Header=BB6_138 Depth=3
	s_or_b64 exec, exec, s[26:27]
                                        ; implicit-def: $vgpr2
                                        ; implicit-def: $vgpr0_vgpr1
.LBB6_1484:                             ;   in Loop: Header=BB6_138 Depth=3
	s_andn2_saveexec_b64 s[26:27], s[94:95]
	s_cbranch_execz .LBB6_1490
; %bb.1485:                             ;   in Loop: Header=BB6_138 Depth=3
	v_cmp_ne_u64_e32 vcc, 0, v[0:1]
                                        ; implicit-def: $vgpr0
                                        ; kill: killed $vgpr0
	s_and_saveexec_b64 s[62:63], vcc
	s_xor_b64 s[94:95], exec, s[62:63]
	s_cbranch_execz .LBB6_1487
; %bb.1486:                             ;   in Loop: Header=BB6_138 Depth=3
	v_or_b32_sdwa v0, v2, s44 dst_sel:DWORD dst_unused:UNUSED_PAD src0_sel:BYTE_3 src1_sel:DWORD
	buffer_store_dword v0, off, s[0:3], s33 offset:384 ; 4-byte Folded Spill
                                        ; implicit-def: $vgpr2
.LBB6_1487:                             ;   in Loop: Header=BB6_138 Depth=3
	s_andn2_saveexec_b64 s[94:95], s[94:95]
	s_cbranch_execz .LBB6_1489
; %bb.1488:                             ;   in Loop: Header=BB6_138 Depth=3
	v_cmp_lt_i32_e32 vcc, -1, v2
	v_bfrev_b32_e32 v0, 0.5
	v_mov_b32_e32 v1, 0x7c
	v_cndmask_b32_e32 v0, v0, v1, vcc
	buffer_store_dword v0, off, s[0:3], s33 offset:384 ; 4-byte Folded Spill
.LBB6_1489:                             ;   in Loop: Header=BB6_138 Depth=3
	s_or_b64 exec, exec, s[94:95]
.LBB6_1490:                             ;   in Loop: Header=BB6_138 Depth=3
	s_or_b64 exec, exec, s[26:27]
	global_load_dwordx4 v[8:11], v[12:13], off offset:3072 glc slc
	v_mov_b32_e32 v0, 0
	s_waitcnt vmcnt(0)
	v_cmp_ne_u16_sdwa s[62:63], v8, v33 src0_sel:BYTE_0 src1_sel:DWORD
	s_and_saveexec_b64 s[26:27], s[62:63]
	s_cbranch_execz .LBB6_1498
; %bb.1491:                             ;   in Loop: Header=BB6_138 Depth=3
	v_cmp_ne_u16_sdwa s[62:63], sext(v8), s46 src0_sel:BYTE_0 src1_sel:DWORD
	v_bfrev_b32_e32 v0, 1
	s_and_saveexec_b64 s[94:95], s[62:63]
	s_cbranch_execz .LBB6_1497
; %bb.1492:                             ;   in Loop: Header=BB6_138 Depth=3
	v_and_b32_e32 v0, 0x7c, v8
	v_and_b32_e32 v1, 3, v8
	v_cmp_ne_u32_e32 vcc, s86, v0
                                        ; implicit-def: $vgpr0
	s_and_saveexec_b64 s[62:63], vcc
	s_xor_b64 s[30:31], exec, s[62:63]
	s_cbranch_execz .LBB6_1494
; %bb.1493:                             ;   in Loop: Header=BB6_138 Depth=3
	v_ffbh_u32_e32 v2, v1
	v_min_u32_e32 v4, 32, v2
	v_subrev_u32_e32 v2, 29, v4
	v_lshlrev_b64 v[2:3], v2, v[8:9]
	v_bfe_u32 v0, v8, 2, 5
	v_and_b32_e32 v2, 3, v2
	v_cmp_eq_u32_e32 vcc, 0, v0
	v_sub_u32_e32 v3, 30, v4
	v_cndmask_b32_e32 v1, v1, v2, vcc
	v_lshlrev_b32_e32 v2, 24, v8
	v_cndmask_b32_e32 v0, v0, v3, vcc
	v_and_b32_e32 v2, 0x80000000, v2
	v_lshl_add_u32 v0, v0, 23, v2
	v_lshl_or_b32 v0, v1, 21, v0
	v_add_u32_e32 v0, 0x38000000, v0
                                        ; implicit-def: $vgpr1
.LBB6_1494:                             ;   in Loop: Header=BB6_138 Depth=3
	s_andn2_saveexec_b64 s[30:31], s[30:31]
; %bb.1495:                             ;   in Loop: Header=BB6_138 Depth=3
	v_mov_b32_e32 v0, -1
	v_cmp_gt_i16_sdwa vcc, sext(v8), v0 src0_sel:BYTE_0 src1_sel:DWORD
	v_mov_b32_e32 v0, 0xff800000
	v_mov_b32_e32 v2, 0x7f800000
	v_cndmask_b32_e32 v0, v0, v2, vcc
	v_cmp_eq_u32_e32 vcc, 0, v1
	v_mov_b32_e32 v1, 0x7f800001
	v_cndmask_b32_e32 v0, v1, v0, vcc
; %bb.1496:                             ;   in Loop: Header=BB6_138 Depth=3
	s_or_b64 exec, exec, s[30:31]
.LBB6_1497:                             ;   in Loop: Header=BB6_138 Depth=3
	s_or_b64 exec, exec, s[94:95]
.LBB6_1498:                             ;   in Loop: Header=BB6_138 Depth=3
	s_or_b64 exec, exec, s[26:27]
	v_mul_f32_e32 v2, v14, v0
	v_and_b32_e32 v3, 0x7f800000, v2
	v_mov_b32_e32 v4, v33
	v_cmp_ne_u64_e32 vcc, s[76:77], v[3:4]
	v_and_b32_e32 v0, 0x7fffff, v2
	v_mov_b32_e32 v1, v33
                                        ; implicit-def: $vgpr21
	s_and_saveexec_b64 s[26:27], vcc
	s_xor_b64 s[94:95], exec, s[26:27]
	s_cbranch_execz .LBB6_1512
; %bb.1499:                             ;   in Loop: Header=BB6_138 Depth=3
	v_and_b32_e32 v3, 0x7fffffff, v2
	v_mov_b32_e32 v4, v33
	v_cmp_gt_u64_e32 vcc, s[78:79], v[3:4]
	v_and_b32_sdwa v3, v2, s97 dst_sel:DWORD dst_unused:UNUSED_PAD src0_sel:BYTE_3 src1_sel:DWORD
                                        ; implicit-def: $vgpr21
	s_and_saveexec_b64 s[26:27], vcc
	s_xor_b64 s[30:31], exec, s[26:27]
	s_cbranch_execz .LBB6_1509
; %bb.1500:                             ;   in Loop: Header=BB6_138 Depth=3
	v_mov_b32_e32 v21, 0
	v_cmp_ne_u32_e32 vcc, 0, v2
	s_and_saveexec_b64 s[34:35], vcc
	s_cbranch_execz .LBB6_1508
; %bb.1501:                             ;   in Loop: Header=BB6_138 Depth=3
	v_bfe_u32 v5, v2, 23, 8
	v_cmp_gt_u32_e64 s[26:27], s47, v5
	v_sub_u32_e32 v2, 0x71, v5
	v_cmp_eq_u32_e32 vcc, 0, v5
	v_cndmask_b32_e64 v2, 0, v2, s[26:27]
	v_mov_b32_e32 v6, 0x70
	v_cndmask_b32_e32 v6, v2, v6, vcc
	v_add_u32_e32 v2, 21, v6
	v_or_b32_e32 v4, 0x800000, v0
	v_lshlrev_b64 v[15:16], v2, -1
	v_cndmask_b32_e32 v0, v4, v0, vcc
	v_add_u32_e32 v2, 20, v6
	v_bfi_b32 v15, v15, 0, v0
	v_lshlrev_b64 v[17:18], v2, 1
	v_lshrrev_b64 v[0:1], v6, v[0:1]
	v_bfi_b32 v16, v16, 0, 0
	v_cmp_eq_u64_e64 s[26:27], v[15:16], v[17:18]
	v_mov_b32_e32 v2, v1
	v_mov_b32_e32 v1, v0
	s_and_saveexec_b64 s[36:37], s[26:27]
; %bb.1502:                             ;   in Loop: Header=BB6_138 Depth=3
	v_bfe_u32 v1, v0, 21, 1
	v_add_co_u32_e64 v1, s[26:27], v0, v1
	v_add_co_u32_e64 v1, s[26:27], -1, v1
; %bb.1503:                             ;   in Loop: Header=BB6_138 Depth=3
	s_or_b64 exec, exec, s[36:37]
	v_add_u32_e32 v2, 0xffffff81, v5
	v_mov_b32_e32 v4, 0xffffff82
	v_cndmask_b32_e32 v2, v2, v4, vcc
	v_lshrrev_b32_e32 v4, 23, v0
	v_add3_u32 v6, v6, v2, v4
	v_add_u32_e32 v5, 14, v6
	v_and_b32_e32 v1, 0x1fffff, v1
	v_add_u32_e32 v0, v1, v0
	v_mov_b32_e32 v1, v33
	v_cmp_ne_u32_e32 vcc, 0, v5
                                        ; implicit-def: $vgpr2
	s_and_saveexec_b64 s[26:27], vcc
	s_xor_b64 s[26:27], exec, s[26:27]
; %bb.1504:                             ;   in Loop: Header=BB6_138 Depth=3
	v_cmp_lt_u64_e32 vcc, s[88:89], v[0:1]
	v_add_u32_e32 v2, 15, v6
	v_cndmask_b32_e64 v4, 0, 1, vcc
	v_lshrrev_b64 v[0:1], v4, v[0:1]
	v_cndmask_b32_e32 v2, v5, v2, vcc
; %bb.1505:                             ;   in Loop: Header=BB6_138 Depth=3
	s_andn2_saveexec_b64 s[26:27], s[26:27]
; %bb.1506:                             ;   in Loop: Header=BB6_138 Depth=3
	v_bfe_u32 v2, v0, 23, 1
; %bb.1507:                             ;   in Loop: Header=BB6_138 Depth=3
	s_or_b64 exec, exec, s[26:27]
	v_lshrrev_b64 v[0:1], 21, v[0:1]
	v_cmp_gt_i32_e32 vcc, 32, v2
	v_cndmask_b32_e32 v1, 0, v1, vcc
	v_cndmask_b32_e32 v0, 3, v0, vcc
	v_cmp_eq_u64_e64 s[26:27], 0, v[0:1]
	v_min_i32_e32 v1, 31, v2
	v_lshlrev_b32_e32 v1, 2, v1
	v_cmp_eq_u32_e32 vcc, 0, v2
	v_and_b32_e32 v1, 0xfc, v1
	v_and_or_b32 v0, v0, 3, v1
	s_and_b64 s[26:27], vcc, s[26:27]
	v_cndmask_b32_e64 v0, v0, 0, s[26:27]
	v_or_b32_e32 v21, v0, v3
.LBB6_1508:                             ;   in Loop: Header=BB6_138 Depth=3
	s_or_b64 exec, exec, s[34:35]
                                        ; implicit-def: $vgpr3
.LBB6_1509:                             ;   in Loop: Header=BB6_138 Depth=3
	s_andn2_saveexec_b64 s[26:27], s[30:31]
; %bb.1510:                             ;   in Loop: Header=BB6_138 Depth=3
	v_or_b32_e32 v21, 0x7b, v3
; %bb.1511:                             ;   in Loop: Header=BB6_138 Depth=3
	s_or_b64 exec, exec, s[26:27]
                                        ; implicit-def: $vgpr2
                                        ; implicit-def: $vgpr0_vgpr1
.LBB6_1512:                             ;   in Loop: Header=BB6_138 Depth=3
	s_andn2_saveexec_b64 s[26:27], s[94:95]
	s_cbranch_execz .LBB6_1518
; %bb.1513:                             ;   in Loop: Header=BB6_138 Depth=3
	v_cmp_ne_u64_e32 vcc, 0, v[0:1]
                                        ; implicit-def: $vgpr21
	s_and_saveexec_b64 s[62:63], vcc
	s_xor_b64 s[94:95], exec, s[62:63]
; %bb.1514:                             ;   in Loop: Header=BB6_138 Depth=3
	v_or_b32_sdwa v21, v2, s44 dst_sel:DWORD dst_unused:UNUSED_PAD src0_sel:BYTE_3 src1_sel:DWORD
                                        ; implicit-def: $vgpr2
; %bb.1515:                             ;   in Loop: Header=BB6_138 Depth=3
	s_andn2_saveexec_b64 s[94:95], s[94:95]
; %bb.1516:                             ;   in Loop: Header=BB6_138 Depth=3
	v_cmp_lt_i32_e32 vcc, -1, v2
	v_bfrev_b32_e32 v0, 0.5
	v_mov_b32_e32 v1, 0x7c
	v_cndmask_b32_e32 v21, v0, v1, vcc
; %bb.1517:                             ;   in Loop: Header=BB6_138 Depth=3
	s_or_b64 exec, exec, s[94:95]
.LBB6_1518:                             ;   in Loop: Header=BB6_138 Depth=3
	s_or_b64 exec, exec, s[26:27]
	v_lshrrev_b16_e32 v0, 8, v8
	v_cmp_ne_u16_e32 vcc, 0, v0
	v_mov_b32_e32 v1, 0
	s_and_saveexec_b64 s[26:27], vcc
	s_cbranch_execz .LBB6_1526
; %bb.1519:                             ;   in Loop: Header=BB6_138 Depth=3
	v_cmp_ne_u16_e32 vcc, s97, v0
	v_bfrev_b32_e32 v1, 1
	s_and_saveexec_b64 s[94:95], vcc
	s_cbranch_execz .LBB6_1525
; %bb.1520:                             ;   in Loop: Header=BB6_138 Depth=3
	v_and_b32_e32 v1, 0x7c, v0
	v_and_b32_e32 v2, 3, v0
	v_cmp_ne_u32_e32 vcc, s86, v1
                                        ; implicit-def: $vgpr1
	s_and_saveexec_b64 s[62:63], vcc
	s_xor_b64 s[30:31], exec, s[62:63]
	s_cbranch_execz .LBB6_1522
; %bb.1521:                             ;   in Loop: Header=BB6_138 Depth=3
	v_ffbh_u32_e32 v4, v2
	v_min_u32_e32 v4, 32, v4
	v_mov_b32_e32 v1, v33
	v_subrev_u32_e32 v5, 29, v4
	v_bfe_u32 v3, v0, 2, 5
	v_lshlrev_b64 v[0:1], v5, v[0:1]
	v_cmp_eq_u32_e32 vcc, 0, v3
	v_and_b32_e32 v0, 3, v0
	v_sub_u32_e32 v1, 30, v4
	v_cndmask_b32_e32 v0, v2, v0, vcc
	v_lshlrev_b32_e32 v2, 16, v8
	v_cndmask_b32_e32 v1, v3, v1, vcc
	v_and_b32_e32 v2, 0x80000000, v2
	v_lshl_add_u32 v1, v1, 23, v2
	v_lshl_or_b32 v0, v0, 21, v1
	v_add_u32_e32 v1, 0x38000000, v0
                                        ; implicit-def: $vgpr2
.LBB6_1522:                             ;   in Loop: Header=BB6_138 Depth=3
	s_andn2_saveexec_b64 s[30:31], s[30:31]
; %bb.1523:                             ;   in Loop: Header=BB6_138 Depth=3
	v_cmp_lt_i16_e32 vcc, -1, v8
	v_mov_b32_e32 v0, 0xff800000
	v_mov_b32_e32 v1, 0x7f800000
	v_cndmask_b32_e32 v0, v0, v1, vcc
	v_cmp_eq_u32_e32 vcc, 0, v2
	v_mov_b32_e32 v1, 0x7f800001
	v_cndmask_b32_e32 v1, v1, v0, vcc
; %bb.1524:                             ;   in Loop: Header=BB6_138 Depth=3
	s_or_b64 exec, exec, s[30:31]
.LBB6_1525:                             ;   in Loop: Header=BB6_138 Depth=3
	s_or_b64 exec, exec, s[94:95]
.LBB6_1526:                             ;   in Loop: Header=BB6_138 Depth=3
	s_or_b64 exec, exec, s[26:27]
	v_mul_f32_e32 v2, v14, v1
	v_and_b32_e32 v3, 0x7f800000, v2
	v_mov_b32_e32 v4, v33
	v_cmp_ne_u64_e32 vcc, s[76:77], v[3:4]
	v_and_b32_e32 v0, 0x7fffff, v2
	v_mov_b32_e32 v1, v33
                                        ; implicit-def: $vgpr44
	s_and_saveexec_b64 s[26:27], vcc
	s_xor_b64 s[94:95], exec, s[26:27]
	s_cbranch_execz .LBB6_1540
; %bb.1527:                             ;   in Loop: Header=BB6_138 Depth=3
	v_and_b32_e32 v3, 0x7fffffff, v2
	v_mov_b32_e32 v4, v33
	v_cmp_gt_u64_e32 vcc, s[78:79], v[3:4]
	v_and_b32_sdwa v3, v2, s97 dst_sel:DWORD dst_unused:UNUSED_PAD src0_sel:BYTE_3 src1_sel:DWORD
                                        ; implicit-def: $vgpr44
	s_and_saveexec_b64 s[26:27], vcc
	s_xor_b64 s[30:31], exec, s[26:27]
	s_cbranch_execz .LBB6_1537
; %bb.1528:                             ;   in Loop: Header=BB6_138 Depth=3
	v_mov_b32_e32 v44, 0
	v_cmp_ne_u32_e32 vcc, 0, v2
	s_and_saveexec_b64 s[34:35], vcc
	s_cbranch_execz .LBB6_1536
; %bb.1529:                             ;   in Loop: Header=BB6_138 Depth=3
	v_bfe_u32 v5, v2, 23, 8
	v_cmp_gt_u32_e64 s[26:27], s47, v5
	v_sub_u32_e32 v2, 0x71, v5
	v_cmp_eq_u32_e32 vcc, 0, v5
	v_cndmask_b32_e64 v2, 0, v2, s[26:27]
	v_mov_b32_e32 v6, 0x70
	v_cndmask_b32_e32 v6, v2, v6, vcc
	v_add_u32_e32 v2, 21, v6
	v_or_b32_e32 v4, 0x800000, v0
	v_lshlrev_b64 v[15:16], v2, -1
	v_cndmask_b32_e32 v0, v4, v0, vcc
	v_add_u32_e32 v2, 20, v6
	v_bfi_b32 v15, v15, 0, v0
	v_lshlrev_b64 v[17:18], v2, 1
	v_lshrrev_b64 v[0:1], v6, v[0:1]
	v_bfi_b32 v16, v16, 0, 0
	v_cmp_eq_u64_e64 s[26:27], v[15:16], v[17:18]
	v_mov_b32_e32 v2, v1
	v_mov_b32_e32 v1, v0
	s_and_saveexec_b64 s[36:37], s[26:27]
; %bb.1530:                             ;   in Loop: Header=BB6_138 Depth=3
	v_bfe_u32 v1, v0, 21, 1
	v_add_co_u32_e64 v1, s[26:27], v0, v1
	v_add_co_u32_e64 v1, s[26:27], -1, v1
; %bb.1531:                             ;   in Loop: Header=BB6_138 Depth=3
	s_or_b64 exec, exec, s[36:37]
	v_add_u32_e32 v2, 0xffffff81, v5
	v_mov_b32_e32 v4, 0xffffff82
	v_cndmask_b32_e32 v2, v2, v4, vcc
	v_lshrrev_b32_e32 v4, 23, v0
	v_add3_u32 v6, v6, v2, v4
	v_add_u32_e32 v5, 14, v6
	v_and_b32_e32 v1, 0x1fffff, v1
	v_add_u32_e32 v0, v1, v0
	v_mov_b32_e32 v1, v33
	v_cmp_ne_u32_e32 vcc, 0, v5
                                        ; implicit-def: $vgpr2
	s_and_saveexec_b64 s[26:27], vcc
	s_xor_b64 s[26:27], exec, s[26:27]
; %bb.1532:                             ;   in Loop: Header=BB6_138 Depth=3
	v_cmp_lt_u64_e32 vcc, s[88:89], v[0:1]
	v_add_u32_e32 v2, 15, v6
	v_cndmask_b32_e64 v4, 0, 1, vcc
	v_lshrrev_b64 v[0:1], v4, v[0:1]
	v_cndmask_b32_e32 v2, v5, v2, vcc
; %bb.1533:                             ;   in Loop: Header=BB6_138 Depth=3
	s_andn2_saveexec_b64 s[26:27], s[26:27]
; %bb.1534:                             ;   in Loop: Header=BB6_138 Depth=3
	v_bfe_u32 v2, v0, 23, 1
; %bb.1535:                             ;   in Loop: Header=BB6_138 Depth=3
	s_or_b64 exec, exec, s[26:27]
	v_lshrrev_b64 v[0:1], 21, v[0:1]
	v_cmp_gt_i32_e32 vcc, 32, v2
	v_cndmask_b32_e32 v1, 0, v1, vcc
	v_cndmask_b32_e32 v0, 3, v0, vcc
	v_cmp_eq_u64_e64 s[26:27], 0, v[0:1]
	v_min_i32_e32 v1, 31, v2
	v_lshlrev_b32_e32 v1, 2, v1
	v_cmp_eq_u32_e32 vcc, 0, v2
	v_and_b32_e32 v1, 0xfc, v1
	v_and_or_b32 v0, v0, 3, v1
	s_and_b64 s[26:27], vcc, s[26:27]
	v_cndmask_b32_e64 v0, v0, 0, s[26:27]
	v_or_b32_e32 v44, v0, v3
.LBB6_1536:                             ;   in Loop: Header=BB6_138 Depth=3
	s_or_b64 exec, exec, s[34:35]
                                        ; implicit-def: $vgpr3
.LBB6_1537:                             ;   in Loop: Header=BB6_138 Depth=3
	s_andn2_saveexec_b64 s[26:27], s[30:31]
; %bb.1538:                             ;   in Loop: Header=BB6_138 Depth=3
	v_or_b32_e32 v44, 0x7b, v3
; %bb.1539:                             ;   in Loop: Header=BB6_138 Depth=3
	s_or_b64 exec, exec, s[26:27]
                                        ; implicit-def: $vgpr2
                                        ; implicit-def: $vgpr0_vgpr1
.LBB6_1540:                             ;   in Loop: Header=BB6_138 Depth=3
	s_andn2_saveexec_b64 s[26:27], s[94:95]
	s_cbranch_execz .LBB6_1546
; %bb.1541:                             ;   in Loop: Header=BB6_138 Depth=3
	v_cmp_ne_u64_e32 vcc, 0, v[0:1]
                                        ; implicit-def: $vgpr44
	s_and_saveexec_b64 s[62:63], vcc
	s_xor_b64 s[94:95], exec, s[62:63]
; %bb.1542:                             ;   in Loop: Header=BB6_138 Depth=3
	v_or_b32_sdwa v44, v2, s44 dst_sel:DWORD dst_unused:UNUSED_PAD src0_sel:BYTE_3 src1_sel:DWORD
                                        ; implicit-def: $vgpr2
; %bb.1543:                             ;   in Loop: Header=BB6_138 Depth=3
	s_andn2_saveexec_b64 s[94:95], s[94:95]
; %bb.1544:                             ;   in Loop: Header=BB6_138 Depth=3
	v_cmp_lt_i32_e32 vcc, -1, v2
	v_bfrev_b32_e32 v0, 0.5
	v_mov_b32_e32 v1, 0x7c
	v_cndmask_b32_e32 v44, v0, v1, vcc
; %bb.1545:                             ;   in Loop: Header=BB6_138 Depth=3
	s_or_b64 exec, exec, s[94:95]
.LBB6_1546:                             ;   in Loop: Header=BB6_138 Depth=3
	s_or_b64 exec, exec, s[26:27]
	v_lshrrev_b32_e32 v0, 16, v8
	v_cmp_ne_u16_sdwa s[62:63], v0, v33 src0_sel:BYTE_0 src1_sel:DWORD
	v_mov_b32_e32 v1, 0
	s_and_saveexec_b64 s[26:27], s[62:63]
	s_cbranch_execz .LBB6_1554
; %bb.1547:                             ;   in Loop: Header=BB6_138 Depth=3
	v_cmp_ne_u16_sdwa s[62:63], v0, s97 src0_sel:BYTE_0 src1_sel:DWORD
	v_bfrev_b32_e32 v1, 1
	s_and_saveexec_b64 s[94:95], s[62:63]
	s_cbranch_execz .LBB6_1553
; %bb.1548:                             ;   in Loop: Header=BB6_138 Depth=3
	v_and_b32_e32 v1, 0x7c0000, v8
	v_bfe_u32 v2, v8, 16, 2
	v_cmp_ne_u32_e32 vcc, s45, v1
                                        ; implicit-def: $vgpr1
	s_and_saveexec_b64 s[62:63], vcc
	s_xor_b64 s[30:31], exec, s[62:63]
	s_cbranch_execz .LBB6_1550
; %bb.1549:                             ;   in Loop: Header=BB6_138 Depth=3
	v_ffbh_u32_e32 v1, v2
	v_min_u32_e32 v4, 32, v1
	v_subrev_u32_e32 v1, 29, v4
	v_lshlrev_b64 v[0:1], v1, v[0:1]
	v_bfe_u32 v3, v8, 18, 5
	v_and_b32_e32 v0, 3, v0
	v_cmp_eq_u32_e32 vcc, 0, v3
	v_sub_u32_e32 v1, 30, v4
	v_cndmask_b32_e32 v0, v2, v0, vcc
	v_lshlrev_b32_e32 v2, 8, v8
	v_cndmask_b32_e32 v1, v3, v1, vcc
	v_and_b32_e32 v2, 0x80000000, v2
	v_lshl_add_u32 v1, v1, 23, v2
	v_lshl_or_b32 v0, v0, 21, v1
	v_add_u32_e32 v1, 0x38000000, v0
                                        ; implicit-def: $vgpr2
                                        ; implicit-def: $vgpr0
.LBB6_1550:                             ;   in Loop: Header=BB6_138 Depth=3
	s_andn2_saveexec_b64 s[30:31], s[30:31]
; %bb.1551:                             ;   in Loop: Header=BB6_138 Depth=3
	v_mov_b32_e32 v1, -1
	v_cmp_gt_i16_sdwa vcc, sext(v0), v1 src0_sel:BYTE_0 src1_sel:DWORD
	v_mov_b32_e32 v0, 0xff800000
	v_mov_b32_e32 v1, 0x7f800000
	v_cndmask_b32_e32 v0, v0, v1, vcc
	v_cmp_eq_u32_e32 vcc, 0, v2
	v_mov_b32_e32 v1, 0x7f800001
	v_cndmask_b32_e32 v1, v1, v0, vcc
; %bb.1552:                             ;   in Loop: Header=BB6_138 Depth=3
	s_or_b64 exec, exec, s[30:31]
.LBB6_1553:                             ;   in Loop: Header=BB6_138 Depth=3
	s_or_b64 exec, exec, s[94:95]
.LBB6_1554:                             ;   in Loop: Header=BB6_138 Depth=3
	s_or_b64 exec, exec, s[26:27]
	v_mul_f32_e32 v2, v14, v1
	v_and_b32_e32 v3, 0x7f800000, v2
	v_mov_b32_e32 v4, v33
	v_cmp_ne_u64_e32 vcc, s[76:77], v[3:4]
	v_and_b32_e32 v0, 0x7fffff, v2
	v_mov_b32_e32 v1, v33
                                        ; implicit-def: $vgpr3
                                        ; kill: killed $vgpr3
	s_and_saveexec_b64 s[26:27], vcc
	s_xor_b64 s[94:95], exec, s[26:27]
	s_cbranch_execz .LBB6_1568
; %bb.1555:                             ;   in Loop: Header=BB6_138 Depth=3
	v_and_b32_e32 v3, 0x7fffffff, v2
	v_mov_b32_e32 v4, v33
	v_cmp_gt_u64_e32 vcc, s[78:79], v[3:4]
	v_and_b32_sdwa v3, v2, s97 dst_sel:DWORD dst_unused:UNUSED_PAD src0_sel:BYTE_3 src1_sel:DWORD
                                        ; implicit-def: $vgpr4
                                        ; kill: killed $vgpr4
	s_and_saveexec_b64 s[26:27], vcc
	s_xor_b64 s[30:31], exec, s[26:27]
	s_cbranch_execz .LBB6_1565
; %bb.1556:                             ;   in Loop: Header=BB6_138 Depth=3
	v_mov_b32_e32 v4, 0
	v_cmp_ne_u32_e32 vcc, 0, v2
	buffer_store_dword v4, off, s[0:3], s33 offset:388 ; 4-byte Folded Spill
	s_and_saveexec_b64 s[34:35], vcc
	s_cbranch_execz .LBB6_1564
; %bb.1557:                             ;   in Loop: Header=BB6_138 Depth=3
	v_bfe_u32 v5, v2, 23, 8
	v_cmp_gt_u32_e64 s[26:27], s47, v5
	v_sub_u32_e32 v2, 0x71, v5
	v_cmp_eq_u32_e32 vcc, 0, v5
	v_cndmask_b32_e64 v2, 0, v2, s[26:27]
	v_mov_b32_e32 v6, 0x70
	v_cndmask_b32_e32 v6, v2, v6, vcc
	v_add_u32_e32 v2, 21, v6
	v_or_b32_e32 v4, 0x800000, v0
	v_lshlrev_b64 v[15:16], v2, -1
	v_cndmask_b32_e32 v0, v4, v0, vcc
	v_add_u32_e32 v2, 20, v6
	v_bfi_b32 v15, v15, 0, v0
	v_lshlrev_b64 v[17:18], v2, 1
	v_lshrrev_b64 v[0:1], v6, v[0:1]
	v_bfi_b32 v16, v16, 0, 0
	v_cmp_eq_u64_e64 s[26:27], v[15:16], v[17:18]
	v_mov_b32_e32 v2, v1
	v_mov_b32_e32 v1, v0
	s_and_saveexec_b64 s[36:37], s[26:27]
; %bb.1558:                             ;   in Loop: Header=BB6_138 Depth=3
	v_bfe_u32 v1, v0, 21, 1
	v_add_co_u32_e64 v1, s[26:27], v0, v1
	v_add_co_u32_e64 v1, s[26:27], -1, v1
; %bb.1559:                             ;   in Loop: Header=BB6_138 Depth=3
	s_or_b64 exec, exec, s[36:37]
	v_add_u32_e32 v2, 0xffffff81, v5
	v_mov_b32_e32 v4, 0xffffff82
	v_cndmask_b32_e32 v2, v2, v4, vcc
	v_lshrrev_b32_e32 v4, 23, v0
	v_add3_u32 v6, v6, v2, v4
	v_add_u32_e32 v5, 14, v6
	v_and_b32_e32 v1, 0x1fffff, v1
	v_add_u32_e32 v0, v1, v0
	v_mov_b32_e32 v1, v33
	v_cmp_ne_u32_e32 vcc, 0, v5
                                        ; implicit-def: $vgpr2
	s_and_saveexec_b64 s[26:27], vcc
	s_xor_b64 s[26:27], exec, s[26:27]
; %bb.1560:                             ;   in Loop: Header=BB6_138 Depth=3
	v_cmp_lt_u64_e32 vcc, s[88:89], v[0:1]
	v_add_u32_e32 v2, 15, v6
	v_cndmask_b32_e64 v4, 0, 1, vcc
	v_lshrrev_b64 v[0:1], v4, v[0:1]
	v_cndmask_b32_e32 v2, v5, v2, vcc
; %bb.1561:                             ;   in Loop: Header=BB6_138 Depth=3
	s_andn2_saveexec_b64 s[26:27], s[26:27]
; %bb.1562:                             ;   in Loop: Header=BB6_138 Depth=3
	v_bfe_u32 v2, v0, 23, 1
; %bb.1563:                             ;   in Loop: Header=BB6_138 Depth=3
	s_or_b64 exec, exec, s[26:27]
	v_lshrrev_b64 v[0:1], 21, v[0:1]
	v_cmp_gt_i32_e32 vcc, 32, v2
	v_cndmask_b32_e32 v1, 0, v1, vcc
	v_cndmask_b32_e32 v0, 3, v0, vcc
	v_cmp_eq_u64_e64 s[26:27], 0, v[0:1]
	v_min_i32_e32 v1, 31, v2
	v_lshlrev_b32_e32 v1, 2, v1
	v_cmp_eq_u32_e32 vcc, 0, v2
	v_and_b32_e32 v1, 0xfc, v1
	v_and_or_b32 v0, v0, 3, v1
	s_and_b64 s[26:27], vcc, s[26:27]
	v_cndmask_b32_e64 v0, v0, 0, s[26:27]
	v_or_b32_e32 v0, v0, v3
	buffer_store_dword v0, off, s[0:3], s33 offset:388 ; 4-byte Folded Spill
.LBB6_1564:                             ;   in Loop: Header=BB6_138 Depth=3
	s_or_b64 exec, exec, s[34:35]
                                        ; implicit-def: $vgpr3
.LBB6_1565:                             ;   in Loop: Header=BB6_138 Depth=3
	s_andn2_saveexec_b64 s[26:27], s[30:31]
	s_cbranch_execz .LBB6_1567
; %bb.1566:                             ;   in Loop: Header=BB6_138 Depth=3
	v_or_b32_e32 v0, 0x7b, v3
	buffer_store_dword v0, off, s[0:3], s33 offset:388 ; 4-byte Folded Spill
.LBB6_1567:                             ;   in Loop: Header=BB6_138 Depth=3
	s_or_b64 exec, exec, s[26:27]
                                        ; implicit-def: $vgpr2
                                        ; implicit-def: $vgpr0_vgpr1
.LBB6_1568:                             ;   in Loop: Header=BB6_138 Depth=3
	s_andn2_saveexec_b64 s[26:27], s[94:95]
	s_cbranch_execz .LBB6_1574
; %bb.1569:                             ;   in Loop: Header=BB6_138 Depth=3
	v_cmp_ne_u64_e32 vcc, 0, v[0:1]
                                        ; implicit-def: $vgpr0
                                        ; kill: killed $vgpr0
	s_and_saveexec_b64 s[62:63], vcc
	s_xor_b64 s[94:95], exec, s[62:63]
	s_cbranch_execz .LBB6_1571
; %bb.1570:                             ;   in Loop: Header=BB6_138 Depth=3
	v_or_b32_sdwa v0, v2, s44 dst_sel:DWORD dst_unused:UNUSED_PAD src0_sel:BYTE_3 src1_sel:DWORD
	buffer_store_dword v0, off, s[0:3], s33 offset:388 ; 4-byte Folded Spill
                                        ; implicit-def: $vgpr2
.LBB6_1571:                             ;   in Loop: Header=BB6_138 Depth=3
	s_andn2_saveexec_b64 s[94:95], s[94:95]
	s_cbranch_execz .LBB6_1573
; %bb.1572:                             ;   in Loop: Header=BB6_138 Depth=3
	v_cmp_lt_i32_e32 vcc, -1, v2
	v_bfrev_b32_e32 v0, 0.5
	v_mov_b32_e32 v1, 0x7c
	v_cndmask_b32_e32 v0, v0, v1, vcc
	buffer_store_dword v0, off, s[0:3], s33 offset:388 ; 4-byte Folded Spill
.LBB6_1573:                             ;   in Loop: Header=BB6_138 Depth=3
	s_or_b64 exec, exec, s[94:95]
.LBB6_1574:                             ;   in Loop: Header=BB6_138 Depth=3
	s_or_b64 exec, exec, s[26:27]
	v_cmp_lt_u32_e32 vcc, s57, v8
	v_mov_b32_e32 v1, 0
	s_and_saveexec_b64 s[26:27], vcc
	s_cbranch_execz .LBB6_1582
; %bb.1575:                             ;   in Loop: Header=BB6_138 Depth=3
	v_lshrrev_b32_e32 v0, 24, v8
	v_cmp_ne_u32_e32 vcc, s97, v0
	v_bfrev_b32_e32 v1, 1
	s_and_saveexec_b64 s[94:95], vcc
	s_cbranch_execz .LBB6_1581
; %bb.1576:                             ;   in Loop: Header=BB6_138 Depth=3
	v_and_b32_e32 v1, 0x7c000000, v8
	v_bfe_u32 v2, v8, 24, 2
	v_cmp_ne_u32_e32 vcc, s68, v1
                                        ; implicit-def: $vgpr1
	s_and_saveexec_b64 s[62:63], vcc
	s_xor_b64 s[30:31], exec, s[62:63]
	s_cbranch_execz .LBB6_1578
; %bb.1577:                             ;   in Loop: Header=BB6_138 Depth=3
	v_ffbh_u32_e32 v1, v2
	v_min_u32_e32 v4, 32, v1
	v_subrev_u32_e32 v1, 29, v4
	v_lshlrev_b64 v[0:1], v1, v[0:1]
	v_bfe_u32 v3, v8, 26, 5
	v_sub_u32_e32 v1, 30, v4
	v_and_b32_e32 v0, 3, v0
	v_cmp_eq_u32_e32 vcc, 0, v3
	v_cndmask_b32_e32 v1, v3, v1, vcc
	v_cndmask_b32_e32 v0, v2, v0, vcc
	v_and_b32_e32 v2, 0x80000000, v8
	v_lshl_add_u32 v1, v1, 23, v2
	v_lshl_or_b32 v0, v0, 21, v1
	v_add_u32_e32 v1, 0x38000000, v0
                                        ; implicit-def: $vgpr2
.LBB6_1578:                             ;   in Loop: Header=BB6_138 Depth=3
	s_andn2_saveexec_b64 s[30:31], s[30:31]
; %bb.1579:                             ;   in Loop: Header=BB6_138 Depth=3
	v_cmp_lt_i32_e32 vcc, -1, v8
	v_mov_b32_e32 v0, 0xff800000
	v_mov_b32_e32 v1, 0x7f800000
	v_cndmask_b32_e32 v0, v0, v1, vcc
	v_cmp_eq_u32_e32 vcc, 0, v2
	v_mov_b32_e32 v1, 0x7f800001
	v_cndmask_b32_e32 v1, v1, v0, vcc
; %bb.1580:                             ;   in Loop: Header=BB6_138 Depth=3
	s_or_b64 exec, exec, s[30:31]
.LBB6_1581:                             ;   in Loop: Header=BB6_138 Depth=3
	s_or_b64 exec, exec, s[94:95]
.LBB6_1582:                             ;   in Loop: Header=BB6_138 Depth=3
	s_or_b64 exec, exec, s[26:27]
	v_mul_f32_e32 v2, v14, v1
	v_and_b32_e32 v3, 0x7f800000, v2
	v_mov_b32_e32 v4, v33
	v_cmp_ne_u64_e32 vcc, s[76:77], v[3:4]
	v_and_b32_e32 v0, 0x7fffff, v2
	v_mov_b32_e32 v1, v33
                                        ; implicit-def: $vgpr3
                                        ; kill: killed $vgpr3
	s_and_saveexec_b64 s[26:27], vcc
	s_xor_b64 s[94:95], exec, s[26:27]
	s_cbranch_execz .LBB6_1596
; %bb.1583:                             ;   in Loop: Header=BB6_138 Depth=3
	v_and_b32_e32 v3, 0x7fffffff, v2
	v_mov_b32_e32 v4, v33
	v_cmp_gt_u64_e32 vcc, s[78:79], v[3:4]
	v_and_b32_sdwa v3, v2, s97 dst_sel:DWORD dst_unused:UNUSED_PAD src0_sel:BYTE_3 src1_sel:DWORD
                                        ; implicit-def: $vgpr4
                                        ; kill: killed $vgpr4
	s_and_saveexec_b64 s[26:27], vcc
	s_xor_b64 s[30:31], exec, s[26:27]
	s_cbranch_execz .LBB6_1593
; %bb.1584:                             ;   in Loop: Header=BB6_138 Depth=3
	v_mov_b32_e32 v4, 0
	v_cmp_ne_u32_e32 vcc, 0, v2
	buffer_store_dword v4, off, s[0:3], s33 offset:400 ; 4-byte Folded Spill
	s_and_saveexec_b64 s[34:35], vcc
	s_cbranch_execz .LBB6_1592
; %bb.1585:                             ;   in Loop: Header=BB6_138 Depth=3
	v_bfe_u32 v5, v2, 23, 8
	v_cmp_gt_u32_e64 s[26:27], s47, v5
	v_sub_u32_e32 v2, 0x71, v5
	v_cmp_eq_u32_e32 vcc, 0, v5
	v_cndmask_b32_e64 v2, 0, v2, s[26:27]
	v_mov_b32_e32 v6, 0x70
	v_cndmask_b32_e32 v6, v2, v6, vcc
	v_add_u32_e32 v2, 21, v6
	v_or_b32_e32 v4, 0x800000, v0
	v_lshlrev_b64 v[15:16], v2, -1
	v_cndmask_b32_e32 v0, v4, v0, vcc
	v_add_u32_e32 v2, 20, v6
	v_bfi_b32 v15, v15, 0, v0
	v_lshlrev_b64 v[17:18], v2, 1
	v_lshrrev_b64 v[0:1], v6, v[0:1]
	v_bfi_b32 v16, v16, 0, 0
	v_cmp_eq_u64_e64 s[26:27], v[15:16], v[17:18]
	v_mov_b32_e32 v2, v1
	v_mov_b32_e32 v1, v0
	s_and_saveexec_b64 s[36:37], s[26:27]
; %bb.1586:                             ;   in Loop: Header=BB6_138 Depth=3
	v_bfe_u32 v1, v0, 21, 1
	v_add_co_u32_e64 v1, s[26:27], v0, v1
	v_add_co_u32_e64 v1, s[26:27], -1, v1
; %bb.1587:                             ;   in Loop: Header=BB6_138 Depth=3
	s_or_b64 exec, exec, s[36:37]
	v_add_u32_e32 v2, 0xffffff81, v5
	v_mov_b32_e32 v4, 0xffffff82
	v_cndmask_b32_e32 v2, v2, v4, vcc
	v_lshrrev_b32_e32 v4, 23, v0
	v_add3_u32 v6, v6, v2, v4
	v_add_u32_e32 v5, 14, v6
	v_and_b32_e32 v1, 0x1fffff, v1
	v_add_u32_e32 v0, v1, v0
	v_mov_b32_e32 v1, v33
	v_cmp_ne_u32_e32 vcc, 0, v5
                                        ; implicit-def: $vgpr2
	s_and_saveexec_b64 s[26:27], vcc
	s_xor_b64 s[26:27], exec, s[26:27]
; %bb.1588:                             ;   in Loop: Header=BB6_138 Depth=3
	v_cmp_lt_u64_e32 vcc, s[88:89], v[0:1]
	v_add_u32_e32 v2, 15, v6
	v_cndmask_b32_e64 v4, 0, 1, vcc
	v_lshrrev_b64 v[0:1], v4, v[0:1]
	v_cndmask_b32_e32 v2, v5, v2, vcc
; %bb.1589:                             ;   in Loop: Header=BB6_138 Depth=3
	s_andn2_saveexec_b64 s[26:27], s[26:27]
; %bb.1590:                             ;   in Loop: Header=BB6_138 Depth=3
	v_bfe_u32 v2, v0, 23, 1
; %bb.1591:                             ;   in Loop: Header=BB6_138 Depth=3
	s_or_b64 exec, exec, s[26:27]
	v_lshrrev_b64 v[0:1], 21, v[0:1]
	v_cmp_gt_i32_e32 vcc, 32, v2
	v_cndmask_b32_e32 v1, 0, v1, vcc
	v_cndmask_b32_e32 v0, 3, v0, vcc
	v_cmp_eq_u64_e64 s[26:27], 0, v[0:1]
	v_min_i32_e32 v1, 31, v2
	v_lshlrev_b32_e32 v1, 2, v1
	v_cmp_eq_u32_e32 vcc, 0, v2
	v_and_b32_e32 v1, 0xfc, v1
	v_and_or_b32 v0, v0, 3, v1
	s_and_b64 s[26:27], vcc, s[26:27]
	v_cndmask_b32_e64 v0, v0, 0, s[26:27]
	v_or_b32_e32 v0, v0, v3
	buffer_store_dword v0, off, s[0:3], s33 offset:400 ; 4-byte Folded Spill
.LBB6_1592:                             ;   in Loop: Header=BB6_138 Depth=3
	s_or_b64 exec, exec, s[34:35]
                                        ; implicit-def: $vgpr3
.LBB6_1593:                             ;   in Loop: Header=BB6_138 Depth=3
	s_andn2_saveexec_b64 s[26:27], s[30:31]
	s_cbranch_execz .LBB6_1595
; %bb.1594:                             ;   in Loop: Header=BB6_138 Depth=3
	v_or_b32_e32 v0, 0x7b, v3
	buffer_store_dword v0, off, s[0:3], s33 offset:400 ; 4-byte Folded Spill
.LBB6_1595:                             ;   in Loop: Header=BB6_138 Depth=3
	s_or_b64 exec, exec, s[26:27]
                                        ; implicit-def: $vgpr2
                                        ; implicit-def: $vgpr0_vgpr1
.LBB6_1596:                             ;   in Loop: Header=BB6_138 Depth=3
	s_andn2_saveexec_b64 s[26:27], s[94:95]
	s_cbranch_execz .LBB6_1602
; %bb.1597:                             ;   in Loop: Header=BB6_138 Depth=3
	v_cmp_ne_u64_e32 vcc, 0, v[0:1]
                                        ; implicit-def: $vgpr0
                                        ; kill: killed $vgpr0
	s_and_saveexec_b64 s[62:63], vcc
	s_xor_b64 s[94:95], exec, s[62:63]
	s_cbranch_execz .LBB6_1599
; %bb.1598:                             ;   in Loop: Header=BB6_138 Depth=3
	v_or_b32_sdwa v0, v2, s44 dst_sel:DWORD dst_unused:UNUSED_PAD src0_sel:BYTE_3 src1_sel:DWORD
	buffer_store_dword v0, off, s[0:3], s33 offset:400 ; 4-byte Folded Spill
                                        ; implicit-def: $vgpr2
.LBB6_1599:                             ;   in Loop: Header=BB6_138 Depth=3
	s_andn2_saveexec_b64 s[94:95], s[94:95]
	s_cbranch_execz .LBB6_1601
; %bb.1600:                             ;   in Loop: Header=BB6_138 Depth=3
	v_cmp_lt_i32_e32 vcc, -1, v2
	v_bfrev_b32_e32 v0, 0.5
	v_mov_b32_e32 v1, 0x7c
	v_cndmask_b32_e32 v0, v0, v1, vcc
	buffer_store_dword v0, off, s[0:3], s33 offset:400 ; 4-byte Folded Spill
.LBB6_1601:                             ;   in Loop: Header=BB6_138 Depth=3
	s_or_b64 exec, exec, s[94:95]
.LBB6_1602:                             ;   in Loop: Header=BB6_138 Depth=3
	s_or_b64 exec, exec, s[26:27]
	v_mov_b32_e32 v0, v9
	v_mov_b32_e32 v1, v33
	v_cmp_ne_u16_sdwa s[62:63], v9, v33 src0_sel:BYTE_0 src1_sel:DWORD
	v_mov_b32_e32 v2, 0
	s_and_saveexec_b64 s[26:27], s[62:63]
	s_cbranch_execz .LBB6_1610
; %bb.1603:                             ;   in Loop: Header=BB6_138 Depth=3
	v_cmp_ne_u16_sdwa s[62:63], v9, s97 src0_sel:BYTE_0 src1_sel:DWORD
	v_bfrev_b32_e32 v2, 1
	s_and_saveexec_b64 s[94:95], s[62:63]
	s_cbranch_execz .LBB6_1609
; %bb.1604:                             ;   in Loop: Header=BB6_138 Depth=3
	v_and_b32_e32 v2, 0x7c, v9
	v_and_b32_e32 v3, 3, v9
	v_cmp_ne_u32_e32 vcc, s86, v2
                                        ; implicit-def: $vgpr2
	s_and_saveexec_b64 s[62:63], vcc
	s_xor_b64 s[30:31], exec, s[62:63]
	s_cbranch_execz .LBB6_1606
; %bb.1605:                             ;   in Loop: Header=BB6_138 Depth=3
	v_ffbh_u32_e32 v2, v3
	v_min_u32_e32 v5, 32, v2
	v_subrev_u32_e32 v2, 29, v5
	v_lshlrev_b64 v[1:2], v2, v[0:1]
	v_bfe_u32 v4, v9, 2, 5
	v_and_b32_e32 v1, 3, v1
	v_cmp_eq_u32_e32 vcc, 0, v4
	v_sub_u32_e32 v2, 30, v5
	v_cndmask_b32_e32 v1, v3, v1, vcc
	v_lshlrev_b32_e32 v3, 24, v9
	v_cndmask_b32_e32 v2, v4, v2, vcc
	v_and_b32_e32 v3, 0x80000000, v3
	v_lshl_add_u32 v2, v2, 23, v3
	v_lshl_or_b32 v1, v1, 21, v2
	v_add_u32_e32 v2, 0x38000000, v1
                                        ; implicit-def: $vgpr3
.LBB6_1606:                             ;   in Loop: Header=BB6_138 Depth=3
	s_andn2_saveexec_b64 s[30:31], s[30:31]
; %bb.1607:                             ;   in Loop: Header=BB6_138 Depth=3
	v_mov_b32_e32 v1, -1
	v_cmp_gt_i16_sdwa vcc, sext(v9), v1 src0_sel:BYTE_0 src1_sel:DWORD
	v_mov_b32_e32 v1, 0xff800000
	v_mov_b32_e32 v2, 0x7f800000
	v_cndmask_b32_e32 v1, v1, v2, vcc
	v_cmp_eq_u32_e32 vcc, 0, v3
	v_mov_b32_e32 v2, 0x7f800001
	v_cndmask_b32_e32 v2, v2, v1, vcc
; %bb.1608:                             ;   in Loop: Header=BB6_138 Depth=3
	s_or_b64 exec, exec, s[30:31]
.LBB6_1609:                             ;   in Loop: Header=BB6_138 Depth=3
	s_or_b64 exec, exec, s[94:95]
.LBB6_1610:                             ;   in Loop: Header=BB6_138 Depth=3
	s_or_b64 exec, exec, s[26:27]
	v_mul_f32_e32 v3, v14, v2
	v_and_b32_e32 v4, 0x7f800000, v3
	v_mov_b32_e32 v5, v33
	v_cmp_ne_u64_e32 vcc, s[76:77], v[4:5]
	v_and_b32_e32 v1, 0x7fffff, v3
	v_mov_b32_e32 v2, v33
                                        ; implicit-def: $vgpr4
                                        ; kill: killed $vgpr4
	s_and_saveexec_b64 s[26:27], vcc
	s_xor_b64 s[94:95], exec, s[26:27]
	s_cbranch_execz .LBB6_1624
; %bb.1611:                             ;   in Loop: Header=BB6_138 Depth=3
	v_and_b32_e32 v4, 0x7fffffff, v3
	v_mov_b32_e32 v5, v33
	v_cmp_gt_u64_e32 vcc, s[78:79], v[4:5]
	v_and_b32_sdwa v5, v3, s97 dst_sel:DWORD dst_unused:UNUSED_PAD src0_sel:BYTE_3 src1_sel:DWORD
                                        ; implicit-def: $vgpr4
                                        ; kill: killed $vgpr4
	s_and_saveexec_b64 s[26:27], vcc
	s_xor_b64 s[30:31], exec, s[26:27]
	s_cbranch_execz .LBB6_1621
; %bb.1612:                             ;   in Loop: Header=BB6_138 Depth=3
	v_mov_b32_e32 v4, 0
	v_cmp_ne_u32_e32 vcc, 0, v3
	buffer_store_dword v4, off, s[0:3], s33 offset:448 ; 4-byte Folded Spill
	s_and_saveexec_b64 s[34:35], vcc
	s_cbranch_execz .LBB6_1620
; %bb.1613:                             ;   in Loop: Header=BB6_138 Depth=3
	v_bfe_u32 v6, v3, 23, 8
	v_cmp_gt_u32_e64 s[26:27], s47, v6
	v_sub_u32_e32 v3, 0x71, v6
	v_cmp_eq_u32_e32 vcc, 0, v6
	v_cndmask_b32_e64 v3, 0, v3, s[26:27]
	v_mov_b32_e32 v7, 0x70
	v_cndmask_b32_e32 v7, v3, v7, vcc
	v_or_b32_e32 v4, 0x800000, v1
	v_add_u32_e32 v3, 21, v7
	v_cndmask_b32_e32 v1, v4, v1, vcc
	v_lshlrev_b64 v[3:4], v3, -1
	v_add_u32_e32 v15, 20, v7
	v_bfi_b32 v3, v3, 0, v1
	v_lshlrev_b64 v[15:16], v15, 1
	v_lshrrev_b64 v[1:2], v7, v[1:2]
	v_bfi_b32 v4, v4, 0, 0
	v_cmp_eq_u64_e64 s[26:27], v[3:4], v[15:16]
	v_mov_b32_e32 v3, v2
	v_mov_b32_e32 v2, v1
	s_and_saveexec_b64 s[36:37], s[26:27]
; %bb.1614:                             ;   in Loop: Header=BB6_138 Depth=3
	v_bfe_u32 v2, v1, 21, 1
	v_add_co_u32_e64 v2, s[26:27], v1, v2
	v_add_co_u32_e64 v2, s[26:27], -1, v2
; %bb.1615:                             ;   in Loop: Header=BB6_138 Depth=3
	s_or_b64 exec, exec, s[36:37]
	v_add_u32_e32 v3, 0xffffff81, v6
	v_mov_b32_e32 v4, 0xffffff82
	v_cndmask_b32_e32 v3, v3, v4, vcc
	v_lshrrev_b32_e32 v4, 23, v1
	v_add3_u32 v7, v7, v3, v4
	v_add_u32_e32 v6, 14, v7
	v_and_b32_e32 v2, 0x1fffff, v2
	v_add_u32_e32 v1, v2, v1
	v_mov_b32_e32 v2, v33
	v_cmp_ne_u32_e32 vcc, 0, v6
                                        ; implicit-def: $vgpr3
	s_and_saveexec_b64 s[26:27], vcc
	s_xor_b64 s[26:27], exec, s[26:27]
; %bb.1616:                             ;   in Loop: Header=BB6_138 Depth=3
	v_cmp_lt_u64_e32 vcc, s[88:89], v[1:2]
	v_add_u32_e32 v3, 15, v7
	v_cndmask_b32_e64 v4, 0, 1, vcc
	v_lshrrev_b64 v[1:2], v4, v[1:2]
	v_cndmask_b32_e32 v3, v6, v3, vcc
; %bb.1617:                             ;   in Loop: Header=BB6_138 Depth=3
	s_andn2_saveexec_b64 s[26:27], s[26:27]
; %bb.1618:                             ;   in Loop: Header=BB6_138 Depth=3
	v_bfe_u32 v3, v1, 23, 1
; %bb.1619:                             ;   in Loop: Header=BB6_138 Depth=3
	s_or_b64 exec, exec, s[26:27]
	v_lshrrev_b64 v[1:2], 21, v[1:2]
	v_cmp_gt_i32_e32 vcc, 32, v3
	v_cndmask_b32_e32 v2, 0, v2, vcc
	v_cndmask_b32_e32 v1, 3, v1, vcc
	v_cmp_eq_u64_e64 s[26:27], 0, v[1:2]
	v_min_i32_e32 v2, 31, v3
	v_lshlrev_b32_e32 v2, 2, v2
	v_cmp_eq_u32_e32 vcc, 0, v3
	v_and_b32_e32 v2, 0xfc, v2
	v_and_or_b32 v1, v1, 3, v2
	s_and_b64 s[26:27], vcc, s[26:27]
	v_cndmask_b32_e64 v1, v1, 0, s[26:27]
	v_or_b32_e32 v1, v1, v5
	buffer_store_dword v1, off, s[0:3], s33 offset:448 ; 4-byte Folded Spill
.LBB6_1620:                             ;   in Loop: Header=BB6_138 Depth=3
	s_or_b64 exec, exec, s[34:35]
                                        ; implicit-def: $vgpr5
.LBB6_1621:                             ;   in Loop: Header=BB6_138 Depth=3
	s_andn2_saveexec_b64 s[26:27], s[30:31]
	s_cbranch_execz .LBB6_1623
; %bb.1622:                             ;   in Loop: Header=BB6_138 Depth=3
	v_or_b32_e32 v1, 0x7b, v5
	buffer_store_dword v1, off, s[0:3], s33 offset:448 ; 4-byte Folded Spill
.LBB6_1623:                             ;   in Loop: Header=BB6_138 Depth=3
	s_or_b64 exec, exec, s[26:27]
                                        ; implicit-def: $vgpr3
                                        ; implicit-def: $vgpr1_vgpr2
.LBB6_1624:                             ;   in Loop: Header=BB6_138 Depth=3
	s_andn2_saveexec_b64 s[26:27], s[94:95]
	s_cbranch_execz .LBB6_1630
; %bb.1625:                             ;   in Loop: Header=BB6_138 Depth=3
	v_cmp_ne_u64_e32 vcc, 0, v[1:2]
                                        ; implicit-def: $vgpr1
                                        ; kill: killed $vgpr1
	s_and_saveexec_b64 s[62:63], vcc
	s_xor_b64 s[94:95], exec, s[62:63]
	s_cbranch_execz .LBB6_1627
; %bb.1626:                             ;   in Loop: Header=BB6_138 Depth=3
	v_or_b32_sdwa v1, v3, s44 dst_sel:DWORD dst_unused:UNUSED_PAD src0_sel:BYTE_3 src1_sel:DWORD
	buffer_store_dword v1, off, s[0:3], s33 offset:448 ; 4-byte Folded Spill
                                        ; implicit-def: $vgpr3
.LBB6_1627:                             ;   in Loop: Header=BB6_138 Depth=3
	s_andn2_saveexec_b64 s[94:95], s[94:95]
	s_cbranch_execz .LBB6_1629
; %bb.1628:                             ;   in Loop: Header=BB6_138 Depth=3
	v_cmp_lt_i32_e32 vcc, -1, v3
	v_bfrev_b32_e32 v1, 0.5
	v_mov_b32_e32 v2, 0x7c
	v_cndmask_b32_e32 v1, v1, v2, vcc
	buffer_store_dword v1, off, s[0:3], s33 offset:448 ; 4-byte Folded Spill
.LBB6_1629:                             ;   in Loop: Header=BB6_138 Depth=3
	s_or_b64 exec, exec, s[94:95]
.LBB6_1630:                             ;   in Loop: Header=BB6_138 Depth=3
	s_or_b64 exec, exec, s[26:27]
	v_lshrrev_b16_e32 v1, 8, v0
	v_cmp_ne_u16_e32 vcc, 0, v1
	v_mov_b32_e32 v2, 0
	s_and_saveexec_b64 s[26:27], vcc
	s_cbranch_execz .LBB6_1638
; %bb.1631:                             ;   in Loop: Header=BB6_138 Depth=3
	v_cmp_ne_u16_e32 vcc, s97, v1
	v_bfrev_b32_e32 v2, 1
	s_and_saveexec_b64 s[94:95], vcc
	s_cbranch_execz .LBB6_1637
; %bb.1632:                             ;   in Loop: Header=BB6_138 Depth=3
	v_and_b32_e32 v2, 0x7c, v1
	v_and_b32_e32 v3, 3, v1
	v_cmp_ne_u32_e32 vcc, s86, v2
                                        ; implicit-def: $vgpr2
	s_and_saveexec_b64 s[62:63], vcc
	s_xor_b64 s[30:31], exec, s[62:63]
	s_cbranch_execz .LBB6_1634
; %bb.1633:                             ;   in Loop: Header=BB6_138 Depth=3
	v_ffbh_u32_e32 v5, v3
	v_min_u32_e32 v5, 32, v5
	v_mov_b32_e32 v2, v33
	v_subrev_u32_e32 v6, 29, v5
	v_bfe_u32 v4, v1, 2, 5
	v_lshlrev_b64 v[1:2], v6, v[1:2]
	v_sub_u32_e32 v2, 30, v5
	v_cmp_eq_u32_e32 vcc, 0, v4
	v_lshlrev_b32_e32 v0, 16, v0
	v_and_b32_e32 v1, 3, v1
	v_cndmask_b32_e32 v2, v4, v2, vcc
	v_and_b32_e32 v0, 0x80000000, v0
	v_cndmask_b32_e32 v1, v3, v1, vcc
	v_lshl_add_u32 v0, v2, 23, v0
	v_lshl_or_b32 v0, v1, 21, v0
	v_add_u32_e32 v2, 0x38000000, v0
                                        ; implicit-def: $vgpr3
                                        ; implicit-def: $vgpr0_vgpr1
.LBB6_1634:                             ;   in Loop: Header=BB6_138 Depth=3
	s_andn2_saveexec_b64 s[30:31], s[30:31]
; %bb.1635:                             ;   in Loop: Header=BB6_138 Depth=3
	v_cmp_lt_i16_e32 vcc, -1, v0
	v_mov_b32_e32 v0, 0xff800000
	v_mov_b32_e32 v1, 0x7f800000
	v_cndmask_b32_e32 v0, v0, v1, vcc
	v_cmp_eq_u32_e32 vcc, 0, v3
	v_mov_b32_e32 v1, 0x7f800001
	v_cndmask_b32_e32 v2, v1, v0, vcc
; %bb.1636:                             ;   in Loop: Header=BB6_138 Depth=3
	s_or_b64 exec, exec, s[30:31]
.LBB6_1637:                             ;   in Loop: Header=BB6_138 Depth=3
	s_or_b64 exec, exec, s[94:95]
.LBB6_1638:                             ;   in Loop: Header=BB6_138 Depth=3
	s_or_b64 exec, exec, s[26:27]
	v_mul_f32_e32 v2, v14, v2
	v_and_b32_e32 v3, 0x7f800000, v2
	v_mov_b32_e32 v4, v33
	v_cmp_ne_u64_e32 vcc, s[76:77], v[3:4]
	v_and_b32_e32 v0, 0x7fffff, v2
	v_mov_b32_e32 v1, v33
                                        ; implicit-def: $vgpr3
                                        ; kill: killed $vgpr3
	s_and_saveexec_b64 s[26:27], vcc
	s_xor_b64 s[94:95], exec, s[26:27]
	s_cbranch_execz .LBB6_1652
; %bb.1639:                             ;   in Loop: Header=BB6_138 Depth=3
	v_and_b32_e32 v3, 0x7fffffff, v2
	v_mov_b32_e32 v4, v33
	v_cmp_gt_u64_e32 vcc, s[78:79], v[3:4]
	v_and_b32_sdwa v3, v2, s97 dst_sel:DWORD dst_unused:UNUSED_PAD src0_sel:BYTE_3 src1_sel:DWORD
                                        ; implicit-def: $vgpr4
                                        ; kill: killed $vgpr4
	s_and_saveexec_b64 s[26:27], vcc
	s_xor_b64 s[30:31], exec, s[26:27]
	s_cbranch_execz .LBB6_1649
; %bb.1640:                             ;   in Loop: Header=BB6_138 Depth=3
	v_mov_b32_e32 v4, 0
	v_cmp_ne_u32_e32 vcc, 0, v2
	buffer_store_dword v4, off, s[0:3], s33 offset:452 ; 4-byte Folded Spill
	s_and_saveexec_b64 s[34:35], vcc
	s_cbranch_execz .LBB6_1648
; %bb.1641:                             ;   in Loop: Header=BB6_138 Depth=3
	v_bfe_u32 v5, v2, 23, 8
	v_cmp_gt_u32_e64 s[26:27], s47, v5
	v_sub_u32_e32 v2, 0x71, v5
	v_cmp_eq_u32_e32 vcc, 0, v5
	v_cndmask_b32_e64 v2, 0, v2, s[26:27]
	v_mov_b32_e32 v6, 0x70
	v_cndmask_b32_e32 v6, v2, v6, vcc
	v_add_u32_e32 v2, 21, v6
	v_or_b32_e32 v4, 0x800000, v0
	v_lshlrev_b64 v[15:16], v2, -1
	v_cndmask_b32_e32 v0, v4, v0, vcc
	v_add_u32_e32 v2, 20, v6
	v_bfi_b32 v15, v15, 0, v0
	v_lshlrev_b64 v[17:18], v2, 1
	v_lshrrev_b64 v[0:1], v6, v[0:1]
	v_bfi_b32 v16, v16, 0, 0
	v_cmp_eq_u64_e64 s[26:27], v[15:16], v[17:18]
	v_mov_b32_e32 v2, v1
	v_mov_b32_e32 v1, v0
	s_and_saveexec_b64 s[36:37], s[26:27]
; %bb.1642:                             ;   in Loop: Header=BB6_138 Depth=3
	v_bfe_u32 v1, v0, 21, 1
	v_add_co_u32_e64 v1, s[26:27], v0, v1
	v_add_co_u32_e64 v1, s[26:27], -1, v1
; %bb.1643:                             ;   in Loop: Header=BB6_138 Depth=3
	s_or_b64 exec, exec, s[36:37]
	v_add_u32_e32 v2, 0xffffff81, v5
	v_mov_b32_e32 v4, 0xffffff82
	v_cndmask_b32_e32 v2, v2, v4, vcc
	v_lshrrev_b32_e32 v4, 23, v0
	v_add3_u32 v6, v6, v2, v4
	v_add_u32_e32 v5, 14, v6
	v_and_b32_e32 v1, 0x1fffff, v1
	v_add_u32_e32 v0, v1, v0
	v_mov_b32_e32 v1, v33
	v_cmp_ne_u32_e32 vcc, 0, v5
                                        ; implicit-def: $vgpr2
	s_and_saveexec_b64 s[26:27], vcc
	s_xor_b64 s[26:27], exec, s[26:27]
; %bb.1644:                             ;   in Loop: Header=BB6_138 Depth=3
	v_cmp_lt_u64_e32 vcc, s[88:89], v[0:1]
	v_add_u32_e32 v2, 15, v6
	v_cndmask_b32_e64 v4, 0, 1, vcc
	v_lshrrev_b64 v[0:1], v4, v[0:1]
	v_cndmask_b32_e32 v2, v5, v2, vcc
; %bb.1645:                             ;   in Loop: Header=BB6_138 Depth=3
	s_andn2_saveexec_b64 s[26:27], s[26:27]
; %bb.1646:                             ;   in Loop: Header=BB6_138 Depth=3
	v_bfe_u32 v2, v0, 23, 1
; %bb.1647:                             ;   in Loop: Header=BB6_138 Depth=3
	s_or_b64 exec, exec, s[26:27]
	v_lshrrev_b64 v[0:1], 21, v[0:1]
	v_cmp_gt_i32_e32 vcc, 32, v2
	v_cndmask_b32_e32 v1, 0, v1, vcc
	v_cndmask_b32_e32 v0, 3, v0, vcc
	v_cmp_eq_u64_e64 s[26:27], 0, v[0:1]
	v_min_i32_e32 v1, 31, v2
	v_lshlrev_b32_e32 v1, 2, v1
	v_cmp_eq_u32_e32 vcc, 0, v2
	v_and_b32_e32 v1, 0xfc, v1
	v_and_or_b32 v0, v0, 3, v1
	s_and_b64 s[26:27], vcc, s[26:27]
	v_cndmask_b32_e64 v0, v0, 0, s[26:27]
	v_or_b32_e32 v0, v0, v3
	buffer_store_dword v0, off, s[0:3], s33 offset:452 ; 4-byte Folded Spill
.LBB6_1648:                             ;   in Loop: Header=BB6_138 Depth=3
	s_or_b64 exec, exec, s[34:35]
                                        ; implicit-def: $vgpr3
.LBB6_1649:                             ;   in Loop: Header=BB6_138 Depth=3
	s_andn2_saveexec_b64 s[26:27], s[30:31]
	s_cbranch_execz .LBB6_1651
; %bb.1650:                             ;   in Loop: Header=BB6_138 Depth=3
	v_or_b32_e32 v0, 0x7b, v3
	buffer_store_dword v0, off, s[0:3], s33 offset:452 ; 4-byte Folded Spill
.LBB6_1651:                             ;   in Loop: Header=BB6_138 Depth=3
	s_or_b64 exec, exec, s[26:27]
                                        ; implicit-def: $vgpr2
                                        ; implicit-def: $vgpr0_vgpr1
.LBB6_1652:                             ;   in Loop: Header=BB6_138 Depth=3
	s_andn2_saveexec_b64 s[26:27], s[94:95]
	s_cbranch_execz .LBB6_1658
; %bb.1653:                             ;   in Loop: Header=BB6_138 Depth=3
	v_cmp_ne_u64_e32 vcc, 0, v[0:1]
                                        ; implicit-def: $vgpr0
                                        ; kill: killed $vgpr0
	s_and_saveexec_b64 s[62:63], vcc
	s_xor_b64 s[94:95], exec, s[62:63]
	s_cbranch_execz .LBB6_1655
; %bb.1654:                             ;   in Loop: Header=BB6_138 Depth=3
	v_or_b32_sdwa v0, v2, s44 dst_sel:DWORD dst_unused:UNUSED_PAD src0_sel:BYTE_3 src1_sel:DWORD
	buffer_store_dword v0, off, s[0:3], s33 offset:452 ; 4-byte Folded Spill
                                        ; implicit-def: $vgpr2
.LBB6_1655:                             ;   in Loop: Header=BB6_138 Depth=3
	s_andn2_saveexec_b64 s[94:95], s[94:95]
	s_cbranch_execz .LBB6_1657
; %bb.1656:                             ;   in Loop: Header=BB6_138 Depth=3
	v_cmp_lt_i32_e32 vcc, -1, v2
	v_bfrev_b32_e32 v0, 0.5
	v_mov_b32_e32 v1, 0x7c
	v_cndmask_b32_e32 v0, v0, v1, vcc
	buffer_store_dword v0, off, s[0:3], s33 offset:452 ; 4-byte Folded Spill
.LBB6_1657:                             ;   in Loop: Header=BB6_138 Depth=3
	s_or_b64 exec, exec, s[94:95]
.LBB6_1658:                             ;   in Loop: Header=BB6_138 Depth=3
	s_or_b64 exec, exec, s[26:27]
	v_lshrrev_b32_e32 v0, 16, v9
	v_cmp_ne_u16_sdwa s[62:63], v0, v33 src0_sel:BYTE_0 src1_sel:DWORD
	v_mov_b32_e32 v1, 0
	s_and_saveexec_b64 s[26:27], s[62:63]
	s_cbranch_execz .LBB6_1666
; %bb.1659:                             ;   in Loop: Header=BB6_138 Depth=3
	v_cmp_ne_u16_sdwa s[62:63], v0, s97 src0_sel:BYTE_0 src1_sel:DWORD
	v_bfrev_b32_e32 v1, 1
	s_and_saveexec_b64 s[94:95], s[62:63]
	s_cbranch_execz .LBB6_1665
; %bb.1660:                             ;   in Loop: Header=BB6_138 Depth=3
	v_and_b32_e32 v1, 0x7c0000, v9
	v_bfe_u32 v2, v9, 16, 2
	v_cmp_ne_u32_e32 vcc, s45, v1
                                        ; implicit-def: $vgpr1
	s_and_saveexec_b64 s[62:63], vcc
	s_xor_b64 s[30:31], exec, s[62:63]
	s_cbranch_execz .LBB6_1662
; %bb.1661:                             ;   in Loop: Header=BB6_138 Depth=3
	v_ffbh_u32_e32 v1, v2
	v_min_u32_e32 v4, 32, v1
	v_subrev_u32_e32 v1, 29, v4
	v_lshlrev_b64 v[0:1], v1, v[0:1]
	v_bfe_u32 v3, v9, 18, 5
	v_and_b32_e32 v0, 3, v0
	v_cmp_eq_u32_e32 vcc, 0, v3
	v_sub_u32_e32 v1, 30, v4
	v_cndmask_b32_e32 v0, v2, v0, vcc
	v_lshlrev_b32_e32 v2, 8, v9
	v_cndmask_b32_e32 v1, v3, v1, vcc
	v_and_b32_e32 v2, 0x80000000, v2
	v_lshl_add_u32 v1, v1, 23, v2
	v_lshl_or_b32 v0, v0, 21, v1
	v_add_u32_e32 v1, 0x38000000, v0
                                        ; implicit-def: $vgpr2
                                        ; implicit-def: $vgpr0
.LBB6_1662:                             ;   in Loop: Header=BB6_138 Depth=3
	s_andn2_saveexec_b64 s[30:31], s[30:31]
; %bb.1663:                             ;   in Loop: Header=BB6_138 Depth=3
	v_mov_b32_e32 v1, -1
	v_cmp_gt_i16_sdwa vcc, sext(v0), v1 src0_sel:BYTE_0 src1_sel:DWORD
	v_mov_b32_e32 v0, 0xff800000
	v_mov_b32_e32 v1, 0x7f800000
	v_cndmask_b32_e32 v0, v0, v1, vcc
	v_cmp_eq_u32_e32 vcc, 0, v2
	v_mov_b32_e32 v1, 0x7f800001
	v_cndmask_b32_e32 v1, v1, v0, vcc
; %bb.1664:                             ;   in Loop: Header=BB6_138 Depth=3
	s_or_b64 exec, exec, s[30:31]
.LBB6_1665:                             ;   in Loop: Header=BB6_138 Depth=3
	s_or_b64 exec, exec, s[94:95]
.LBB6_1666:                             ;   in Loop: Header=BB6_138 Depth=3
	s_or_b64 exec, exec, s[26:27]
	v_mul_f32_e32 v2, v14, v1
	v_and_b32_e32 v3, 0x7f800000, v2
	v_mov_b32_e32 v4, v33
	v_cmp_ne_u64_e32 vcc, s[76:77], v[3:4]
	v_and_b32_e32 v0, 0x7fffff, v2
	v_mov_b32_e32 v1, v33
                                        ; implicit-def: $vgpr3
                                        ; kill: killed $vgpr3
	s_and_saveexec_b64 s[26:27], vcc
	s_xor_b64 s[94:95], exec, s[26:27]
	s_cbranch_execz .LBB6_1680
; %bb.1667:                             ;   in Loop: Header=BB6_138 Depth=3
	v_and_b32_e32 v3, 0x7fffffff, v2
	v_mov_b32_e32 v4, v33
	v_cmp_gt_u64_e32 vcc, s[78:79], v[3:4]
	v_and_b32_sdwa v3, v2, s97 dst_sel:DWORD dst_unused:UNUSED_PAD src0_sel:BYTE_3 src1_sel:DWORD
                                        ; implicit-def: $vgpr4
                                        ; kill: killed $vgpr4
	s_and_saveexec_b64 s[26:27], vcc
	s_xor_b64 s[30:31], exec, s[26:27]
	s_cbranch_execz .LBB6_1677
; %bb.1668:                             ;   in Loop: Header=BB6_138 Depth=3
	v_mov_b32_e32 v4, 0
	v_cmp_ne_u32_e32 vcc, 0, v2
	buffer_store_dword v4, off, s[0:3], s33 offset:508 ; 4-byte Folded Spill
	s_and_saveexec_b64 s[34:35], vcc
	s_cbranch_execz .LBB6_1676
; %bb.1669:                             ;   in Loop: Header=BB6_138 Depth=3
	v_bfe_u32 v5, v2, 23, 8
	v_cmp_gt_u32_e64 s[26:27], s47, v5
	v_sub_u32_e32 v2, 0x71, v5
	v_cmp_eq_u32_e32 vcc, 0, v5
	v_cndmask_b32_e64 v2, 0, v2, s[26:27]
	v_mov_b32_e32 v6, 0x70
	v_cndmask_b32_e32 v6, v2, v6, vcc
	v_add_u32_e32 v2, 21, v6
	v_or_b32_e32 v4, 0x800000, v0
	v_lshlrev_b64 v[15:16], v2, -1
	v_cndmask_b32_e32 v0, v4, v0, vcc
	v_add_u32_e32 v2, 20, v6
	v_bfi_b32 v15, v15, 0, v0
	v_lshlrev_b64 v[17:18], v2, 1
	v_lshrrev_b64 v[0:1], v6, v[0:1]
	v_bfi_b32 v16, v16, 0, 0
	v_cmp_eq_u64_e64 s[26:27], v[15:16], v[17:18]
	v_mov_b32_e32 v2, v1
	v_mov_b32_e32 v1, v0
	s_and_saveexec_b64 s[36:37], s[26:27]
; %bb.1670:                             ;   in Loop: Header=BB6_138 Depth=3
	v_bfe_u32 v1, v0, 21, 1
	v_add_co_u32_e64 v1, s[26:27], v0, v1
	v_add_co_u32_e64 v1, s[26:27], -1, v1
; %bb.1671:                             ;   in Loop: Header=BB6_138 Depth=3
	s_or_b64 exec, exec, s[36:37]
	v_add_u32_e32 v2, 0xffffff81, v5
	v_mov_b32_e32 v4, 0xffffff82
	v_cndmask_b32_e32 v2, v2, v4, vcc
	v_lshrrev_b32_e32 v4, 23, v0
	v_add3_u32 v6, v6, v2, v4
	v_add_u32_e32 v5, 14, v6
	v_and_b32_e32 v1, 0x1fffff, v1
	v_add_u32_e32 v0, v1, v0
	v_mov_b32_e32 v1, v33
	v_cmp_ne_u32_e32 vcc, 0, v5
                                        ; implicit-def: $vgpr2
	s_and_saveexec_b64 s[26:27], vcc
	s_xor_b64 s[26:27], exec, s[26:27]
; %bb.1672:                             ;   in Loop: Header=BB6_138 Depth=3
	v_cmp_lt_u64_e32 vcc, s[88:89], v[0:1]
	v_add_u32_e32 v2, 15, v6
	v_cndmask_b32_e64 v4, 0, 1, vcc
	v_lshrrev_b64 v[0:1], v4, v[0:1]
	v_cndmask_b32_e32 v2, v5, v2, vcc
; %bb.1673:                             ;   in Loop: Header=BB6_138 Depth=3
	s_andn2_saveexec_b64 s[26:27], s[26:27]
; %bb.1674:                             ;   in Loop: Header=BB6_138 Depth=3
	v_bfe_u32 v2, v0, 23, 1
; %bb.1675:                             ;   in Loop: Header=BB6_138 Depth=3
	s_or_b64 exec, exec, s[26:27]
	v_lshrrev_b64 v[0:1], 21, v[0:1]
	v_cmp_gt_i32_e32 vcc, 32, v2
	v_cndmask_b32_e32 v1, 0, v1, vcc
	v_cndmask_b32_e32 v0, 3, v0, vcc
	v_cmp_eq_u64_e64 s[26:27], 0, v[0:1]
	v_min_i32_e32 v1, 31, v2
	v_lshlrev_b32_e32 v1, 2, v1
	v_cmp_eq_u32_e32 vcc, 0, v2
	v_and_b32_e32 v1, 0xfc, v1
	v_and_or_b32 v0, v0, 3, v1
	s_and_b64 s[26:27], vcc, s[26:27]
	v_cndmask_b32_e64 v0, v0, 0, s[26:27]
	v_or_b32_e32 v0, v0, v3
	buffer_store_dword v0, off, s[0:3], s33 offset:508 ; 4-byte Folded Spill
.LBB6_1676:                             ;   in Loop: Header=BB6_138 Depth=3
	s_or_b64 exec, exec, s[34:35]
                                        ; implicit-def: $vgpr3
.LBB6_1677:                             ;   in Loop: Header=BB6_138 Depth=3
	s_andn2_saveexec_b64 s[26:27], s[30:31]
	s_cbranch_execz .LBB6_1679
; %bb.1678:                             ;   in Loop: Header=BB6_138 Depth=3
	v_or_b32_e32 v0, 0x7b, v3
	buffer_store_dword v0, off, s[0:3], s33 offset:508 ; 4-byte Folded Spill
.LBB6_1679:                             ;   in Loop: Header=BB6_138 Depth=3
	s_or_b64 exec, exec, s[26:27]
                                        ; implicit-def: $vgpr2
                                        ; implicit-def: $vgpr0_vgpr1
.LBB6_1680:                             ;   in Loop: Header=BB6_138 Depth=3
	s_andn2_saveexec_b64 s[26:27], s[94:95]
	s_cbranch_execz .LBB6_1686
; %bb.1681:                             ;   in Loop: Header=BB6_138 Depth=3
	v_cmp_ne_u64_e32 vcc, 0, v[0:1]
                                        ; implicit-def: $vgpr0
                                        ; kill: killed $vgpr0
	s_and_saveexec_b64 s[62:63], vcc
	s_xor_b64 s[94:95], exec, s[62:63]
	s_cbranch_execz .LBB6_1683
; %bb.1682:                             ;   in Loop: Header=BB6_138 Depth=3
	v_or_b32_sdwa v0, v2, s44 dst_sel:DWORD dst_unused:UNUSED_PAD src0_sel:BYTE_3 src1_sel:DWORD
	buffer_store_dword v0, off, s[0:3], s33 offset:508 ; 4-byte Folded Spill
                                        ; implicit-def: $vgpr2
.LBB6_1683:                             ;   in Loop: Header=BB6_138 Depth=3
	s_andn2_saveexec_b64 s[94:95], s[94:95]
	s_cbranch_execz .LBB6_1685
; %bb.1684:                             ;   in Loop: Header=BB6_138 Depth=3
	v_cmp_lt_i32_e32 vcc, -1, v2
	v_bfrev_b32_e32 v0, 0.5
	v_mov_b32_e32 v1, 0x7c
	v_cndmask_b32_e32 v0, v0, v1, vcc
	buffer_store_dword v0, off, s[0:3], s33 offset:508 ; 4-byte Folded Spill
.LBB6_1685:                             ;   in Loop: Header=BB6_138 Depth=3
	s_or_b64 exec, exec, s[94:95]
.LBB6_1686:                             ;   in Loop: Header=BB6_138 Depth=3
	s_or_b64 exec, exec, s[26:27]
	v_cmp_lt_u64_e32 vcc, s[56:57], v[8:9]
	v_mov_b32_e32 v1, 0
	s_and_saveexec_b64 s[26:27], vcc
	s_cbranch_execz .LBB6_1694
; %bb.1687:                             ;   in Loop: Header=BB6_138 Depth=3
	v_lshrrev_b32_e32 v0, 24, v9
	v_cmp_ne_u32_e32 vcc, s97, v0
	v_bfrev_b32_e32 v1, 1
	s_and_saveexec_b64 s[94:95], vcc
	s_cbranch_execz .LBB6_1693
; %bb.1688:                             ;   in Loop: Header=BB6_138 Depth=3
	v_and_b32_e32 v1, 0x7c000000, v9
	v_bfe_u32 v2, v9, 24, 2
	v_cmp_ne_u32_e32 vcc, s68, v1
                                        ; implicit-def: $vgpr1
	s_and_saveexec_b64 s[62:63], vcc
	s_xor_b64 s[30:31], exec, s[62:63]
	s_cbranch_execz .LBB6_1690
; %bb.1689:                             ;   in Loop: Header=BB6_138 Depth=3
	v_ffbh_u32_e32 v1, v2
	v_min_u32_e32 v4, 32, v1
	v_subrev_u32_e32 v1, 29, v4
	v_lshlrev_b64 v[0:1], v1, v[0:1]
	v_bfe_u32 v3, v9, 26, 5
	v_sub_u32_e32 v1, 30, v4
	v_and_b32_e32 v0, 3, v0
	v_cmp_eq_u32_e32 vcc, 0, v3
	v_cndmask_b32_e32 v1, v3, v1, vcc
	v_cndmask_b32_e32 v0, v2, v0, vcc
	v_and_b32_e32 v2, 0x80000000, v9
	v_lshl_add_u32 v1, v1, 23, v2
	v_lshl_or_b32 v0, v0, 21, v1
	v_add_u32_e32 v1, 0x38000000, v0
                                        ; implicit-def: $vgpr2
.LBB6_1690:                             ;   in Loop: Header=BB6_138 Depth=3
	s_andn2_saveexec_b64 s[30:31], s[30:31]
; %bb.1691:                             ;   in Loop: Header=BB6_138 Depth=3
	v_cmp_lt_i64_e32 vcc, -1, v[8:9]
	v_mov_b32_e32 v0, 0xff800000
	v_mov_b32_e32 v1, 0x7f800000
	v_cndmask_b32_e32 v0, v0, v1, vcc
	v_cmp_eq_u32_e32 vcc, 0, v2
	v_mov_b32_e32 v1, 0x7f800001
	v_cndmask_b32_e32 v1, v1, v0, vcc
; %bb.1692:                             ;   in Loop: Header=BB6_138 Depth=3
	s_or_b64 exec, exec, s[30:31]
.LBB6_1693:                             ;   in Loop: Header=BB6_138 Depth=3
	s_or_b64 exec, exec, s[94:95]
.LBB6_1694:                             ;   in Loop: Header=BB6_138 Depth=3
	s_or_b64 exec, exec, s[26:27]
	v_mul_f32_e32 v2, v14, v1
	v_and_b32_e32 v3, 0x7f800000, v2
	v_mov_b32_e32 v4, v33
	v_cmp_ne_u64_e32 vcc, s[76:77], v[3:4]
	v_and_b32_e32 v0, 0x7fffff, v2
	v_mov_b32_e32 v1, v33
                                        ; implicit-def: $vgpr3
                                        ; kill: killed $vgpr3
	s_and_saveexec_b64 s[26:27], vcc
	s_xor_b64 s[94:95], exec, s[26:27]
	s_cbranch_execz .LBB6_1708
; %bb.1695:                             ;   in Loop: Header=BB6_138 Depth=3
	v_and_b32_e32 v3, 0x7fffffff, v2
	v_mov_b32_e32 v4, v33
	v_cmp_gt_u64_e32 vcc, s[78:79], v[3:4]
	v_and_b32_sdwa v3, v2, s97 dst_sel:DWORD dst_unused:UNUSED_PAD src0_sel:BYTE_3 src1_sel:DWORD
                                        ; implicit-def: $vgpr4
                                        ; kill: killed $vgpr4
	s_and_saveexec_b64 s[26:27], vcc
	s_xor_b64 s[30:31], exec, s[26:27]
	s_cbranch_execz .LBB6_1705
; %bb.1696:                             ;   in Loop: Header=BB6_138 Depth=3
	v_mov_b32_e32 v4, 0
	v_cmp_ne_u32_e32 vcc, 0, v2
	buffer_store_dword v4, off, s[0:3], s33 offset:516 ; 4-byte Folded Spill
	s_and_saveexec_b64 s[34:35], vcc
	s_cbranch_execz .LBB6_1704
; %bb.1697:                             ;   in Loop: Header=BB6_138 Depth=3
	v_bfe_u32 v5, v2, 23, 8
	v_cmp_gt_u32_e64 s[26:27], s47, v5
	v_sub_u32_e32 v2, 0x71, v5
	v_cmp_eq_u32_e32 vcc, 0, v5
	v_cndmask_b32_e64 v2, 0, v2, s[26:27]
	v_mov_b32_e32 v6, 0x70
	v_cndmask_b32_e32 v6, v2, v6, vcc
	v_add_u32_e32 v2, 21, v6
	v_or_b32_e32 v4, 0x800000, v0
	v_lshlrev_b64 v[7:8], v2, -1
	v_cndmask_b32_e32 v0, v4, v0, vcc
	v_add_u32_e32 v2, 20, v6
	v_bfi_b32 v7, v7, 0, v0
	v_lshlrev_b64 v[15:16], v2, 1
	v_lshrrev_b64 v[0:1], v6, v[0:1]
	v_bfi_b32 v8, v8, 0, 0
	v_cmp_eq_u64_e64 s[26:27], v[7:8], v[15:16]
	v_mov_b32_e32 v2, v1
	v_mov_b32_e32 v1, v0
	s_and_saveexec_b64 s[36:37], s[26:27]
; %bb.1698:                             ;   in Loop: Header=BB6_138 Depth=3
	v_bfe_u32 v1, v0, 21, 1
	v_add_co_u32_e64 v1, s[26:27], v0, v1
	v_add_co_u32_e64 v1, s[26:27], -1, v1
; %bb.1699:                             ;   in Loop: Header=BB6_138 Depth=3
	s_or_b64 exec, exec, s[36:37]
	v_add_u32_e32 v2, 0xffffff81, v5
	v_mov_b32_e32 v4, 0xffffff82
	v_cndmask_b32_e32 v2, v2, v4, vcc
	v_lshrrev_b32_e32 v4, 23, v0
	v_add3_u32 v6, v6, v2, v4
	v_add_u32_e32 v5, 14, v6
	v_and_b32_e32 v1, 0x1fffff, v1
	v_add_u32_e32 v0, v1, v0
	v_mov_b32_e32 v1, v33
	v_cmp_ne_u32_e32 vcc, 0, v5
                                        ; implicit-def: $vgpr2
	s_and_saveexec_b64 s[26:27], vcc
	s_xor_b64 s[26:27], exec, s[26:27]
; %bb.1700:                             ;   in Loop: Header=BB6_138 Depth=3
	v_cmp_lt_u64_e32 vcc, s[88:89], v[0:1]
	v_add_u32_e32 v2, 15, v6
	v_cndmask_b32_e64 v4, 0, 1, vcc
	v_lshrrev_b64 v[0:1], v4, v[0:1]
	v_cndmask_b32_e32 v2, v5, v2, vcc
; %bb.1701:                             ;   in Loop: Header=BB6_138 Depth=3
	s_andn2_saveexec_b64 s[26:27], s[26:27]
; %bb.1702:                             ;   in Loop: Header=BB6_138 Depth=3
	v_bfe_u32 v2, v0, 23, 1
; %bb.1703:                             ;   in Loop: Header=BB6_138 Depth=3
	s_or_b64 exec, exec, s[26:27]
	v_lshrrev_b64 v[0:1], 21, v[0:1]
	v_cmp_gt_i32_e32 vcc, 32, v2
	v_cndmask_b32_e32 v1, 0, v1, vcc
	v_cndmask_b32_e32 v0, 3, v0, vcc
	v_cmp_eq_u64_e64 s[26:27], 0, v[0:1]
	v_min_i32_e32 v1, 31, v2
	v_lshlrev_b32_e32 v1, 2, v1
	v_cmp_eq_u32_e32 vcc, 0, v2
	v_and_b32_e32 v1, 0xfc, v1
	v_and_or_b32 v0, v0, 3, v1
	s_and_b64 s[26:27], vcc, s[26:27]
	v_cndmask_b32_e64 v0, v0, 0, s[26:27]
	v_or_b32_e32 v0, v0, v3
	buffer_store_dword v0, off, s[0:3], s33 offset:516 ; 4-byte Folded Spill
.LBB6_1704:                             ;   in Loop: Header=BB6_138 Depth=3
	s_or_b64 exec, exec, s[34:35]
                                        ; implicit-def: $vgpr3
.LBB6_1705:                             ;   in Loop: Header=BB6_138 Depth=3
	s_andn2_saveexec_b64 s[26:27], s[30:31]
	s_cbranch_execz .LBB6_1707
; %bb.1706:                             ;   in Loop: Header=BB6_138 Depth=3
	v_or_b32_e32 v0, 0x7b, v3
	buffer_store_dword v0, off, s[0:3], s33 offset:516 ; 4-byte Folded Spill
.LBB6_1707:                             ;   in Loop: Header=BB6_138 Depth=3
	s_or_b64 exec, exec, s[26:27]
                                        ; implicit-def: $vgpr2
                                        ; implicit-def: $vgpr0_vgpr1
.LBB6_1708:                             ;   in Loop: Header=BB6_138 Depth=3
	s_andn2_saveexec_b64 s[26:27], s[94:95]
	s_cbranch_execz .LBB6_1714
; %bb.1709:                             ;   in Loop: Header=BB6_138 Depth=3
	v_cmp_ne_u64_e32 vcc, 0, v[0:1]
                                        ; implicit-def: $vgpr0
                                        ; kill: killed $vgpr0
	s_and_saveexec_b64 s[62:63], vcc
	s_xor_b64 s[94:95], exec, s[62:63]
	s_cbranch_execz .LBB6_1711
; %bb.1710:                             ;   in Loop: Header=BB6_138 Depth=3
	v_or_b32_sdwa v0, v2, s44 dst_sel:DWORD dst_unused:UNUSED_PAD src0_sel:BYTE_3 src1_sel:DWORD
	buffer_store_dword v0, off, s[0:3], s33 offset:516 ; 4-byte Folded Spill
                                        ; implicit-def: $vgpr2
.LBB6_1711:                             ;   in Loop: Header=BB6_138 Depth=3
	s_andn2_saveexec_b64 s[94:95], s[94:95]
	s_cbranch_execz .LBB6_1713
; %bb.1712:                             ;   in Loop: Header=BB6_138 Depth=3
	v_cmp_lt_i32_e32 vcc, -1, v2
	v_bfrev_b32_e32 v0, 0.5
	v_mov_b32_e32 v1, 0x7c
	v_cndmask_b32_e32 v0, v0, v1, vcc
	buffer_store_dword v0, off, s[0:3], s33 offset:516 ; 4-byte Folded Spill
.LBB6_1713:                             ;   in Loop: Header=BB6_138 Depth=3
	s_or_b64 exec, exec, s[94:95]
.LBB6_1714:                             ;   in Loop: Header=BB6_138 Depth=3
	s_or_b64 exec, exec, s[26:27]
	v_cmp_ne_u16_sdwa s[62:63], v10, v33 src0_sel:BYTE_0 src1_sel:DWORD
	v_mov_b32_e32 v0, 0
	s_and_saveexec_b64 s[26:27], s[62:63]
	s_cbranch_execz .LBB6_1722
; %bb.1715:                             ;   in Loop: Header=BB6_138 Depth=3
	v_cmp_ne_u16_sdwa s[62:63], sext(v10), s46 src0_sel:BYTE_0 src1_sel:DWORD
	v_bfrev_b32_e32 v0, 1
	s_and_saveexec_b64 s[94:95], s[62:63]
	s_cbranch_execz .LBB6_1721
; %bb.1716:                             ;   in Loop: Header=BB6_138 Depth=3
	v_and_b32_e32 v0, 0x7c, v10
	v_and_b32_e32 v1, 3, v10
	v_cmp_ne_u32_e32 vcc, s86, v0
                                        ; implicit-def: $vgpr0
	s_and_saveexec_b64 s[62:63], vcc
	s_xor_b64 s[30:31], exec, s[62:63]
	s_cbranch_execz .LBB6_1718
; %bb.1717:                             ;   in Loop: Header=BB6_138 Depth=3
	v_ffbh_u32_e32 v2, v1
	v_min_u32_e32 v4, 32, v2
	v_subrev_u32_e32 v2, 29, v4
	v_lshlrev_b64 v[2:3], v2, v[10:11]
	v_bfe_u32 v0, v10, 2, 5
	v_and_b32_e32 v2, 3, v2
	v_cmp_eq_u32_e32 vcc, 0, v0
	v_sub_u32_e32 v3, 30, v4
	v_cndmask_b32_e32 v1, v1, v2, vcc
	v_lshlrev_b32_e32 v2, 24, v10
	v_cndmask_b32_e32 v0, v0, v3, vcc
	v_and_b32_e32 v2, 0x80000000, v2
	v_lshl_add_u32 v0, v0, 23, v2
	v_lshl_or_b32 v0, v1, 21, v0
	v_add_u32_e32 v0, 0x38000000, v0
                                        ; implicit-def: $vgpr1
.LBB6_1718:                             ;   in Loop: Header=BB6_138 Depth=3
	s_andn2_saveexec_b64 s[30:31], s[30:31]
; %bb.1719:                             ;   in Loop: Header=BB6_138 Depth=3
	v_mov_b32_e32 v0, -1
	v_cmp_gt_i16_sdwa vcc, sext(v10), v0 src0_sel:BYTE_0 src1_sel:DWORD
	v_mov_b32_e32 v0, 0xff800000
	v_mov_b32_e32 v2, 0x7f800000
	v_cndmask_b32_e32 v0, v0, v2, vcc
	v_cmp_eq_u32_e32 vcc, 0, v1
	v_mov_b32_e32 v1, 0x7f800001
	v_cndmask_b32_e32 v0, v1, v0, vcc
; %bb.1720:                             ;   in Loop: Header=BB6_138 Depth=3
	s_or_b64 exec, exec, s[30:31]
.LBB6_1721:                             ;   in Loop: Header=BB6_138 Depth=3
	s_or_b64 exec, exec, s[94:95]
.LBB6_1722:                             ;   in Loop: Header=BB6_138 Depth=3
	s_or_b64 exec, exec, s[26:27]
	v_mul_f32_e32 v2, v14, v0
	v_and_b32_e32 v3, 0x7f800000, v2
	v_mov_b32_e32 v4, v33
	v_cmp_ne_u64_e32 vcc, s[76:77], v[3:4]
	v_and_b32_e32 v0, 0x7fffff, v2
	v_mov_b32_e32 v1, v33
                                        ; implicit-def: $vgpr3
                                        ; kill: killed $vgpr3
	s_and_saveexec_b64 s[26:27], vcc
	s_xor_b64 s[94:95], exec, s[26:27]
	s_cbranch_execz .LBB6_1736
; %bb.1723:                             ;   in Loop: Header=BB6_138 Depth=3
	v_and_b32_e32 v3, 0x7fffffff, v2
	v_mov_b32_e32 v4, v33
	v_cmp_gt_u64_e32 vcc, s[78:79], v[3:4]
	v_and_b32_sdwa v3, v2, s97 dst_sel:DWORD dst_unused:UNUSED_PAD src0_sel:BYTE_3 src1_sel:DWORD
                                        ; implicit-def: $vgpr4
                                        ; kill: killed $vgpr4
	s_and_saveexec_b64 s[26:27], vcc
	s_xor_b64 s[30:31], exec, s[26:27]
	s_cbranch_execz .LBB6_1733
; %bb.1724:                             ;   in Loop: Header=BB6_138 Depth=3
	v_mov_b32_e32 v4, 0
	v_cmp_ne_u32_e32 vcc, 0, v2
	buffer_store_dword v4, off, s[0:3], s33 offset:532 ; 4-byte Folded Spill
	s_and_saveexec_b64 s[34:35], vcc
	s_cbranch_execz .LBB6_1732
; %bb.1725:                             ;   in Loop: Header=BB6_138 Depth=3
	v_bfe_u32 v5, v2, 23, 8
	v_cmp_gt_u32_e64 s[26:27], s47, v5
	v_sub_u32_e32 v2, 0x71, v5
	v_cmp_eq_u32_e32 vcc, 0, v5
	v_cndmask_b32_e64 v2, 0, v2, s[26:27]
	v_mov_b32_e32 v6, 0x70
	v_cndmask_b32_e32 v6, v2, v6, vcc
	v_add_u32_e32 v2, 21, v6
	v_or_b32_e32 v4, 0x800000, v0
	v_lshlrev_b64 v[7:8], v2, -1
	v_cndmask_b32_e32 v0, v4, v0, vcc
	v_add_u32_e32 v2, 20, v6
	v_bfi_b32 v7, v7, 0, v0
	v_lshlrev_b64 v[15:16], v2, 1
	v_lshrrev_b64 v[0:1], v6, v[0:1]
	v_bfi_b32 v8, v8, 0, 0
	v_cmp_eq_u64_e64 s[26:27], v[7:8], v[15:16]
	v_mov_b32_e32 v2, v1
	v_mov_b32_e32 v1, v0
	s_and_saveexec_b64 s[36:37], s[26:27]
; %bb.1726:                             ;   in Loop: Header=BB6_138 Depth=3
	v_bfe_u32 v1, v0, 21, 1
	v_add_co_u32_e64 v1, s[26:27], v0, v1
	v_add_co_u32_e64 v1, s[26:27], -1, v1
; %bb.1727:                             ;   in Loop: Header=BB6_138 Depth=3
	s_or_b64 exec, exec, s[36:37]
	v_add_u32_e32 v2, 0xffffff81, v5
	v_mov_b32_e32 v4, 0xffffff82
	v_cndmask_b32_e32 v2, v2, v4, vcc
	v_lshrrev_b32_e32 v4, 23, v0
	v_add3_u32 v6, v6, v2, v4
	v_add_u32_e32 v5, 14, v6
	v_and_b32_e32 v1, 0x1fffff, v1
	v_add_u32_e32 v0, v1, v0
	v_mov_b32_e32 v1, v33
	v_cmp_ne_u32_e32 vcc, 0, v5
                                        ; implicit-def: $vgpr2
	s_and_saveexec_b64 s[26:27], vcc
	s_xor_b64 s[26:27], exec, s[26:27]
; %bb.1728:                             ;   in Loop: Header=BB6_138 Depth=3
	v_cmp_lt_u64_e32 vcc, s[88:89], v[0:1]
	v_add_u32_e32 v2, 15, v6
	v_cndmask_b32_e64 v4, 0, 1, vcc
	v_lshrrev_b64 v[0:1], v4, v[0:1]
	v_cndmask_b32_e32 v2, v5, v2, vcc
; %bb.1729:                             ;   in Loop: Header=BB6_138 Depth=3
	s_andn2_saveexec_b64 s[26:27], s[26:27]
; %bb.1730:                             ;   in Loop: Header=BB6_138 Depth=3
	v_bfe_u32 v2, v0, 23, 1
; %bb.1731:                             ;   in Loop: Header=BB6_138 Depth=3
	s_or_b64 exec, exec, s[26:27]
	v_lshrrev_b64 v[0:1], 21, v[0:1]
	v_cmp_gt_i32_e32 vcc, 32, v2
	v_cndmask_b32_e32 v1, 0, v1, vcc
	v_cndmask_b32_e32 v0, 3, v0, vcc
	v_cmp_eq_u64_e64 s[26:27], 0, v[0:1]
	v_min_i32_e32 v1, 31, v2
	v_lshlrev_b32_e32 v1, 2, v1
	v_cmp_eq_u32_e32 vcc, 0, v2
	v_and_b32_e32 v1, 0xfc, v1
	v_and_or_b32 v0, v0, 3, v1
	s_and_b64 s[26:27], vcc, s[26:27]
	v_cndmask_b32_e64 v0, v0, 0, s[26:27]
	v_or_b32_e32 v0, v0, v3
	buffer_store_dword v0, off, s[0:3], s33 offset:532 ; 4-byte Folded Spill
.LBB6_1732:                             ;   in Loop: Header=BB6_138 Depth=3
	s_or_b64 exec, exec, s[34:35]
                                        ; implicit-def: $vgpr3
.LBB6_1733:                             ;   in Loop: Header=BB6_138 Depth=3
	s_andn2_saveexec_b64 s[26:27], s[30:31]
	s_cbranch_execz .LBB6_1735
; %bb.1734:                             ;   in Loop: Header=BB6_138 Depth=3
	v_or_b32_e32 v0, 0x7b, v3
	buffer_store_dword v0, off, s[0:3], s33 offset:532 ; 4-byte Folded Spill
.LBB6_1735:                             ;   in Loop: Header=BB6_138 Depth=3
	s_or_b64 exec, exec, s[26:27]
                                        ; implicit-def: $vgpr2
                                        ; implicit-def: $vgpr0_vgpr1
.LBB6_1736:                             ;   in Loop: Header=BB6_138 Depth=3
	s_andn2_saveexec_b64 s[26:27], s[94:95]
	s_cbranch_execz .LBB6_1742
; %bb.1737:                             ;   in Loop: Header=BB6_138 Depth=3
	v_cmp_ne_u64_e32 vcc, 0, v[0:1]
                                        ; implicit-def: $vgpr0
                                        ; kill: killed $vgpr0
	s_and_saveexec_b64 s[62:63], vcc
	s_xor_b64 s[94:95], exec, s[62:63]
	s_cbranch_execz .LBB6_1739
; %bb.1738:                             ;   in Loop: Header=BB6_138 Depth=3
	v_or_b32_sdwa v0, v2, s44 dst_sel:DWORD dst_unused:UNUSED_PAD src0_sel:BYTE_3 src1_sel:DWORD
	buffer_store_dword v0, off, s[0:3], s33 offset:532 ; 4-byte Folded Spill
                                        ; implicit-def: $vgpr2
.LBB6_1739:                             ;   in Loop: Header=BB6_138 Depth=3
	s_andn2_saveexec_b64 s[94:95], s[94:95]
	s_cbranch_execz .LBB6_1741
; %bb.1740:                             ;   in Loop: Header=BB6_138 Depth=3
	v_cmp_lt_i32_e32 vcc, -1, v2
	v_bfrev_b32_e32 v0, 0.5
	v_mov_b32_e32 v1, 0x7c
	v_cndmask_b32_e32 v0, v0, v1, vcc
	buffer_store_dword v0, off, s[0:3], s33 offset:532 ; 4-byte Folded Spill
.LBB6_1741:                             ;   in Loop: Header=BB6_138 Depth=3
	s_or_b64 exec, exec, s[94:95]
.LBB6_1742:                             ;   in Loop: Header=BB6_138 Depth=3
	s_or_b64 exec, exec, s[26:27]
	v_lshrrev_b16_e32 v0, 8, v10
	v_cmp_ne_u16_e32 vcc, 0, v0
	v_mov_b32_e32 v1, 0
	s_and_saveexec_b64 s[26:27], vcc
	s_cbranch_execz .LBB6_1750
; %bb.1743:                             ;   in Loop: Header=BB6_138 Depth=3
	v_cmp_ne_u16_e32 vcc, s97, v0
	v_bfrev_b32_e32 v1, 1
	s_and_saveexec_b64 s[94:95], vcc
	s_cbranch_execz .LBB6_1749
; %bb.1744:                             ;   in Loop: Header=BB6_138 Depth=3
	v_and_b32_e32 v1, 0x7c, v0
	v_and_b32_e32 v2, 3, v0
	v_cmp_ne_u32_e32 vcc, s86, v1
                                        ; implicit-def: $vgpr1
	s_and_saveexec_b64 s[62:63], vcc
	s_xor_b64 s[30:31], exec, s[62:63]
	s_cbranch_execz .LBB6_1746
; %bb.1745:                             ;   in Loop: Header=BB6_138 Depth=3
	v_ffbh_u32_e32 v4, v2
	v_min_u32_e32 v4, 32, v4
	v_mov_b32_e32 v1, v33
	v_subrev_u32_e32 v5, 29, v4
	v_bfe_u32 v3, v0, 2, 5
	v_lshlrev_b64 v[0:1], v5, v[0:1]
	v_cmp_eq_u32_e32 vcc, 0, v3
	v_and_b32_e32 v0, 3, v0
	v_sub_u32_e32 v1, 30, v4
	v_cndmask_b32_e32 v0, v2, v0, vcc
	v_lshlrev_b32_e32 v2, 16, v10
	v_cndmask_b32_e32 v1, v3, v1, vcc
	v_and_b32_e32 v2, 0x80000000, v2
	v_lshl_add_u32 v1, v1, 23, v2
	v_lshl_or_b32 v0, v0, 21, v1
	v_add_u32_e32 v1, 0x38000000, v0
                                        ; implicit-def: $vgpr2
.LBB6_1746:                             ;   in Loop: Header=BB6_138 Depth=3
	s_andn2_saveexec_b64 s[30:31], s[30:31]
; %bb.1747:                             ;   in Loop: Header=BB6_138 Depth=3
	v_cmp_lt_i16_e32 vcc, -1, v10
	v_mov_b32_e32 v0, 0xff800000
	v_mov_b32_e32 v1, 0x7f800000
	v_cndmask_b32_e32 v0, v0, v1, vcc
	v_cmp_eq_u32_e32 vcc, 0, v2
	v_mov_b32_e32 v1, 0x7f800001
	v_cndmask_b32_e32 v1, v1, v0, vcc
; %bb.1748:                             ;   in Loop: Header=BB6_138 Depth=3
	s_or_b64 exec, exec, s[30:31]
.LBB6_1749:                             ;   in Loop: Header=BB6_138 Depth=3
	s_or_b64 exec, exec, s[94:95]
.LBB6_1750:                             ;   in Loop: Header=BB6_138 Depth=3
	s_or_b64 exec, exec, s[26:27]
	v_mul_f32_e32 v2, v14, v1
	v_and_b32_e32 v3, 0x7f800000, v2
	v_mov_b32_e32 v4, v33
	v_cmp_ne_u64_e32 vcc, s[76:77], v[3:4]
	v_and_b32_e32 v0, 0x7fffff, v2
	v_mov_b32_e32 v1, v33
                                        ; implicit-def: $vgpr3
                                        ; kill: killed $vgpr3
	s_and_saveexec_b64 s[26:27], vcc
	s_xor_b64 s[94:95], exec, s[26:27]
	s_cbranch_execz .LBB6_1764
; %bb.1751:                             ;   in Loop: Header=BB6_138 Depth=3
	v_and_b32_e32 v3, 0x7fffffff, v2
	v_mov_b32_e32 v4, v33
	v_cmp_gt_u64_e32 vcc, s[78:79], v[3:4]
	v_and_b32_sdwa v3, v2, s97 dst_sel:DWORD dst_unused:UNUSED_PAD src0_sel:BYTE_3 src1_sel:DWORD
                                        ; implicit-def: $vgpr4
                                        ; kill: killed $vgpr4
	s_and_saveexec_b64 s[26:27], vcc
	s_xor_b64 s[30:31], exec, s[26:27]
	s_cbranch_execz .LBB6_1761
; %bb.1752:                             ;   in Loop: Header=BB6_138 Depth=3
	v_mov_b32_e32 v4, 0
	v_cmp_ne_u32_e32 vcc, 0, v2
	buffer_store_dword v4, off, s[0:3], s33 offset:540 ; 4-byte Folded Spill
	s_and_saveexec_b64 s[34:35], vcc
	s_cbranch_execz .LBB6_1760
; %bb.1753:                             ;   in Loop: Header=BB6_138 Depth=3
	v_bfe_u32 v5, v2, 23, 8
	v_cmp_gt_u32_e64 s[26:27], s47, v5
	v_sub_u32_e32 v2, 0x71, v5
	v_cmp_eq_u32_e32 vcc, 0, v5
	v_cndmask_b32_e64 v2, 0, v2, s[26:27]
	v_mov_b32_e32 v6, 0x70
	v_cndmask_b32_e32 v6, v2, v6, vcc
	v_add_u32_e32 v2, 21, v6
	v_or_b32_e32 v4, 0x800000, v0
	v_lshlrev_b64 v[7:8], v2, -1
	v_cndmask_b32_e32 v0, v4, v0, vcc
	v_add_u32_e32 v2, 20, v6
	v_bfi_b32 v7, v7, 0, v0
	v_lshlrev_b64 v[15:16], v2, 1
	v_lshrrev_b64 v[0:1], v6, v[0:1]
	v_bfi_b32 v8, v8, 0, 0
	v_cmp_eq_u64_e64 s[26:27], v[7:8], v[15:16]
	v_mov_b32_e32 v2, v1
	v_mov_b32_e32 v1, v0
	s_and_saveexec_b64 s[36:37], s[26:27]
; %bb.1754:                             ;   in Loop: Header=BB6_138 Depth=3
	v_bfe_u32 v1, v0, 21, 1
	v_add_co_u32_e64 v1, s[26:27], v0, v1
	v_add_co_u32_e64 v1, s[26:27], -1, v1
; %bb.1755:                             ;   in Loop: Header=BB6_138 Depth=3
	s_or_b64 exec, exec, s[36:37]
	v_add_u32_e32 v2, 0xffffff81, v5
	v_mov_b32_e32 v4, 0xffffff82
	v_cndmask_b32_e32 v2, v2, v4, vcc
	v_lshrrev_b32_e32 v4, 23, v0
	v_add3_u32 v6, v6, v2, v4
	v_add_u32_e32 v5, 14, v6
	v_and_b32_e32 v1, 0x1fffff, v1
	v_add_u32_e32 v0, v1, v0
	v_mov_b32_e32 v1, v33
	v_cmp_ne_u32_e32 vcc, 0, v5
                                        ; implicit-def: $vgpr2
	s_and_saveexec_b64 s[26:27], vcc
	s_xor_b64 s[26:27], exec, s[26:27]
; %bb.1756:                             ;   in Loop: Header=BB6_138 Depth=3
	v_cmp_lt_u64_e32 vcc, s[88:89], v[0:1]
	v_add_u32_e32 v2, 15, v6
	v_cndmask_b32_e64 v4, 0, 1, vcc
	v_lshrrev_b64 v[0:1], v4, v[0:1]
	v_cndmask_b32_e32 v2, v5, v2, vcc
; %bb.1757:                             ;   in Loop: Header=BB6_138 Depth=3
	s_andn2_saveexec_b64 s[26:27], s[26:27]
; %bb.1758:                             ;   in Loop: Header=BB6_138 Depth=3
	v_bfe_u32 v2, v0, 23, 1
; %bb.1759:                             ;   in Loop: Header=BB6_138 Depth=3
	s_or_b64 exec, exec, s[26:27]
	v_lshrrev_b64 v[0:1], 21, v[0:1]
	v_cmp_gt_i32_e32 vcc, 32, v2
	v_cndmask_b32_e32 v1, 0, v1, vcc
	v_cndmask_b32_e32 v0, 3, v0, vcc
	v_cmp_eq_u64_e64 s[26:27], 0, v[0:1]
	v_min_i32_e32 v1, 31, v2
	v_lshlrev_b32_e32 v1, 2, v1
	v_cmp_eq_u32_e32 vcc, 0, v2
	v_and_b32_e32 v1, 0xfc, v1
	v_and_or_b32 v0, v0, 3, v1
	s_and_b64 s[26:27], vcc, s[26:27]
	v_cndmask_b32_e64 v0, v0, 0, s[26:27]
	v_or_b32_e32 v0, v0, v3
	buffer_store_dword v0, off, s[0:3], s33 offset:540 ; 4-byte Folded Spill
.LBB6_1760:                             ;   in Loop: Header=BB6_138 Depth=3
	s_or_b64 exec, exec, s[34:35]
                                        ; implicit-def: $vgpr3
.LBB6_1761:                             ;   in Loop: Header=BB6_138 Depth=3
	s_andn2_saveexec_b64 s[26:27], s[30:31]
	s_cbranch_execz .LBB6_1763
; %bb.1762:                             ;   in Loop: Header=BB6_138 Depth=3
	v_or_b32_e32 v0, 0x7b, v3
	buffer_store_dword v0, off, s[0:3], s33 offset:540 ; 4-byte Folded Spill
.LBB6_1763:                             ;   in Loop: Header=BB6_138 Depth=3
	s_or_b64 exec, exec, s[26:27]
                                        ; implicit-def: $vgpr2
                                        ; implicit-def: $vgpr0_vgpr1
.LBB6_1764:                             ;   in Loop: Header=BB6_138 Depth=3
	s_andn2_saveexec_b64 s[26:27], s[94:95]
	s_cbranch_execz .LBB6_1770
; %bb.1765:                             ;   in Loop: Header=BB6_138 Depth=3
	v_cmp_ne_u64_e32 vcc, 0, v[0:1]
                                        ; implicit-def: $vgpr0
                                        ; kill: killed $vgpr0
	s_and_saveexec_b64 s[62:63], vcc
	s_xor_b64 s[94:95], exec, s[62:63]
	s_cbranch_execz .LBB6_1767
; %bb.1766:                             ;   in Loop: Header=BB6_138 Depth=3
	v_or_b32_sdwa v0, v2, s44 dst_sel:DWORD dst_unused:UNUSED_PAD src0_sel:BYTE_3 src1_sel:DWORD
	buffer_store_dword v0, off, s[0:3], s33 offset:540 ; 4-byte Folded Spill
                                        ; implicit-def: $vgpr2
.LBB6_1767:                             ;   in Loop: Header=BB6_138 Depth=3
	s_andn2_saveexec_b64 s[94:95], s[94:95]
	s_cbranch_execz .LBB6_1769
; %bb.1768:                             ;   in Loop: Header=BB6_138 Depth=3
	v_cmp_lt_i32_e32 vcc, -1, v2
	v_bfrev_b32_e32 v0, 0.5
	v_mov_b32_e32 v1, 0x7c
	v_cndmask_b32_e32 v0, v0, v1, vcc
	buffer_store_dword v0, off, s[0:3], s33 offset:540 ; 4-byte Folded Spill
.LBB6_1769:                             ;   in Loop: Header=BB6_138 Depth=3
	s_or_b64 exec, exec, s[94:95]
.LBB6_1770:                             ;   in Loop: Header=BB6_138 Depth=3
	s_or_b64 exec, exec, s[26:27]
	v_lshrrev_b32_e32 v0, 16, v10
	v_cmp_ne_u16_sdwa s[62:63], v0, v33 src0_sel:BYTE_0 src1_sel:DWORD
	v_mov_b32_e32 v1, 0
	s_and_saveexec_b64 s[26:27], s[62:63]
	s_cbranch_execz .LBB6_1778
; %bb.1771:                             ;   in Loop: Header=BB6_138 Depth=3
	v_cmp_ne_u16_sdwa s[62:63], v0, s97 src0_sel:BYTE_0 src1_sel:DWORD
	v_bfrev_b32_e32 v1, 1
	s_and_saveexec_b64 s[94:95], s[62:63]
	s_cbranch_execz .LBB6_1777
; %bb.1772:                             ;   in Loop: Header=BB6_138 Depth=3
	v_and_b32_e32 v1, 0x7c0000, v10
	v_bfe_u32 v2, v10, 16, 2
	v_cmp_ne_u32_e32 vcc, s45, v1
                                        ; implicit-def: $vgpr1
	s_and_saveexec_b64 s[62:63], vcc
	s_xor_b64 s[30:31], exec, s[62:63]
	s_cbranch_execz .LBB6_1774
; %bb.1773:                             ;   in Loop: Header=BB6_138 Depth=3
	v_ffbh_u32_e32 v1, v2
	v_min_u32_e32 v4, 32, v1
	v_subrev_u32_e32 v1, 29, v4
	v_lshlrev_b64 v[0:1], v1, v[0:1]
	v_bfe_u32 v3, v10, 18, 5
	v_and_b32_e32 v0, 3, v0
	v_cmp_eq_u32_e32 vcc, 0, v3
	v_sub_u32_e32 v1, 30, v4
	v_cndmask_b32_e32 v0, v2, v0, vcc
	v_lshlrev_b32_e32 v2, 8, v10
	v_cndmask_b32_e32 v1, v3, v1, vcc
	v_and_b32_e32 v2, 0x80000000, v2
	v_lshl_add_u32 v1, v1, 23, v2
	v_lshl_or_b32 v0, v0, 21, v1
	v_add_u32_e32 v1, 0x38000000, v0
                                        ; implicit-def: $vgpr2
                                        ; implicit-def: $vgpr0
.LBB6_1774:                             ;   in Loop: Header=BB6_138 Depth=3
	s_andn2_saveexec_b64 s[30:31], s[30:31]
; %bb.1775:                             ;   in Loop: Header=BB6_138 Depth=3
	v_mov_b32_e32 v1, -1
	v_cmp_gt_i16_sdwa vcc, sext(v0), v1 src0_sel:BYTE_0 src1_sel:DWORD
	v_mov_b32_e32 v0, 0xff800000
	v_mov_b32_e32 v1, 0x7f800000
	v_cndmask_b32_e32 v0, v0, v1, vcc
	v_cmp_eq_u32_e32 vcc, 0, v2
	v_mov_b32_e32 v1, 0x7f800001
	v_cndmask_b32_e32 v1, v1, v0, vcc
; %bb.1776:                             ;   in Loop: Header=BB6_138 Depth=3
	s_or_b64 exec, exec, s[30:31]
.LBB6_1777:                             ;   in Loop: Header=BB6_138 Depth=3
	s_or_b64 exec, exec, s[94:95]
.LBB6_1778:                             ;   in Loop: Header=BB6_138 Depth=3
	s_or_b64 exec, exec, s[26:27]
	v_mul_f32_e32 v2, v14, v1
	v_and_b32_e32 v3, 0x7f800000, v2
	v_mov_b32_e32 v4, v33
	v_cmp_ne_u64_e32 vcc, s[76:77], v[3:4]
	v_and_b32_e32 v0, 0x7fffff, v2
	v_mov_b32_e32 v1, v33
                                        ; implicit-def: $vgpr3
                                        ; kill: killed $vgpr3
	s_and_saveexec_b64 s[26:27], vcc
	s_xor_b64 s[94:95], exec, s[26:27]
	s_cbranch_execz .LBB6_1792
; %bb.1779:                             ;   in Loop: Header=BB6_138 Depth=3
	v_and_b32_e32 v3, 0x7fffffff, v2
	v_mov_b32_e32 v4, v33
	v_cmp_gt_u64_e32 vcc, s[78:79], v[3:4]
	v_and_b32_sdwa v3, v2, s97 dst_sel:DWORD dst_unused:UNUSED_PAD src0_sel:BYTE_3 src1_sel:DWORD
                                        ; implicit-def: $vgpr4
                                        ; kill: killed $vgpr4
	s_and_saveexec_b64 s[26:27], vcc
	s_xor_b64 s[30:31], exec, s[26:27]
	s_cbranch_execz .LBB6_1789
; %bb.1780:                             ;   in Loop: Header=BB6_138 Depth=3
	v_mov_b32_e32 v4, 0
	v_cmp_ne_u32_e32 vcc, 0, v2
	buffer_store_dword v4, off, s[0:3], s33 offset:548 ; 4-byte Folded Spill
	s_and_saveexec_b64 s[34:35], vcc
	s_cbranch_execz .LBB6_1788
; %bb.1781:                             ;   in Loop: Header=BB6_138 Depth=3
	v_bfe_u32 v5, v2, 23, 8
	v_cmp_gt_u32_e64 s[26:27], s47, v5
	v_sub_u32_e32 v2, 0x71, v5
	v_cmp_eq_u32_e32 vcc, 0, v5
	v_cndmask_b32_e64 v2, 0, v2, s[26:27]
	v_mov_b32_e32 v6, 0x70
	v_cndmask_b32_e32 v6, v2, v6, vcc
	v_add_u32_e32 v2, 21, v6
	v_or_b32_e32 v4, 0x800000, v0
	v_lshlrev_b64 v[7:8], v2, -1
	v_cndmask_b32_e32 v0, v4, v0, vcc
	v_add_u32_e32 v2, 20, v6
	v_bfi_b32 v7, v7, 0, v0
	v_lshlrev_b64 v[15:16], v2, 1
	v_lshrrev_b64 v[0:1], v6, v[0:1]
	v_bfi_b32 v8, v8, 0, 0
	v_cmp_eq_u64_e64 s[26:27], v[7:8], v[15:16]
	v_mov_b32_e32 v2, v1
	v_mov_b32_e32 v1, v0
	s_and_saveexec_b64 s[36:37], s[26:27]
; %bb.1782:                             ;   in Loop: Header=BB6_138 Depth=3
	v_bfe_u32 v1, v0, 21, 1
	v_add_co_u32_e64 v1, s[26:27], v0, v1
	v_add_co_u32_e64 v1, s[26:27], -1, v1
; %bb.1783:                             ;   in Loop: Header=BB6_138 Depth=3
	s_or_b64 exec, exec, s[36:37]
	v_add_u32_e32 v2, 0xffffff81, v5
	v_mov_b32_e32 v4, 0xffffff82
	v_cndmask_b32_e32 v2, v2, v4, vcc
	v_lshrrev_b32_e32 v4, 23, v0
	v_add3_u32 v6, v6, v2, v4
	v_add_u32_e32 v5, 14, v6
	v_and_b32_e32 v1, 0x1fffff, v1
	v_add_u32_e32 v0, v1, v0
	v_mov_b32_e32 v1, v33
	v_cmp_ne_u32_e32 vcc, 0, v5
                                        ; implicit-def: $vgpr2
	s_and_saveexec_b64 s[26:27], vcc
	s_xor_b64 s[26:27], exec, s[26:27]
; %bb.1784:                             ;   in Loop: Header=BB6_138 Depth=3
	v_cmp_lt_u64_e32 vcc, s[88:89], v[0:1]
	v_add_u32_e32 v2, 15, v6
	v_cndmask_b32_e64 v4, 0, 1, vcc
	v_lshrrev_b64 v[0:1], v4, v[0:1]
	v_cndmask_b32_e32 v2, v5, v2, vcc
; %bb.1785:                             ;   in Loop: Header=BB6_138 Depth=3
	s_andn2_saveexec_b64 s[26:27], s[26:27]
; %bb.1786:                             ;   in Loop: Header=BB6_138 Depth=3
	v_bfe_u32 v2, v0, 23, 1
; %bb.1787:                             ;   in Loop: Header=BB6_138 Depth=3
	s_or_b64 exec, exec, s[26:27]
	v_lshrrev_b64 v[0:1], 21, v[0:1]
	v_cmp_gt_i32_e32 vcc, 32, v2
	v_cndmask_b32_e32 v1, 0, v1, vcc
	v_cndmask_b32_e32 v0, 3, v0, vcc
	v_cmp_eq_u64_e64 s[26:27], 0, v[0:1]
	v_min_i32_e32 v1, 31, v2
	v_lshlrev_b32_e32 v1, 2, v1
	v_cmp_eq_u32_e32 vcc, 0, v2
	v_and_b32_e32 v1, 0xfc, v1
	v_and_or_b32 v0, v0, 3, v1
	s_and_b64 s[26:27], vcc, s[26:27]
	v_cndmask_b32_e64 v0, v0, 0, s[26:27]
	v_or_b32_e32 v0, v0, v3
	buffer_store_dword v0, off, s[0:3], s33 offset:548 ; 4-byte Folded Spill
.LBB6_1788:                             ;   in Loop: Header=BB6_138 Depth=3
	s_or_b64 exec, exec, s[34:35]
                                        ; implicit-def: $vgpr3
.LBB6_1789:                             ;   in Loop: Header=BB6_138 Depth=3
	s_andn2_saveexec_b64 s[26:27], s[30:31]
	s_cbranch_execz .LBB6_1791
; %bb.1790:                             ;   in Loop: Header=BB6_138 Depth=3
	v_or_b32_e32 v0, 0x7b, v3
	buffer_store_dword v0, off, s[0:3], s33 offset:548 ; 4-byte Folded Spill
.LBB6_1791:                             ;   in Loop: Header=BB6_138 Depth=3
	s_or_b64 exec, exec, s[26:27]
                                        ; implicit-def: $vgpr2
                                        ; implicit-def: $vgpr0_vgpr1
.LBB6_1792:                             ;   in Loop: Header=BB6_138 Depth=3
	s_andn2_saveexec_b64 s[26:27], s[94:95]
	s_cbranch_execz .LBB6_1798
; %bb.1793:                             ;   in Loop: Header=BB6_138 Depth=3
	v_cmp_ne_u64_e32 vcc, 0, v[0:1]
                                        ; implicit-def: $vgpr0
                                        ; kill: killed $vgpr0
	s_and_saveexec_b64 s[62:63], vcc
	s_xor_b64 s[94:95], exec, s[62:63]
	s_cbranch_execz .LBB6_1795
; %bb.1794:                             ;   in Loop: Header=BB6_138 Depth=3
	v_or_b32_sdwa v0, v2, s44 dst_sel:DWORD dst_unused:UNUSED_PAD src0_sel:BYTE_3 src1_sel:DWORD
	buffer_store_dword v0, off, s[0:3], s33 offset:548 ; 4-byte Folded Spill
                                        ; implicit-def: $vgpr2
.LBB6_1795:                             ;   in Loop: Header=BB6_138 Depth=3
	s_andn2_saveexec_b64 s[94:95], s[94:95]
	s_cbranch_execz .LBB6_1797
; %bb.1796:                             ;   in Loop: Header=BB6_138 Depth=3
	v_cmp_lt_i32_e32 vcc, -1, v2
	v_bfrev_b32_e32 v0, 0.5
	v_mov_b32_e32 v1, 0x7c
	v_cndmask_b32_e32 v0, v0, v1, vcc
	buffer_store_dword v0, off, s[0:3], s33 offset:548 ; 4-byte Folded Spill
.LBB6_1797:                             ;   in Loop: Header=BB6_138 Depth=3
	s_or_b64 exec, exec, s[94:95]
.LBB6_1798:                             ;   in Loop: Header=BB6_138 Depth=3
	s_or_b64 exec, exec, s[26:27]
	v_cmp_lt_u32_e32 vcc, s57, v10
	v_mov_b32_e32 v1, 0
	s_and_saveexec_b64 s[26:27], vcc
	s_cbranch_execz .LBB6_1806
; %bb.1799:                             ;   in Loop: Header=BB6_138 Depth=3
	v_lshrrev_b32_e32 v0, 24, v10
	v_cmp_ne_u32_e32 vcc, s97, v0
	v_bfrev_b32_e32 v1, 1
	s_and_saveexec_b64 s[94:95], vcc
	s_cbranch_execz .LBB6_1805
; %bb.1800:                             ;   in Loop: Header=BB6_138 Depth=3
	v_and_b32_e32 v1, 0x7c000000, v10
	v_bfe_u32 v2, v10, 24, 2
	v_cmp_ne_u32_e32 vcc, s68, v1
                                        ; implicit-def: $vgpr1
	s_and_saveexec_b64 s[62:63], vcc
	s_xor_b64 s[30:31], exec, s[62:63]
	s_cbranch_execz .LBB6_1802
; %bb.1801:                             ;   in Loop: Header=BB6_138 Depth=3
	v_ffbh_u32_e32 v1, v2
	v_min_u32_e32 v4, 32, v1
	v_subrev_u32_e32 v1, 29, v4
	v_lshlrev_b64 v[0:1], v1, v[0:1]
	v_bfe_u32 v3, v10, 26, 5
	v_sub_u32_e32 v1, 30, v4
	v_and_b32_e32 v0, 3, v0
	v_cmp_eq_u32_e32 vcc, 0, v3
	v_cndmask_b32_e32 v1, v3, v1, vcc
	v_cndmask_b32_e32 v0, v2, v0, vcc
	v_and_b32_e32 v2, 0x80000000, v10
	v_lshl_add_u32 v1, v1, 23, v2
	v_lshl_or_b32 v0, v0, 21, v1
	v_add_u32_e32 v1, 0x38000000, v0
                                        ; implicit-def: $vgpr2
.LBB6_1802:                             ;   in Loop: Header=BB6_138 Depth=3
	s_andn2_saveexec_b64 s[30:31], s[30:31]
; %bb.1803:                             ;   in Loop: Header=BB6_138 Depth=3
	v_cmp_lt_i32_e32 vcc, -1, v10
	v_mov_b32_e32 v0, 0xff800000
	v_mov_b32_e32 v1, 0x7f800000
	v_cndmask_b32_e32 v0, v0, v1, vcc
	v_cmp_eq_u32_e32 vcc, 0, v2
	v_mov_b32_e32 v1, 0x7f800001
	v_cndmask_b32_e32 v1, v1, v0, vcc
; %bb.1804:                             ;   in Loop: Header=BB6_138 Depth=3
	s_or_b64 exec, exec, s[30:31]
.LBB6_1805:                             ;   in Loop: Header=BB6_138 Depth=3
	s_or_b64 exec, exec, s[94:95]
.LBB6_1806:                             ;   in Loop: Header=BB6_138 Depth=3
	s_or_b64 exec, exec, s[26:27]
	v_mul_f32_e32 v2, v14, v1
	v_and_b32_e32 v3, 0x7f800000, v2
	v_mov_b32_e32 v4, v33
	v_cmp_ne_u64_e32 vcc, s[76:77], v[3:4]
	v_and_b32_e32 v0, 0x7fffff, v2
	v_mov_b32_e32 v1, v33
                                        ; implicit-def: $vgpr3
                                        ; kill: killed $vgpr3
	s_and_saveexec_b64 s[26:27], vcc
	s_xor_b64 s[94:95], exec, s[26:27]
	s_cbranch_execz .LBB6_1820
; %bb.1807:                             ;   in Loop: Header=BB6_138 Depth=3
	v_and_b32_e32 v3, 0x7fffffff, v2
	v_mov_b32_e32 v4, v33
	v_cmp_gt_u64_e32 vcc, s[78:79], v[3:4]
	v_and_b32_sdwa v3, v2, s97 dst_sel:DWORD dst_unused:UNUSED_PAD src0_sel:BYTE_3 src1_sel:DWORD
                                        ; implicit-def: $vgpr4
                                        ; kill: killed $vgpr4
	s_and_saveexec_b64 s[26:27], vcc
	s_xor_b64 s[30:31], exec, s[26:27]
	s_cbranch_execz .LBB6_1817
; %bb.1808:                             ;   in Loop: Header=BB6_138 Depth=3
	v_mov_b32_e32 v4, 0
	v_cmp_ne_u32_e32 vcc, 0, v2
	buffer_store_dword v4, off, s[0:3], s33 offset:552 ; 4-byte Folded Spill
	s_and_saveexec_b64 s[34:35], vcc
	s_cbranch_execz .LBB6_1816
; %bb.1809:                             ;   in Loop: Header=BB6_138 Depth=3
	v_bfe_u32 v5, v2, 23, 8
	v_cmp_gt_u32_e64 s[26:27], s47, v5
	v_sub_u32_e32 v2, 0x71, v5
	v_cmp_eq_u32_e32 vcc, 0, v5
	v_cndmask_b32_e64 v2, 0, v2, s[26:27]
	v_mov_b32_e32 v6, 0x70
	v_cndmask_b32_e32 v6, v2, v6, vcc
	v_add_u32_e32 v2, 21, v6
	v_or_b32_e32 v4, 0x800000, v0
	v_lshlrev_b64 v[7:8], v2, -1
	v_cndmask_b32_e32 v0, v4, v0, vcc
	v_add_u32_e32 v2, 20, v6
	v_bfi_b32 v7, v7, 0, v0
	v_lshlrev_b64 v[15:16], v2, 1
	v_lshrrev_b64 v[0:1], v6, v[0:1]
	v_bfi_b32 v8, v8, 0, 0
	v_cmp_eq_u64_e64 s[26:27], v[7:8], v[15:16]
	v_mov_b32_e32 v2, v1
	v_mov_b32_e32 v1, v0
	s_and_saveexec_b64 s[36:37], s[26:27]
; %bb.1810:                             ;   in Loop: Header=BB6_138 Depth=3
	v_bfe_u32 v1, v0, 21, 1
	v_add_co_u32_e64 v1, s[26:27], v0, v1
	v_add_co_u32_e64 v1, s[26:27], -1, v1
; %bb.1811:                             ;   in Loop: Header=BB6_138 Depth=3
	s_or_b64 exec, exec, s[36:37]
	v_add_u32_e32 v2, 0xffffff81, v5
	v_mov_b32_e32 v4, 0xffffff82
	v_cndmask_b32_e32 v2, v2, v4, vcc
	v_lshrrev_b32_e32 v4, 23, v0
	v_add3_u32 v6, v6, v2, v4
	v_add_u32_e32 v5, 14, v6
	v_and_b32_e32 v1, 0x1fffff, v1
	v_add_u32_e32 v0, v1, v0
	v_mov_b32_e32 v1, v33
	v_cmp_ne_u32_e32 vcc, 0, v5
                                        ; implicit-def: $vgpr2
	s_and_saveexec_b64 s[26:27], vcc
	s_xor_b64 s[26:27], exec, s[26:27]
; %bb.1812:                             ;   in Loop: Header=BB6_138 Depth=3
	v_cmp_lt_u64_e32 vcc, s[88:89], v[0:1]
	v_add_u32_e32 v2, 15, v6
	v_cndmask_b32_e64 v4, 0, 1, vcc
	v_lshrrev_b64 v[0:1], v4, v[0:1]
	v_cndmask_b32_e32 v2, v5, v2, vcc
; %bb.1813:                             ;   in Loop: Header=BB6_138 Depth=3
	s_andn2_saveexec_b64 s[26:27], s[26:27]
; %bb.1814:                             ;   in Loop: Header=BB6_138 Depth=3
	v_bfe_u32 v2, v0, 23, 1
; %bb.1815:                             ;   in Loop: Header=BB6_138 Depth=3
	s_or_b64 exec, exec, s[26:27]
	v_lshrrev_b64 v[0:1], 21, v[0:1]
	v_cmp_gt_i32_e32 vcc, 32, v2
	v_cndmask_b32_e32 v1, 0, v1, vcc
	v_cndmask_b32_e32 v0, 3, v0, vcc
	v_cmp_eq_u64_e64 s[26:27], 0, v[0:1]
	v_min_i32_e32 v1, 31, v2
	v_lshlrev_b32_e32 v1, 2, v1
	v_cmp_eq_u32_e32 vcc, 0, v2
	v_and_b32_e32 v1, 0xfc, v1
	v_and_or_b32 v0, v0, 3, v1
	s_and_b64 s[26:27], vcc, s[26:27]
	v_cndmask_b32_e64 v0, v0, 0, s[26:27]
	v_or_b32_e32 v0, v0, v3
	buffer_store_dword v0, off, s[0:3], s33 offset:552 ; 4-byte Folded Spill
.LBB6_1816:                             ;   in Loop: Header=BB6_138 Depth=3
	s_or_b64 exec, exec, s[34:35]
                                        ; implicit-def: $vgpr3
.LBB6_1817:                             ;   in Loop: Header=BB6_138 Depth=3
	s_andn2_saveexec_b64 s[26:27], s[30:31]
	s_cbranch_execz .LBB6_1819
; %bb.1818:                             ;   in Loop: Header=BB6_138 Depth=3
	v_or_b32_e32 v0, 0x7b, v3
	buffer_store_dword v0, off, s[0:3], s33 offset:552 ; 4-byte Folded Spill
.LBB6_1819:                             ;   in Loop: Header=BB6_138 Depth=3
	s_or_b64 exec, exec, s[26:27]
                                        ; implicit-def: $vgpr2
                                        ; implicit-def: $vgpr0_vgpr1
.LBB6_1820:                             ;   in Loop: Header=BB6_138 Depth=3
	s_andn2_saveexec_b64 s[26:27], s[94:95]
	s_cbranch_execz .LBB6_1826
; %bb.1821:                             ;   in Loop: Header=BB6_138 Depth=3
	v_cmp_ne_u64_e32 vcc, 0, v[0:1]
                                        ; implicit-def: $vgpr0
                                        ; kill: killed $vgpr0
	s_and_saveexec_b64 s[62:63], vcc
	s_xor_b64 s[94:95], exec, s[62:63]
	s_cbranch_execz .LBB6_1823
; %bb.1822:                             ;   in Loop: Header=BB6_138 Depth=3
	v_or_b32_sdwa v0, v2, s44 dst_sel:DWORD dst_unused:UNUSED_PAD src0_sel:BYTE_3 src1_sel:DWORD
	buffer_store_dword v0, off, s[0:3], s33 offset:552 ; 4-byte Folded Spill
                                        ; implicit-def: $vgpr2
.LBB6_1823:                             ;   in Loop: Header=BB6_138 Depth=3
	s_andn2_saveexec_b64 s[94:95], s[94:95]
	s_cbranch_execz .LBB6_1825
; %bb.1824:                             ;   in Loop: Header=BB6_138 Depth=3
	v_cmp_lt_i32_e32 vcc, -1, v2
	v_bfrev_b32_e32 v0, 0.5
	v_mov_b32_e32 v1, 0x7c
	v_cndmask_b32_e32 v0, v0, v1, vcc
	buffer_store_dword v0, off, s[0:3], s33 offset:552 ; 4-byte Folded Spill
.LBB6_1825:                             ;   in Loop: Header=BB6_138 Depth=3
	s_or_b64 exec, exec, s[94:95]
.LBB6_1826:                             ;   in Loop: Header=BB6_138 Depth=3
	s_or_b64 exec, exec, s[26:27]
	v_mov_b32_e32 v0, v11
	v_mov_b32_e32 v1, v33
	v_cmp_ne_u16_sdwa s[62:63], v11, v33 src0_sel:BYTE_0 src1_sel:DWORD
	v_mov_b32_e32 v2, 0
	s_and_saveexec_b64 s[26:27], s[62:63]
	s_cbranch_execz .LBB6_1834
; %bb.1827:                             ;   in Loop: Header=BB6_138 Depth=3
	v_cmp_ne_u16_sdwa s[62:63], v11, s97 src0_sel:BYTE_0 src1_sel:DWORD
	v_bfrev_b32_e32 v2, 1
	s_and_saveexec_b64 s[94:95], s[62:63]
	s_cbranch_execz .LBB6_1833
; %bb.1828:                             ;   in Loop: Header=BB6_138 Depth=3
	v_and_b32_e32 v2, 0x7c, v11
	v_and_b32_e32 v3, 3, v11
	v_cmp_ne_u32_e32 vcc, s86, v2
                                        ; implicit-def: $vgpr2
	s_and_saveexec_b64 s[62:63], vcc
	s_xor_b64 s[30:31], exec, s[62:63]
	s_cbranch_execz .LBB6_1830
; %bb.1829:                             ;   in Loop: Header=BB6_138 Depth=3
	v_ffbh_u32_e32 v2, v3
	v_min_u32_e32 v5, 32, v2
	v_subrev_u32_e32 v2, 29, v5
	v_lshlrev_b64 v[1:2], v2, v[0:1]
	v_bfe_u32 v4, v11, 2, 5
	v_and_b32_e32 v1, 3, v1
	v_cmp_eq_u32_e32 vcc, 0, v4
	v_sub_u32_e32 v2, 30, v5
	v_cndmask_b32_e32 v1, v3, v1, vcc
	v_lshlrev_b32_e32 v3, 24, v11
	v_cndmask_b32_e32 v2, v4, v2, vcc
	v_and_b32_e32 v3, 0x80000000, v3
	v_lshl_add_u32 v2, v2, 23, v3
	v_lshl_or_b32 v1, v1, 21, v2
	v_add_u32_e32 v2, 0x38000000, v1
                                        ; implicit-def: $vgpr3
.LBB6_1830:                             ;   in Loop: Header=BB6_138 Depth=3
	s_andn2_saveexec_b64 s[30:31], s[30:31]
; %bb.1831:                             ;   in Loop: Header=BB6_138 Depth=3
	v_mov_b32_e32 v1, -1
	v_cmp_gt_i16_sdwa vcc, sext(v11), v1 src0_sel:BYTE_0 src1_sel:DWORD
	v_mov_b32_e32 v1, 0xff800000
	v_mov_b32_e32 v2, 0x7f800000
	v_cndmask_b32_e32 v1, v1, v2, vcc
	v_cmp_eq_u32_e32 vcc, 0, v3
	v_mov_b32_e32 v2, 0x7f800001
	v_cndmask_b32_e32 v2, v2, v1, vcc
; %bb.1832:                             ;   in Loop: Header=BB6_138 Depth=3
	s_or_b64 exec, exec, s[30:31]
.LBB6_1833:                             ;   in Loop: Header=BB6_138 Depth=3
	s_or_b64 exec, exec, s[94:95]
.LBB6_1834:                             ;   in Loop: Header=BB6_138 Depth=3
	s_or_b64 exec, exec, s[26:27]
	v_mul_f32_e32 v3, v14, v2
	v_and_b32_e32 v4, 0x7f800000, v3
	v_mov_b32_e32 v5, v33
	v_cmp_ne_u64_e32 vcc, s[76:77], v[4:5]
	v_and_b32_e32 v1, 0x7fffff, v3
	v_mov_b32_e32 v2, v33
                                        ; implicit-def: $vgpr4
                                        ; kill: killed $vgpr4
	s_and_saveexec_b64 s[26:27], vcc
	s_xor_b64 s[94:95], exec, s[26:27]
	s_cbranch_execz .LBB6_1848
; %bb.1835:                             ;   in Loop: Header=BB6_138 Depth=3
	v_and_b32_e32 v4, 0x7fffffff, v3
	v_mov_b32_e32 v5, v33
	v_cmp_gt_u64_e32 vcc, s[78:79], v[4:5]
	v_and_b32_sdwa v5, v3, s97 dst_sel:DWORD dst_unused:UNUSED_PAD src0_sel:BYTE_3 src1_sel:DWORD
                                        ; implicit-def: $vgpr4
                                        ; kill: killed $vgpr4
	s_and_saveexec_b64 s[26:27], vcc
	s_xor_b64 s[30:31], exec, s[26:27]
	s_cbranch_execz .LBB6_1845
; %bb.1836:                             ;   in Loop: Header=BB6_138 Depth=3
	v_mov_b32_e32 v4, 0
	v_cmp_ne_u32_e32 vcc, 0, v3
	buffer_store_dword v4, off, s[0:3], s33 offset:556 ; 4-byte Folded Spill
	s_and_saveexec_b64 s[34:35], vcc
	s_cbranch_execz .LBB6_1844
; %bb.1837:                             ;   in Loop: Header=BB6_138 Depth=3
	v_bfe_u32 v6, v3, 23, 8
	v_cmp_gt_u32_e64 s[26:27], s47, v6
	v_sub_u32_e32 v3, 0x71, v6
	v_cmp_eq_u32_e32 vcc, 0, v6
	v_cndmask_b32_e64 v3, 0, v3, s[26:27]
	v_mov_b32_e32 v7, 0x70
	v_cndmask_b32_e32 v7, v3, v7, vcc
	v_or_b32_e32 v4, 0x800000, v1
	v_add_u32_e32 v3, 21, v7
	v_cndmask_b32_e32 v1, v4, v1, vcc
	v_lshlrev_b64 v[3:4], v3, -1
	v_add_u32_e32 v8, 20, v7
	v_bfi_b32 v3, v3, 0, v1
	v_lshlrev_b64 v[8:9], v8, 1
	v_lshrrev_b64 v[1:2], v7, v[1:2]
	v_bfi_b32 v4, v4, 0, 0
	v_cmp_eq_u64_e64 s[26:27], v[3:4], v[8:9]
	v_mov_b32_e32 v3, v2
	v_mov_b32_e32 v2, v1
	s_and_saveexec_b64 s[36:37], s[26:27]
; %bb.1838:                             ;   in Loop: Header=BB6_138 Depth=3
	v_bfe_u32 v2, v1, 21, 1
	v_add_co_u32_e64 v2, s[26:27], v1, v2
	v_add_co_u32_e64 v2, s[26:27], -1, v2
; %bb.1839:                             ;   in Loop: Header=BB6_138 Depth=3
	s_or_b64 exec, exec, s[36:37]
	v_add_u32_e32 v3, 0xffffff81, v6
	v_mov_b32_e32 v4, 0xffffff82
	v_cndmask_b32_e32 v3, v3, v4, vcc
	v_lshrrev_b32_e32 v4, 23, v1
	v_add3_u32 v7, v7, v3, v4
	v_add_u32_e32 v6, 14, v7
	v_and_b32_e32 v2, 0x1fffff, v2
	v_add_u32_e32 v1, v2, v1
	v_mov_b32_e32 v2, v33
	v_cmp_ne_u32_e32 vcc, 0, v6
                                        ; implicit-def: $vgpr3
	s_and_saveexec_b64 s[26:27], vcc
	s_xor_b64 s[26:27], exec, s[26:27]
; %bb.1840:                             ;   in Loop: Header=BB6_138 Depth=3
	v_cmp_lt_u64_e32 vcc, s[88:89], v[1:2]
	v_add_u32_e32 v3, 15, v7
	v_cndmask_b32_e64 v4, 0, 1, vcc
	v_lshrrev_b64 v[1:2], v4, v[1:2]
	v_cndmask_b32_e32 v3, v6, v3, vcc
; %bb.1841:                             ;   in Loop: Header=BB6_138 Depth=3
	s_andn2_saveexec_b64 s[26:27], s[26:27]
; %bb.1842:                             ;   in Loop: Header=BB6_138 Depth=3
	v_bfe_u32 v3, v1, 23, 1
; %bb.1843:                             ;   in Loop: Header=BB6_138 Depth=3
	s_or_b64 exec, exec, s[26:27]
	v_lshrrev_b64 v[1:2], 21, v[1:2]
	v_cmp_gt_i32_e32 vcc, 32, v3
	v_cndmask_b32_e32 v2, 0, v2, vcc
	v_cndmask_b32_e32 v1, 3, v1, vcc
	v_cmp_eq_u64_e64 s[26:27], 0, v[1:2]
	v_min_i32_e32 v2, 31, v3
	v_lshlrev_b32_e32 v2, 2, v2
	v_cmp_eq_u32_e32 vcc, 0, v3
	v_and_b32_e32 v2, 0xfc, v2
	v_and_or_b32 v1, v1, 3, v2
	s_and_b64 s[26:27], vcc, s[26:27]
	v_cndmask_b32_e64 v1, v1, 0, s[26:27]
	v_or_b32_e32 v1, v1, v5
	buffer_store_dword v1, off, s[0:3], s33 offset:556 ; 4-byte Folded Spill
.LBB6_1844:                             ;   in Loop: Header=BB6_138 Depth=3
	s_or_b64 exec, exec, s[34:35]
                                        ; implicit-def: $vgpr5
.LBB6_1845:                             ;   in Loop: Header=BB6_138 Depth=3
	s_andn2_saveexec_b64 s[26:27], s[30:31]
	s_cbranch_execz .LBB6_1847
; %bb.1846:                             ;   in Loop: Header=BB6_138 Depth=3
	v_or_b32_e32 v1, 0x7b, v5
	buffer_store_dword v1, off, s[0:3], s33 offset:556 ; 4-byte Folded Spill
.LBB6_1847:                             ;   in Loop: Header=BB6_138 Depth=3
	s_or_b64 exec, exec, s[26:27]
                                        ; implicit-def: $vgpr3
                                        ; implicit-def: $vgpr1_vgpr2
.LBB6_1848:                             ;   in Loop: Header=BB6_138 Depth=3
	s_andn2_saveexec_b64 s[26:27], s[94:95]
	s_cbranch_execz .LBB6_1854
; %bb.1849:                             ;   in Loop: Header=BB6_138 Depth=3
	v_cmp_ne_u64_e32 vcc, 0, v[1:2]
                                        ; implicit-def: $vgpr1
                                        ; kill: killed $vgpr1
	s_and_saveexec_b64 s[62:63], vcc
	s_xor_b64 s[94:95], exec, s[62:63]
	s_cbranch_execz .LBB6_1851
; %bb.1850:                             ;   in Loop: Header=BB6_138 Depth=3
	v_or_b32_sdwa v1, v3, s44 dst_sel:DWORD dst_unused:UNUSED_PAD src0_sel:BYTE_3 src1_sel:DWORD
	buffer_store_dword v1, off, s[0:3], s33 offset:556 ; 4-byte Folded Spill
                                        ; implicit-def: $vgpr3
.LBB6_1851:                             ;   in Loop: Header=BB6_138 Depth=3
	s_andn2_saveexec_b64 s[94:95], s[94:95]
	s_cbranch_execz .LBB6_1853
; %bb.1852:                             ;   in Loop: Header=BB6_138 Depth=3
	v_cmp_lt_i32_e32 vcc, -1, v3
	v_bfrev_b32_e32 v1, 0.5
	v_mov_b32_e32 v2, 0x7c
	v_cndmask_b32_e32 v1, v1, v2, vcc
	buffer_store_dword v1, off, s[0:3], s33 offset:556 ; 4-byte Folded Spill
.LBB6_1853:                             ;   in Loop: Header=BB6_138 Depth=3
	s_or_b64 exec, exec, s[94:95]
.LBB6_1854:                             ;   in Loop: Header=BB6_138 Depth=3
	s_or_b64 exec, exec, s[26:27]
	v_lshrrev_b16_e32 v1, 8, v0
	v_cmp_ne_u16_e32 vcc, 0, v1
	v_mov_b32_e32 v2, 0
	s_and_saveexec_b64 s[26:27], vcc
	s_cbranch_execz .LBB6_1862
; %bb.1855:                             ;   in Loop: Header=BB6_138 Depth=3
	v_cmp_ne_u16_e32 vcc, s97, v1
	v_bfrev_b32_e32 v2, 1
	s_and_saveexec_b64 s[94:95], vcc
	s_cbranch_execz .LBB6_1861
; %bb.1856:                             ;   in Loop: Header=BB6_138 Depth=3
	v_and_b32_e32 v2, 0x7c, v1
	v_and_b32_e32 v3, 3, v1
	v_cmp_ne_u32_e32 vcc, s86, v2
                                        ; implicit-def: $vgpr2
	s_and_saveexec_b64 s[62:63], vcc
	s_xor_b64 s[30:31], exec, s[62:63]
	s_cbranch_execz .LBB6_1858
; %bb.1857:                             ;   in Loop: Header=BB6_138 Depth=3
	v_ffbh_u32_e32 v5, v3
	v_min_u32_e32 v5, 32, v5
	v_mov_b32_e32 v2, v33
	v_subrev_u32_e32 v6, 29, v5
	v_bfe_u32 v4, v1, 2, 5
	v_lshlrev_b64 v[1:2], v6, v[1:2]
	v_sub_u32_e32 v2, 30, v5
	v_cmp_eq_u32_e32 vcc, 0, v4
	v_lshlrev_b32_e32 v0, 16, v0
	v_and_b32_e32 v1, 3, v1
	v_cndmask_b32_e32 v2, v4, v2, vcc
	v_and_b32_e32 v0, 0x80000000, v0
	v_cndmask_b32_e32 v1, v3, v1, vcc
	v_lshl_add_u32 v0, v2, 23, v0
	v_lshl_or_b32 v0, v1, 21, v0
	v_add_u32_e32 v2, 0x38000000, v0
                                        ; implicit-def: $vgpr3
                                        ; implicit-def: $vgpr0_vgpr1
.LBB6_1858:                             ;   in Loop: Header=BB6_138 Depth=3
	s_andn2_saveexec_b64 s[30:31], s[30:31]
; %bb.1859:                             ;   in Loop: Header=BB6_138 Depth=3
	v_cmp_lt_i16_e32 vcc, -1, v0
	v_mov_b32_e32 v0, 0xff800000
	v_mov_b32_e32 v1, 0x7f800000
	v_cndmask_b32_e32 v0, v0, v1, vcc
	v_cmp_eq_u32_e32 vcc, 0, v3
	v_mov_b32_e32 v1, 0x7f800001
	v_cndmask_b32_e32 v2, v1, v0, vcc
; %bb.1860:                             ;   in Loop: Header=BB6_138 Depth=3
	s_or_b64 exec, exec, s[30:31]
.LBB6_1861:                             ;   in Loop: Header=BB6_138 Depth=3
	s_or_b64 exec, exec, s[94:95]
.LBB6_1862:                             ;   in Loop: Header=BB6_138 Depth=3
	s_or_b64 exec, exec, s[26:27]
	v_mul_f32_e32 v2, v14, v2
	v_and_b32_e32 v3, 0x7f800000, v2
	v_mov_b32_e32 v4, v33
	v_cmp_ne_u64_e32 vcc, s[76:77], v[3:4]
	v_and_b32_e32 v0, 0x7fffff, v2
	v_mov_b32_e32 v1, v33
                                        ; implicit-def: $vgpr3
                                        ; kill: killed $vgpr3
	s_and_saveexec_b64 s[26:27], vcc
	s_xor_b64 s[94:95], exec, s[26:27]
	s_cbranch_execz .LBB6_1876
; %bb.1863:                             ;   in Loop: Header=BB6_138 Depth=3
	v_and_b32_e32 v3, 0x7fffffff, v2
	v_mov_b32_e32 v4, v33
	v_cmp_gt_u64_e32 vcc, s[78:79], v[3:4]
	v_and_b32_sdwa v3, v2, s97 dst_sel:DWORD dst_unused:UNUSED_PAD src0_sel:BYTE_3 src1_sel:DWORD
                                        ; implicit-def: $vgpr4
                                        ; kill: killed $vgpr4
	s_and_saveexec_b64 s[26:27], vcc
	s_xor_b64 s[30:31], exec, s[26:27]
	s_cbranch_execz .LBB6_1873
; %bb.1864:                             ;   in Loop: Header=BB6_138 Depth=3
	v_mov_b32_e32 v4, 0
	v_cmp_ne_u32_e32 vcc, 0, v2
	buffer_store_dword v4, off, s[0:3], s33 offset:560 ; 4-byte Folded Spill
	s_and_saveexec_b64 s[34:35], vcc
	s_cbranch_execz .LBB6_1872
; %bb.1865:                             ;   in Loop: Header=BB6_138 Depth=3
	v_bfe_u32 v5, v2, 23, 8
	v_cmp_gt_u32_e64 s[26:27], s47, v5
	v_sub_u32_e32 v2, 0x71, v5
	v_cmp_eq_u32_e32 vcc, 0, v5
	v_cndmask_b32_e64 v2, 0, v2, s[26:27]
	v_mov_b32_e32 v6, 0x70
	v_cndmask_b32_e32 v6, v2, v6, vcc
	v_add_u32_e32 v2, 21, v6
	v_or_b32_e32 v4, 0x800000, v0
	v_lshlrev_b64 v[7:8], v2, -1
	v_cndmask_b32_e32 v0, v4, v0, vcc
	v_add_u32_e32 v2, 20, v6
	v_bfi_b32 v7, v7, 0, v0
	v_lshlrev_b64 v[15:16], v2, 1
	v_lshrrev_b64 v[0:1], v6, v[0:1]
	v_bfi_b32 v8, v8, 0, 0
	v_cmp_eq_u64_e64 s[26:27], v[7:8], v[15:16]
	v_mov_b32_e32 v2, v1
	v_mov_b32_e32 v1, v0
	s_and_saveexec_b64 s[36:37], s[26:27]
; %bb.1866:                             ;   in Loop: Header=BB6_138 Depth=3
	v_bfe_u32 v1, v0, 21, 1
	v_add_co_u32_e64 v1, s[26:27], v0, v1
	v_add_co_u32_e64 v1, s[26:27], -1, v1
; %bb.1867:                             ;   in Loop: Header=BB6_138 Depth=3
	s_or_b64 exec, exec, s[36:37]
	v_add_u32_e32 v2, 0xffffff81, v5
	v_mov_b32_e32 v4, 0xffffff82
	v_cndmask_b32_e32 v2, v2, v4, vcc
	v_lshrrev_b32_e32 v4, 23, v0
	v_add3_u32 v6, v6, v2, v4
	v_add_u32_e32 v5, 14, v6
	v_and_b32_e32 v1, 0x1fffff, v1
	v_add_u32_e32 v0, v1, v0
	v_mov_b32_e32 v1, v33
	v_cmp_ne_u32_e32 vcc, 0, v5
                                        ; implicit-def: $vgpr2
	s_and_saveexec_b64 s[26:27], vcc
	s_xor_b64 s[26:27], exec, s[26:27]
; %bb.1868:                             ;   in Loop: Header=BB6_138 Depth=3
	v_cmp_lt_u64_e32 vcc, s[88:89], v[0:1]
	v_add_u32_e32 v2, 15, v6
	v_cndmask_b32_e64 v4, 0, 1, vcc
	v_lshrrev_b64 v[0:1], v4, v[0:1]
	v_cndmask_b32_e32 v2, v5, v2, vcc
; %bb.1869:                             ;   in Loop: Header=BB6_138 Depth=3
	s_andn2_saveexec_b64 s[26:27], s[26:27]
; %bb.1870:                             ;   in Loop: Header=BB6_138 Depth=3
	v_bfe_u32 v2, v0, 23, 1
; %bb.1871:                             ;   in Loop: Header=BB6_138 Depth=3
	s_or_b64 exec, exec, s[26:27]
	v_lshrrev_b64 v[0:1], 21, v[0:1]
	v_cmp_gt_i32_e32 vcc, 32, v2
	v_cndmask_b32_e32 v1, 0, v1, vcc
	v_cndmask_b32_e32 v0, 3, v0, vcc
	v_cmp_eq_u64_e64 s[26:27], 0, v[0:1]
	v_min_i32_e32 v1, 31, v2
	v_lshlrev_b32_e32 v1, 2, v1
	v_cmp_eq_u32_e32 vcc, 0, v2
	v_and_b32_e32 v1, 0xfc, v1
	v_and_or_b32 v0, v0, 3, v1
	s_and_b64 s[26:27], vcc, s[26:27]
	v_cndmask_b32_e64 v0, v0, 0, s[26:27]
	v_or_b32_e32 v0, v0, v3
	buffer_store_dword v0, off, s[0:3], s33 offset:560 ; 4-byte Folded Spill
.LBB6_1872:                             ;   in Loop: Header=BB6_138 Depth=3
	s_or_b64 exec, exec, s[34:35]
                                        ; implicit-def: $vgpr3
.LBB6_1873:                             ;   in Loop: Header=BB6_138 Depth=3
	s_andn2_saveexec_b64 s[26:27], s[30:31]
	s_cbranch_execz .LBB6_1875
; %bb.1874:                             ;   in Loop: Header=BB6_138 Depth=3
	v_or_b32_e32 v0, 0x7b, v3
	buffer_store_dword v0, off, s[0:3], s33 offset:560 ; 4-byte Folded Spill
.LBB6_1875:                             ;   in Loop: Header=BB6_138 Depth=3
	s_or_b64 exec, exec, s[26:27]
                                        ; implicit-def: $vgpr2
                                        ; implicit-def: $vgpr0_vgpr1
.LBB6_1876:                             ;   in Loop: Header=BB6_138 Depth=3
	s_andn2_saveexec_b64 s[26:27], s[94:95]
	s_cbranch_execz .LBB6_1882
; %bb.1877:                             ;   in Loop: Header=BB6_138 Depth=3
	v_cmp_ne_u64_e32 vcc, 0, v[0:1]
                                        ; implicit-def: $vgpr0
                                        ; kill: killed $vgpr0
	s_and_saveexec_b64 s[62:63], vcc
	s_xor_b64 s[94:95], exec, s[62:63]
	s_cbranch_execz .LBB6_1879
; %bb.1878:                             ;   in Loop: Header=BB6_138 Depth=3
	v_or_b32_sdwa v0, v2, s44 dst_sel:DWORD dst_unused:UNUSED_PAD src0_sel:BYTE_3 src1_sel:DWORD
	buffer_store_dword v0, off, s[0:3], s33 offset:560 ; 4-byte Folded Spill
                                        ; implicit-def: $vgpr2
.LBB6_1879:                             ;   in Loop: Header=BB6_138 Depth=3
	s_andn2_saveexec_b64 s[94:95], s[94:95]
	s_cbranch_execz .LBB6_1881
; %bb.1880:                             ;   in Loop: Header=BB6_138 Depth=3
	v_cmp_lt_i32_e32 vcc, -1, v2
	v_bfrev_b32_e32 v0, 0.5
	v_mov_b32_e32 v1, 0x7c
	v_cndmask_b32_e32 v0, v0, v1, vcc
	buffer_store_dword v0, off, s[0:3], s33 offset:560 ; 4-byte Folded Spill
.LBB6_1881:                             ;   in Loop: Header=BB6_138 Depth=3
	s_or_b64 exec, exec, s[94:95]
.LBB6_1882:                             ;   in Loop: Header=BB6_138 Depth=3
	s_or_b64 exec, exec, s[26:27]
	v_lshrrev_b32_e32 v0, 16, v11
	v_cmp_ne_u16_sdwa s[62:63], v0, v33 src0_sel:BYTE_0 src1_sel:DWORD
	v_mov_b32_e32 v1, 0
	s_and_saveexec_b64 s[26:27], s[62:63]
	s_cbranch_execz .LBB6_1890
; %bb.1883:                             ;   in Loop: Header=BB6_138 Depth=3
	v_cmp_ne_u16_sdwa s[62:63], v0, s97 src0_sel:BYTE_0 src1_sel:DWORD
	v_bfrev_b32_e32 v1, 1
	s_and_saveexec_b64 s[94:95], s[62:63]
	s_cbranch_execz .LBB6_1889
; %bb.1884:                             ;   in Loop: Header=BB6_138 Depth=3
	v_and_b32_e32 v1, 0x7c0000, v11
	v_bfe_u32 v2, v11, 16, 2
	v_cmp_ne_u32_e32 vcc, s45, v1
                                        ; implicit-def: $vgpr1
	s_and_saveexec_b64 s[62:63], vcc
	s_xor_b64 s[30:31], exec, s[62:63]
	s_cbranch_execz .LBB6_1886
; %bb.1885:                             ;   in Loop: Header=BB6_138 Depth=3
	v_ffbh_u32_e32 v1, v2
	v_min_u32_e32 v4, 32, v1
	v_subrev_u32_e32 v1, 29, v4
	v_lshlrev_b64 v[0:1], v1, v[0:1]
	v_bfe_u32 v3, v11, 18, 5
	v_and_b32_e32 v0, 3, v0
	v_cmp_eq_u32_e32 vcc, 0, v3
	v_sub_u32_e32 v1, 30, v4
	v_cndmask_b32_e32 v0, v2, v0, vcc
	v_lshlrev_b32_e32 v2, 8, v11
	v_cndmask_b32_e32 v1, v3, v1, vcc
	v_and_b32_e32 v2, 0x80000000, v2
	v_lshl_add_u32 v1, v1, 23, v2
	v_lshl_or_b32 v0, v0, 21, v1
	v_add_u32_e32 v1, 0x38000000, v0
                                        ; implicit-def: $vgpr2
                                        ; implicit-def: $vgpr0
.LBB6_1886:                             ;   in Loop: Header=BB6_138 Depth=3
	s_andn2_saveexec_b64 s[30:31], s[30:31]
; %bb.1887:                             ;   in Loop: Header=BB6_138 Depth=3
	v_mov_b32_e32 v1, -1
	v_cmp_gt_i16_sdwa vcc, sext(v0), v1 src0_sel:BYTE_0 src1_sel:DWORD
	v_mov_b32_e32 v0, 0xff800000
	v_mov_b32_e32 v1, 0x7f800000
	v_cndmask_b32_e32 v0, v0, v1, vcc
	v_cmp_eq_u32_e32 vcc, 0, v2
	v_mov_b32_e32 v1, 0x7f800001
	v_cndmask_b32_e32 v1, v1, v0, vcc
; %bb.1888:                             ;   in Loop: Header=BB6_138 Depth=3
	s_or_b64 exec, exec, s[30:31]
.LBB6_1889:                             ;   in Loop: Header=BB6_138 Depth=3
	s_or_b64 exec, exec, s[94:95]
.LBB6_1890:                             ;   in Loop: Header=BB6_138 Depth=3
	s_or_b64 exec, exec, s[26:27]
	v_mul_f32_e32 v2, v14, v1
	v_and_b32_e32 v3, 0x7f800000, v2
	v_mov_b32_e32 v4, v33
	v_cmp_ne_u64_e32 vcc, s[76:77], v[3:4]
	v_and_b32_e32 v0, 0x7fffff, v2
	v_mov_b32_e32 v1, v33
                                        ; implicit-def: $vgpr3
                                        ; kill: killed $vgpr3
	s_and_saveexec_b64 s[26:27], vcc
	s_xor_b64 s[94:95], exec, s[26:27]
	s_cbranch_execz .LBB6_1904
; %bb.1891:                             ;   in Loop: Header=BB6_138 Depth=3
	v_and_b32_e32 v3, 0x7fffffff, v2
	v_mov_b32_e32 v4, v33
	v_cmp_gt_u64_e32 vcc, s[78:79], v[3:4]
	v_and_b32_sdwa v3, v2, s97 dst_sel:DWORD dst_unused:UNUSED_PAD src0_sel:BYTE_3 src1_sel:DWORD
                                        ; implicit-def: $vgpr4
                                        ; kill: killed $vgpr4
	s_and_saveexec_b64 s[26:27], vcc
	s_xor_b64 s[30:31], exec, s[26:27]
	s_cbranch_execz .LBB6_1901
; %bb.1892:                             ;   in Loop: Header=BB6_138 Depth=3
	v_mov_b32_e32 v4, 0
	v_cmp_ne_u32_e32 vcc, 0, v2
	buffer_store_dword v4, off, s[0:3], s33 offset:564 ; 4-byte Folded Spill
	s_and_saveexec_b64 s[34:35], vcc
	s_cbranch_execz .LBB6_1900
; %bb.1893:                             ;   in Loop: Header=BB6_138 Depth=3
	v_bfe_u32 v5, v2, 23, 8
	v_cmp_gt_u32_e64 s[26:27], s47, v5
	v_sub_u32_e32 v2, 0x71, v5
	v_cmp_eq_u32_e32 vcc, 0, v5
	v_cndmask_b32_e64 v2, 0, v2, s[26:27]
	v_mov_b32_e32 v6, 0x70
	v_cndmask_b32_e32 v6, v2, v6, vcc
	v_add_u32_e32 v2, 21, v6
	v_or_b32_e32 v4, 0x800000, v0
	v_lshlrev_b64 v[7:8], v2, -1
	v_cndmask_b32_e32 v0, v4, v0, vcc
	v_add_u32_e32 v2, 20, v6
	v_bfi_b32 v7, v7, 0, v0
	v_lshlrev_b64 v[15:16], v2, 1
	v_lshrrev_b64 v[0:1], v6, v[0:1]
	v_bfi_b32 v8, v8, 0, 0
	v_cmp_eq_u64_e64 s[26:27], v[7:8], v[15:16]
	v_mov_b32_e32 v2, v1
	v_mov_b32_e32 v1, v0
	s_and_saveexec_b64 s[36:37], s[26:27]
; %bb.1894:                             ;   in Loop: Header=BB6_138 Depth=3
	v_bfe_u32 v1, v0, 21, 1
	v_add_co_u32_e64 v1, s[26:27], v0, v1
	v_add_co_u32_e64 v1, s[26:27], -1, v1
; %bb.1895:                             ;   in Loop: Header=BB6_138 Depth=3
	s_or_b64 exec, exec, s[36:37]
	v_add_u32_e32 v2, 0xffffff81, v5
	v_mov_b32_e32 v4, 0xffffff82
	v_cndmask_b32_e32 v2, v2, v4, vcc
	v_lshrrev_b32_e32 v4, 23, v0
	v_add3_u32 v6, v6, v2, v4
	v_add_u32_e32 v5, 14, v6
	v_and_b32_e32 v1, 0x1fffff, v1
	v_add_u32_e32 v0, v1, v0
	v_mov_b32_e32 v1, v33
	v_cmp_ne_u32_e32 vcc, 0, v5
                                        ; implicit-def: $vgpr2
	s_and_saveexec_b64 s[26:27], vcc
	s_xor_b64 s[26:27], exec, s[26:27]
; %bb.1896:                             ;   in Loop: Header=BB6_138 Depth=3
	v_cmp_lt_u64_e32 vcc, s[88:89], v[0:1]
	v_add_u32_e32 v2, 15, v6
	v_cndmask_b32_e64 v4, 0, 1, vcc
	v_lshrrev_b64 v[0:1], v4, v[0:1]
	v_cndmask_b32_e32 v2, v5, v2, vcc
; %bb.1897:                             ;   in Loop: Header=BB6_138 Depth=3
	s_andn2_saveexec_b64 s[26:27], s[26:27]
; %bb.1898:                             ;   in Loop: Header=BB6_138 Depth=3
	v_bfe_u32 v2, v0, 23, 1
; %bb.1899:                             ;   in Loop: Header=BB6_138 Depth=3
	s_or_b64 exec, exec, s[26:27]
	v_lshrrev_b64 v[0:1], 21, v[0:1]
	v_cmp_gt_i32_e32 vcc, 32, v2
	v_cndmask_b32_e32 v1, 0, v1, vcc
	v_cndmask_b32_e32 v0, 3, v0, vcc
	v_cmp_eq_u64_e64 s[26:27], 0, v[0:1]
	v_min_i32_e32 v1, 31, v2
	v_lshlrev_b32_e32 v1, 2, v1
	v_cmp_eq_u32_e32 vcc, 0, v2
	v_and_b32_e32 v1, 0xfc, v1
	v_and_or_b32 v0, v0, 3, v1
	s_and_b64 s[26:27], vcc, s[26:27]
	v_cndmask_b32_e64 v0, v0, 0, s[26:27]
	v_or_b32_e32 v0, v0, v3
	buffer_store_dword v0, off, s[0:3], s33 offset:564 ; 4-byte Folded Spill
.LBB6_1900:                             ;   in Loop: Header=BB6_138 Depth=3
	s_or_b64 exec, exec, s[34:35]
                                        ; implicit-def: $vgpr3
.LBB6_1901:                             ;   in Loop: Header=BB6_138 Depth=3
	s_andn2_saveexec_b64 s[26:27], s[30:31]
	s_cbranch_execz .LBB6_1903
; %bb.1902:                             ;   in Loop: Header=BB6_138 Depth=3
	v_or_b32_e32 v0, 0x7b, v3
	buffer_store_dword v0, off, s[0:3], s33 offset:564 ; 4-byte Folded Spill
.LBB6_1903:                             ;   in Loop: Header=BB6_138 Depth=3
	s_or_b64 exec, exec, s[26:27]
                                        ; implicit-def: $vgpr2
                                        ; implicit-def: $vgpr0_vgpr1
.LBB6_1904:                             ;   in Loop: Header=BB6_138 Depth=3
	s_andn2_saveexec_b64 s[26:27], s[94:95]
	s_cbranch_execz .LBB6_1910
; %bb.1905:                             ;   in Loop: Header=BB6_138 Depth=3
	v_cmp_ne_u64_e32 vcc, 0, v[0:1]
                                        ; implicit-def: $vgpr0
                                        ; kill: killed $vgpr0
	s_and_saveexec_b64 s[62:63], vcc
	s_xor_b64 s[94:95], exec, s[62:63]
	s_cbranch_execz .LBB6_1907
; %bb.1906:                             ;   in Loop: Header=BB6_138 Depth=3
	v_or_b32_sdwa v0, v2, s44 dst_sel:DWORD dst_unused:UNUSED_PAD src0_sel:BYTE_3 src1_sel:DWORD
	buffer_store_dword v0, off, s[0:3], s33 offset:564 ; 4-byte Folded Spill
                                        ; implicit-def: $vgpr2
.LBB6_1907:                             ;   in Loop: Header=BB6_138 Depth=3
	s_andn2_saveexec_b64 s[94:95], s[94:95]
	s_cbranch_execz .LBB6_1909
; %bb.1908:                             ;   in Loop: Header=BB6_138 Depth=3
	v_cmp_lt_i32_e32 vcc, -1, v2
	v_bfrev_b32_e32 v0, 0.5
	v_mov_b32_e32 v1, 0x7c
	v_cndmask_b32_e32 v0, v0, v1, vcc
	buffer_store_dword v0, off, s[0:3], s33 offset:564 ; 4-byte Folded Spill
.LBB6_1909:                             ;   in Loop: Header=BB6_138 Depth=3
	s_or_b64 exec, exec, s[94:95]
.LBB6_1910:                             ;   in Loop: Header=BB6_138 Depth=3
	s_or_b64 exec, exec, s[26:27]
	v_cmp_lt_u64_e32 vcc, s[56:57], v[10:11]
	v_mov_b32_e32 v1, 0
	s_and_saveexec_b64 s[26:27], vcc
	s_cbranch_execz .LBB6_1918
; %bb.1911:                             ;   in Loop: Header=BB6_138 Depth=3
	v_lshrrev_b32_e32 v0, 24, v11
	v_cmp_ne_u32_e32 vcc, s97, v0
	v_bfrev_b32_e32 v1, 1
	s_and_saveexec_b64 s[94:95], vcc
	s_cbranch_execz .LBB6_1917
; %bb.1912:                             ;   in Loop: Header=BB6_138 Depth=3
	v_and_b32_e32 v1, 0x7c000000, v11
	v_bfe_u32 v2, v11, 24, 2
	v_cmp_ne_u32_e32 vcc, s68, v1
                                        ; implicit-def: $vgpr1
	s_and_saveexec_b64 s[62:63], vcc
	s_xor_b64 s[30:31], exec, s[62:63]
	s_cbranch_execz .LBB6_1914
; %bb.1913:                             ;   in Loop: Header=BB6_138 Depth=3
	v_ffbh_u32_e32 v1, v2
	v_min_u32_e32 v4, 32, v1
	v_subrev_u32_e32 v1, 29, v4
	v_lshlrev_b64 v[0:1], v1, v[0:1]
	v_bfe_u32 v3, v11, 26, 5
	v_sub_u32_e32 v1, 30, v4
	v_and_b32_e32 v0, 3, v0
	v_cmp_eq_u32_e32 vcc, 0, v3
	v_cndmask_b32_e32 v1, v3, v1, vcc
	v_cndmask_b32_e32 v0, v2, v0, vcc
	v_and_b32_e32 v2, 0x80000000, v11
	v_lshl_add_u32 v1, v1, 23, v2
	v_lshl_or_b32 v0, v0, 21, v1
	v_add_u32_e32 v1, 0x38000000, v0
                                        ; implicit-def: $vgpr2
                                        ; implicit-def: $vgpr10_vgpr11
.LBB6_1914:                             ;   in Loop: Header=BB6_138 Depth=3
	s_andn2_saveexec_b64 s[30:31], s[30:31]
; %bb.1915:                             ;   in Loop: Header=BB6_138 Depth=3
	v_cmp_lt_i64_e32 vcc, -1, v[10:11]
	v_mov_b32_e32 v0, 0xff800000
	v_mov_b32_e32 v1, 0x7f800000
	v_cndmask_b32_e32 v0, v0, v1, vcc
	v_cmp_eq_u32_e32 vcc, 0, v2
	v_mov_b32_e32 v1, 0x7f800001
	v_cndmask_b32_e32 v1, v1, v0, vcc
; %bb.1916:                             ;   in Loop: Header=BB6_138 Depth=3
	s_or_b64 exec, exec, s[30:31]
.LBB6_1917:                             ;   in Loop: Header=BB6_138 Depth=3
	s_or_b64 exec, exec, s[94:95]
.LBB6_1918:                             ;   in Loop: Header=BB6_138 Depth=3
	s_or_b64 exec, exec, s[26:27]
	v_mul_f32_e32 v2, v14, v1
	v_and_b32_e32 v3, 0x7f800000, v2
	v_mov_b32_e32 v4, v33
	v_cmp_ne_u64_e32 vcc, s[76:77], v[3:4]
	v_and_b32_e32 v0, 0x7fffff, v2
	v_mov_b32_e32 v1, v33
                                        ; implicit-def: $vgpr3
                                        ; kill: killed $vgpr3
	s_and_saveexec_b64 s[26:27], vcc
	s_xor_b64 s[94:95], exec, s[26:27]
	s_cbranch_execz .LBB6_1932
; %bb.1919:                             ;   in Loop: Header=BB6_138 Depth=3
	v_and_b32_e32 v3, 0x7fffffff, v2
	v_mov_b32_e32 v4, v33
	v_cmp_gt_u64_e32 vcc, s[78:79], v[3:4]
	v_and_b32_sdwa v3, v2, s97 dst_sel:DWORD dst_unused:UNUSED_PAD src0_sel:BYTE_3 src1_sel:DWORD
                                        ; implicit-def: $vgpr4
                                        ; kill: killed $vgpr4
	s_and_saveexec_b64 s[26:27], vcc
	s_xor_b64 s[30:31], exec, s[26:27]
	s_cbranch_execz .LBB6_1929
; %bb.1920:                             ;   in Loop: Header=BB6_138 Depth=3
	v_mov_b32_e32 v4, 0
	v_cmp_ne_u32_e32 vcc, 0, v2
	buffer_store_dword v4, off, s[0:3], s33 offset:572 ; 4-byte Folded Spill
	s_and_saveexec_b64 s[34:35], vcc
	s_cbranch_execz .LBB6_1928
; %bb.1921:                             ;   in Loop: Header=BB6_138 Depth=3
	v_bfe_u32 v5, v2, 23, 8
	v_cmp_gt_u32_e64 s[26:27], s47, v5
	v_sub_u32_e32 v2, 0x71, v5
	v_cmp_eq_u32_e32 vcc, 0, v5
	v_cndmask_b32_e64 v2, 0, v2, s[26:27]
	v_mov_b32_e32 v6, 0x70
	v_cndmask_b32_e32 v6, v2, v6, vcc
	v_add_u32_e32 v2, 21, v6
	v_or_b32_e32 v4, 0x800000, v0
	v_lshlrev_b64 v[7:8], v2, -1
	v_cndmask_b32_e32 v0, v4, v0, vcc
	v_add_u32_e32 v2, 20, v6
	v_bfi_b32 v7, v7, 0, v0
	v_lshlrev_b64 v[9:10], v2, 1
	v_lshrrev_b64 v[0:1], v6, v[0:1]
	v_bfi_b32 v8, v8, 0, 0
	v_cmp_eq_u64_e64 s[26:27], v[7:8], v[9:10]
	v_mov_b32_e32 v2, v1
	v_mov_b32_e32 v1, v0
	s_and_saveexec_b64 s[36:37], s[26:27]
; %bb.1922:                             ;   in Loop: Header=BB6_138 Depth=3
	v_bfe_u32 v1, v0, 21, 1
	v_add_co_u32_e64 v1, s[26:27], v0, v1
	v_add_co_u32_e64 v1, s[26:27], -1, v1
; %bb.1923:                             ;   in Loop: Header=BB6_138 Depth=3
	s_or_b64 exec, exec, s[36:37]
	v_add_u32_e32 v2, 0xffffff81, v5
	v_mov_b32_e32 v4, 0xffffff82
	v_cndmask_b32_e32 v2, v2, v4, vcc
	v_lshrrev_b32_e32 v4, 23, v0
	v_add3_u32 v6, v6, v2, v4
	v_add_u32_e32 v5, 14, v6
	v_and_b32_e32 v1, 0x1fffff, v1
	v_add_u32_e32 v0, v1, v0
	v_mov_b32_e32 v1, v33
	v_cmp_ne_u32_e32 vcc, 0, v5
                                        ; implicit-def: $vgpr2
	s_and_saveexec_b64 s[26:27], vcc
	s_xor_b64 s[26:27], exec, s[26:27]
; %bb.1924:                             ;   in Loop: Header=BB6_138 Depth=3
	v_cmp_lt_u64_e32 vcc, s[88:89], v[0:1]
	v_add_u32_e32 v2, 15, v6
	v_cndmask_b32_e64 v4, 0, 1, vcc
	v_lshrrev_b64 v[0:1], v4, v[0:1]
	v_cndmask_b32_e32 v2, v5, v2, vcc
; %bb.1925:                             ;   in Loop: Header=BB6_138 Depth=3
	s_andn2_saveexec_b64 s[26:27], s[26:27]
; %bb.1926:                             ;   in Loop: Header=BB6_138 Depth=3
	v_bfe_u32 v2, v0, 23, 1
; %bb.1927:                             ;   in Loop: Header=BB6_138 Depth=3
	s_or_b64 exec, exec, s[26:27]
	v_lshrrev_b64 v[0:1], 21, v[0:1]
	v_cmp_gt_i32_e32 vcc, 32, v2
	v_cndmask_b32_e32 v1, 0, v1, vcc
	v_cndmask_b32_e32 v0, 3, v0, vcc
	v_cmp_eq_u64_e64 s[26:27], 0, v[0:1]
	v_min_i32_e32 v1, 31, v2
	v_lshlrev_b32_e32 v1, 2, v1
	v_cmp_eq_u32_e32 vcc, 0, v2
	v_and_b32_e32 v1, 0xfc, v1
	v_and_or_b32 v0, v0, 3, v1
	s_and_b64 s[26:27], vcc, s[26:27]
	v_cndmask_b32_e64 v0, v0, 0, s[26:27]
	v_or_b32_e32 v0, v0, v3
	buffer_store_dword v0, off, s[0:3], s33 offset:572 ; 4-byte Folded Spill
.LBB6_1928:                             ;   in Loop: Header=BB6_138 Depth=3
	s_or_b64 exec, exec, s[34:35]
                                        ; implicit-def: $vgpr3
.LBB6_1929:                             ;   in Loop: Header=BB6_138 Depth=3
	s_andn2_saveexec_b64 s[26:27], s[30:31]
	s_cbranch_execz .LBB6_1931
; %bb.1930:                             ;   in Loop: Header=BB6_138 Depth=3
	v_or_b32_e32 v0, 0x7b, v3
	buffer_store_dword v0, off, s[0:3], s33 offset:572 ; 4-byte Folded Spill
.LBB6_1931:                             ;   in Loop: Header=BB6_138 Depth=3
	s_or_b64 exec, exec, s[26:27]
                                        ; implicit-def: $vgpr2
                                        ; implicit-def: $vgpr0_vgpr1
.LBB6_1932:                             ;   in Loop: Header=BB6_138 Depth=3
	s_andn2_saveexec_b64 s[26:27], s[94:95]
	s_cbranch_execz .LBB6_1938
; %bb.1933:                             ;   in Loop: Header=BB6_138 Depth=3
	v_cmp_ne_u64_e32 vcc, 0, v[0:1]
                                        ; implicit-def: $vgpr0
                                        ; kill: killed $vgpr0
	s_and_saveexec_b64 s[62:63], vcc
	s_xor_b64 s[94:95], exec, s[62:63]
	s_cbranch_execz .LBB6_1935
; %bb.1934:                             ;   in Loop: Header=BB6_138 Depth=3
	v_or_b32_sdwa v0, v2, s44 dst_sel:DWORD dst_unused:UNUSED_PAD src0_sel:BYTE_3 src1_sel:DWORD
	buffer_store_dword v0, off, s[0:3], s33 offset:572 ; 4-byte Folded Spill
                                        ; implicit-def: $vgpr2
.LBB6_1935:                             ;   in Loop: Header=BB6_138 Depth=3
	s_andn2_saveexec_b64 s[94:95], s[94:95]
	s_cbranch_execz .LBB6_1937
; %bb.1936:                             ;   in Loop: Header=BB6_138 Depth=3
	v_cmp_lt_i32_e32 vcc, -1, v2
	v_bfrev_b32_e32 v0, 0.5
	v_mov_b32_e32 v1, 0x7c
	v_cndmask_b32_e32 v0, v0, v1, vcc
	buffer_store_dword v0, off, s[0:3], s33 offset:572 ; 4-byte Folded Spill
.LBB6_1937:                             ;   in Loop: Header=BB6_138 Depth=3
	s_or_b64 exec, exec, s[94:95]
.LBB6_1938:                             ;   in Loop: Header=BB6_138 Depth=3
	s_or_b64 exec, exec, s[26:27]
	v_add_co_u32_e32 v0, vcc, 0x1000, v12
	v_addc_co_u32_e32 v1, vcc, 0, v13, vcc
	global_load_dwordx4 v[8:11], v[0:1], off glc slc
	v_mov_b32_e32 v0, 0
	s_waitcnt vmcnt(0)
	v_cmp_ne_u16_sdwa s[62:63], v8, v33 src0_sel:BYTE_0 src1_sel:DWORD
	s_and_saveexec_b64 s[26:27], s[62:63]
	s_cbranch_execz .LBB6_1946
; %bb.1939:                             ;   in Loop: Header=BB6_138 Depth=3
	v_cmp_ne_u16_sdwa s[62:63], sext(v8), s46 src0_sel:BYTE_0 src1_sel:DWORD
	v_bfrev_b32_e32 v0, 1
	s_and_saveexec_b64 s[94:95], s[62:63]
	s_cbranch_execz .LBB6_1945
; %bb.1940:                             ;   in Loop: Header=BB6_138 Depth=3
	v_and_b32_e32 v0, 0x7c, v8
	v_and_b32_e32 v1, 3, v8
	v_cmp_ne_u32_e32 vcc, s86, v0
                                        ; implicit-def: $vgpr0
	s_and_saveexec_b64 s[62:63], vcc
	s_xor_b64 s[30:31], exec, s[62:63]
	s_cbranch_execz .LBB6_1942
; %bb.1941:                             ;   in Loop: Header=BB6_138 Depth=3
	v_ffbh_u32_e32 v2, v1
	v_min_u32_e32 v4, 32, v2
	v_subrev_u32_e32 v2, 29, v4
	v_lshlrev_b64 v[2:3], v2, v[8:9]
	v_bfe_u32 v0, v8, 2, 5
	v_and_b32_e32 v2, 3, v2
	v_cmp_eq_u32_e32 vcc, 0, v0
	v_sub_u32_e32 v3, 30, v4
	v_cndmask_b32_e32 v1, v1, v2, vcc
	v_lshlrev_b32_e32 v2, 24, v8
	v_cndmask_b32_e32 v0, v0, v3, vcc
	v_and_b32_e32 v2, 0x80000000, v2
	v_lshl_add_u32 v0, v0, 23, v2
	v_lshl_or_b32 v0, v1, 21, v0
	v_add_u32_e32 v0, 0x38000000, v0
                                        ; implicit-def: $vgpr1
.LBB6_1942:                             ;   in Loop: Header=BB6_138 Depth=3
	s_andn2_saveexec_b64 s[30:31], s[30:31]
; %bb.1943:                             ;   in Loop: Header=BB6_138 Depth=3
	v_mov_b32_e32 v0, -1
	v_cmp_gt_i16_sdwa vcc, sext(v8), v0 src0_sel:BYTE_0 src1_sel:DWORD
	v_mov_b32_e32 v0, 0xff800000
	v_mov_b32_e32 v2, 0x7f800000
	v_cndmask_b32_e32 v0, v0, v2, vcc
	v_cmp_eq_u32_e32 vcc, 0, v1
	v_mov_b32_e32 v1, 0x7f800001
	v_cndmask_b32_e32 v0, v1, v0, vcc
; %bb.1944:                             ;   in Loop: Header=BB6_138 Depth=3
	s_or_b64 exec, exec, s[30:31]
.LBB6_1945:                             ;   in Loop: Header=BB6_138 Depth=3
	s_or_b64 exec, exec, s[94:95]
.LBB6_1946:                             ;   in Loop: Header=BB6_138 Depth=3
	s_or_b64 exec, exec, s[26:27]
	v_mul_f32_e32 v2, v14, v0
	v_and_b32_e32 v3, 0x7f800000, v2
	v_mov_b32_e32 v4, v33
	v_cmp_ne_u64_e32 vcc, s[76:77], v[3:4]
	v_and_b32_e32 v0, 0x7fffff, v2
	v_mov_b32_e32 v1, v33
                                        ; implicit-def: $vgpr3
                                        ; kill: killed $vgpr3
	s_and_saveexec_b64 s[26:27], vcc
	s_xor_b64 s[94:95], exec, s[26:27]
	s_cbranch_execz .LBB6_1960
; %bb.1947:                             ;   in Loop: Header=BB6_138 Depth=3
	v_and_b32_e32 v3, 0x7fffffff, v2
	v_mov_b32_e32 v4, v33
	v_cmp_gt_u64_e32 vcc, s[78:79], v[3:4]
	v_and_b32_sdwa v3, v2, s97 dst_sel:DWORD dst_unused:UNUSED_PAD src0_sel:BYTE_3 src1_sel:DWORD
                                        ; implicit-def: $vgpr4
                                        ; kill: killed $vgpr4
	s_and_saveexec_b64 s[26:27], vcc
	s_xor_b64 s[30:31], exec, s[26:27]
	s_cbranch_execz .LBB6_1957
; %bb.1948:                             ;   in Loop: Header=BB6_138 Depth=3
	v_mov_b32_e32 v4, 0
	v_cmp_ne_u32_e32 vcc, 0, v2
	buffer_store_dword v4, off, s[0:3], s33 offset:576 ; 4-byte Folded Spill
	s_and_saveexec_b64 s[34:35], vcc
	s_cbranch_execz .LBB6_1956
; %bb.1949:                             ;   in Loop: Header=BB6_138 Depth=3
	v_bfe_u32 v5, v2, 23, 8
	v_cmp_gt_u32_e64 s[26:27], s47, v5
	v_sub_u32_e32 v2, 0x71, v5
	v_cmp_eq_u32_e32 vcc, 0, v5
	v_cndmask_b32_e64 v2, 0, v2, s[26:27]
	v_mov_b32_e32 v6, 0x70
	v_cndmask_b32_e32 v6, v2, v6, vcc
	v_add_u32_e32 v2, 21, v6
	v_or_b32_e32 v4, 0x800000, v0
	v_lshlrev_b64 v[15:16], v2, -1
	v_cndmask_b32_e32 v0, v4, v0, vcc
	v_add_u32_e32 v2, 20, v6
	v_bfi_b32 v15, v15, 0, v0
	v_lshlrev_b64 v[17:18], v2, 1
	v_lshrrev_b64 v[0:1], v6, v[0:1]
	v_bfi_b32 v16, v16, 0, 0
	v_cmp_eq_u64_e64 s[26:27], v[15:16], v[17:18]
	v_mov_b32_e32 v2, v1
	v_mov_b32_e32 v1, v0
	s_and_saveexec_b64 s[36:37], s[26:27]
; %bb.1950:                             ;   in Loop: Header=BB6_138 Depth=3
	v_bfe_u32 v1, v0, 21, 1
	v_add_co_u32_e64 v1, s[26:27], v0, v1
	v_add_co_u32_e64 v1, s[26:27], -1, v1
; %bb.1951:                             ;   in Loop: Header=BB6_138 Depth=3
	s_or_b64 exec, exec, s[36:37]
	v_add_u32_e32 v2, 0xffffff81, v5
	v_mov_b32_e32 v4, 0xffffff82
	v_cndmask_b32_e32 v2, v2, v4, vcc
	v_lshrrev_b32_e32 v4, 23, v0
	v_add3_u32 v6, v6, v2, v4
	v_add_u32_e32 v5, 14, v6
	v_and_b32_e32 v1, 0x1fffff, v1
	v_add_u32_e32 v0, v1, v0
	v_mov_b32_e32 v1, v33
	v_cmp_ne_u32_e32 vcc, 0, v5
                                        ; implicit-def: $vgpr2
	s_and_saveexec_b64 s[26:27], vcc
	s_xor_b64 s[26:27], exec, s[26:27]
; %bb.1952:                             ;   in Loop: Header=BB6_138 Depth=3
	v_cmp_lt_u64_e32 vcc, s[88:89], v[0:1]
	v_add_u32_e32 v2, 15, v6
	v_cndmask_b32_e64 v4, 0, 1, vcc
	v_lshrrev_b64 v[0:1], v4, v[0:1]
	v_cndmask_b32_e32 v2, v5, v2, vcc
; %bb.1953:                             ;   in Loop: Header=BB6_138 Depth=3
	s_andn2_saveexec_b64 s[26:27], s[26:27]
; %bb.1954:                             ;   in Loop: Header=BB6_138 Depth=3
	v_bfe_u32 v2, v0, 23, 1
; %bb.1955:                             ;   in Loop: Header=BB6_138 Depth=3
	s_or_b64 exec, exec, s[26:27]
	v_lshrrev_b64 v[0:1], 21, v[0:1]
	v_cmp_gt_i32_e32 vcc, 32, v2
	v_cndmask_b32_e32 v1, 0, v1, vcc
	v_cndmask_b32_e32 v0, 3, v0, vcc
	v_cmp_eq_u64_e64 s[26:27], 0, v[0:1]
	v_min_i32_e32 v1, 31, v2
	v_lshlrev_b32_e32 v1, 2, v1
	v_cmp_eq_u32_e32 vcc, 0, v2
	v_and_b32_e32 v1, 0xfc, v1
	v_and_or_b32 v0, v0, 3, v1
	s_and_b64 s[26:27], vcc, s[26:27]
	v_cndmask_b32_e64 v0, v0, 0, s[26:27]
	v_or_b32_e32 v0, v0, v3
	buffer_store_dword v0, off, s[0:3], s33 offset:576 ; 4-byte Folded Spill
.LBB6_1956:                             ;   in Loop: Header=BB6_138 Depth=3
	s_or_b64 exec, exec, s[34:35]
                                        ; implicit-def: $vgpr3
.LBB6_1957:                             ;   in Loop: Header=BB6_138 Depth=3
	s_andn2_saveexec_b64 s[26:27], s[30:31]
	s_cbranch_execz .LBB6_1959
; %bb.1958:                             ;   in Loop: Header=BB6_138 Depth=3
	v_or_b32_e32 v0, 0x7b, v3
	buffer_store_dword v0, off, s[0:3], s33 offset:576 ; 4-byte Folded Spill
.LBB6_1959:                             ;   in Loop: Header=BB6_138 Depth=3
	s_or_b64 exec, exec, s[26:27]
                                        ; implicit-def: $vgpr2
                                        ; implicit-def: $vgpr0_vgpr1
.LBB6_1960:                             ;   in Loop: Header=BB6_138 Depth=3
	s_andn2_saveexec_b64 s[26:27], s[94:95]
	s_cbranch_execz .LBB6_1966
; %bb.1961:                             ;   in Loop: Header=BB6_138 Depth=3
	v_cmp_ne_u64_e32 vcc, 0, v[0:1]
                                        ; implicit-def: $vgpr0
                                        ; kill: killed $vgpr0
	s_and_saveexec_b64 s[62:63], vcc
	s_xor_b64 s[94:95], exec, s[62:63]
	s_cbranch_execz .LBB6_1963
; %bb.1962:                             ;   in Loop: Header=BB6_138 Depth=3
	v_or_b32_sdwa v0, v2, s44 dst_sel:DWORD dst_unused:UNUSED_PAD src0_sel:BYTE_3 src1_sel:DWORD
	buffer_store_dword v0, off, s[0:3], s33 offset:576 ; 4-byte Folded Spill
                                        ; implicit-def: $vgpr2
.LBB6_1963:                             ;   in Loop: Header=BB6_138 Depth=3
	s_andn2_saveexec_b64 s[94:95], s[94:95]
	s_cbranch_execz .LBB6_1965
; %bb.1964:                             ;   in Loop: Header=BB6_138 Depth=3
	v_cmp_lt_i32_e32 vcc, -1, v2
	v_bfrev_b32_e32 v0, 0.5
	v_mov_b32_e32 v1, 0x7c
	v_cndmask_b32_e32 v0, v0, v1, vcc
	buffer_store_dword v0, off, s[0:3], s33 offset:576 ; 4-byte Folded Spill
.LBB6_1965:                             ;   in Loop: Header=BB6_138 Depth=3
	s_or_b64 exec, exec, s[94:95]
.LBB6_1966:                             ;   in Loop: Header=BB6_138 Depth=3
	s_or_b64 exec, exec, s[26:27]
	v_lshrrev_b16_e32 v0, 8, v8
	v_cmp_ne_u16_e32 vcc, 0, v0
	v_mov_b32_e32 v1, 0
	s_and_saveexec_b64 s[26:27], vcc
	s_cbranch_execz .LBB6_1974
; %bb.1967:                             ;   in Loop: Header=BB6_138 Depth=3
	v_cmp_ne_u16_e32 vcc, s97, v0
	v_bfrev_b32_e32 v1, 1
	s_and_saveexec_b64 s[94:95], vcc
	s_cbranch_execz .LBB6_1973
; %bb.1968:                             ;   in Loop: Header=BB6_138 Depth=3
	v_and_b32_e32 v1, 0x7c, v0
	v_and_b32_e32 v2, 3, v0
	v_cmp_ne_u32_e32 vcc, s86, v1
                                        ; implicit-def: $vgpr1
	s_and_saveexec_b64 s[62:63], vcc
	s_xor_b64 s[30:31], exec, s[62:63]
	s_cbranch_execz .LBB6_1970
; %bb.1969:                             ;   in Loop: Header=BB6_138 Depth=3
	v_ffbh_u32_e32 v4, v2
	v_min_u32_e32 v4, 32, v4
	v_mov_b32_e32 v1, v33
	v_subrev_u32_e32 v5, 29, v4
	v_bfe_u32 v3, v0, 2, 5
	v_lshlrev_b64 v[0:1], v5, v[0:1]
	v_cmp_eq_u32_e32 vcc, 0, v3
	v_and_b32_e32 v0, 3, v0
	v_sub_u32_e32 v1, 30, v4
	v_cndmask_b32_e32 v0, v2, v0, vcc
	v_lshlrev_b32_e32 v2, 16, v8
	v_cndmask_b32_e32 v1, v3, v1, vcc
	v_and_b32_e32 v2, 0x80000000, v2
	v_lshl_add_u32 v1, v1, 23, v2
	v_lshl_or_b32 v0, v0, 21, v1
	v_add_u32_e32 v1, 0x38000000, v0
                                        ; implicit-def: $vgpr2
.LBB6_1970:                             ;   in Loop: Header=BB6_138 Depth=3
	s_andn2_saveexec_b64 s[30:31], s[30:31]
; %bb.1971:                             ;   in Loop: Header=BB6_138 Depth=3
	v_cmp_lt_i16_e32 vcc, -1, v8
	v_mov_b32_e32 v0, 0xff800000
	v_mov_b32_e32 v1, 0x7f800000
	v_cndmask_b32_e32 v0, v0, v1, vcc
	v_cmp_eq_u32_e32 vcc, 0, v2
	v_mov_b32_e32 v1, 0x7f800001
	v_cndmask_b32_e32 v1, v1, v0, vcc
; %bb.1972:                             ;   in Loop: Header=BB6_138 Depth=3
	s_or_b64 exec, exec, s[30:31]
.LBB6_1973:                             ;   in Loop: Header=BB6_138 Depth=3
	s_or_b64 exec, exec, s[94:95]
.LBB6_1974:                             ;   in Loop: Header=BB6_138 Depth=3
	s_or_b64 exec, exec, s[26:27]
	v_mul_f32_e32 v2, v14, v1
	v_and_b32_e32 v3, 0x7f800000, v2
	v_mov_b32_e32 v4, v33
	v_cmp_ne_u64_e32 vcc, s[76:77], v[3:4]
	v_and_b32_e32 v0, 0x7fffff, v2
	v_mov_b32_e32 v1, v33
                                        ; implicit-def: $vgpr3
                                        ; kill: killed $vgpr3
	s_and_saveexec_b64 s[26:27], vcc
	s_xor_b64 s[94:95], exec, s[26:27]
	s_cbranch_execz .LBB6_1988
; %bb.1975:                             ;   in Loop: Header=BB6_138 Depth=3
	v_and_b32_e32 v3, 0x7fffffff, v2
	v_mov_b32_e32 v4, v33
	v_cmp_gt_u64_e32 vcc, s[78:79], v[3:4]
	v_and_b32_sdwa v3, v2, s97 dst_sel:DWORD dst_unused:UNUSED_PAD src0_sel:BYTE_3 src1_sel:DWORD
                                        ; implicit-def: $vgpr4
                                        ; kill: killed $vgpr4
	s_and_saveexec_b64 s[26:27], vcc
	s_xor_b64 s[30:31], exec, s[26:27]
	s_cbranch_execz .LBB6_1985
; %bb.1976:                             ;   in Loop: Header=BB6_138 Depth=3
	v_mov_b32_e32 v4, 0
	v_cmp_ne_u32_e32 vcc, 0, v2
	buffer_store_dword v4, off, s[0:3], s33 offset:580 ; 4-byte Folded Spill
	s_and_saveexec_b64 s[34:35], vcc
	s_cbranch_execz .LBB6_1984
; %bb.1977:                             ;   in Loop: Header=BB6_138 Depth=3
	v_bfe_u32 v5, v2, 23, 8
	v_cmp_gt_u32_e64 s[26:27], s47, v5
	v_sub_u32_e32 v2, 0x71, v5
	v_cmp_eq_u32_e32 vcc, 0, v5
	v_cndmask_b32_e64 v2, 0, v2, s[26:27]
	v_mov_b32_e32 v6, 0x70
	v_cndmask_b32_e32 v6, v2, v6, vcc
	v_add_u32_e32 v2, 21, v6
	v_or_b32_e32 v4, 0x800000, v0
	v_lshlrev_b64 v[15:16], v2, -1
	v_cndmask_b32_e32 v0, v4, v0, vcc
	v_add_u32_e32 v2, 20, v6
	v_bfi_b32 v15, v15, 0, v0
	v_lshlrev_b64 v[17:18], v2, 1
	v_lshrrev_b64 v[0:1], v6, v[0:1]
	v_bfi_b32 v16, v16, 0, 0
	v_cmp_eq_u64_e64 s[26:27], v[15:16], v[17:18]
	v_mov_b32_e32 v2, v1
	v_mov_b32_e32 v1, v0
	s_and_saveexec_b64 s[36:37], s[26:27]
; %bb.1978:                             ;   in Loop: Header=BB6_138 Depth=3
	v_bfe_u32 v1, v0, 21, 1
	v_add_co_u32_e64 v1, s[26:27], v0, v1
	v_add_co_u32_e64 v1, s[26:27], -1, v1
; %bb.1979:                             ;   in Loop: Header=BB6_138 Depth=3
	s_or_b64 exec, exec, s[36:37]
	v_add_u32_e32 v2, 0xffffff81, v5
	v_mov_b32_e32 v4, 0xffffff82
	v_cndmask_b32_e32 v2, v2, v4, vcc
	v_lshrrev_b32_e32 v4, 23, v0
	v_add3_u32 v6, v6, v2, v4
	v_add_u32_e32 v5, 14, v6
	v_and_b32_e32 v1, 0x1fffff, v1
	v_add_u32_e32 v0, v1, v0
	v_mov_b32_e32 v1, v33
	v_cmp_ne_u32_e32 vcc, 0, v5
                                        ; implicit-def: $vgpr2
	s_and_saveexec_b64 s[26:27], vcc
	s_xor_b64 s[26:27], exec, s[26:27]
; %bb.1980:                             ;   in Loop: Header=BB6_138 Depth=3
	v_cmp_lt_u64_e32 vcc, s[88:89], v[0:1]
	v_add_u32_e32 v2, 15, v6
	v_cndmask_b32_e64 v4, 0, 1, vcc
	v_lshrrev_b64 v[0:1], v4, v[0:1]
	v_cndmask_b32_e32 v2, v5, v2, vcc
; %bb.1981:                             ;   in Loop: Header=BB6_138 Depth=3
	s_andn2_saveexec_b64 s[26:27], s[26:27]
; %bb.1982:                             ;   in Loop: Header=BB6_138 Depth=3
	v_bfe_u32 v2, v0, 23, 1
; %bb.1983:                             ;   in Loop: Header=BB6_138 Depth=3
	s_or_b64 exec, exec, s[26:27]
	v_lshrrev_b64 v[0:1], 21, v[0:1]
	v_cmp_gt_i32_e32 vcc, 32, v2
	v_cndmask_b32_e32 v1, 0, v1, vcc
	v_cndmask_b32_e32 v0, 3, v0, vcc
	v_cmp_eq_u64_e64 s[26:27], 0, v[0:1]
	v_min_i32_e32 v1, 31, v2
	v_lshlrev_b32_e32 v1, 2, v1
	v_cmp_eq_u32_e32 vcc, 0, v2
	v_and_b32_e32 v1, 0xfc, v1
	v_and_or_b32 v0, v0, 3, v1
	s_and_b64 s[26:27], vcc, s[26:27]
	v_cndmask_b32_e64 v0, v0, 0, s[26:27]
	v_or_b32_e32 v0, v0, v3
	buffer_store_dword v0, off, s[0:3], s33 offset:580 ; 4-byte Folded Spill
.LBB6_1984:                             ;   in Loop: Header=BB6_138 Depth=3
	s_or_b64 exec, exec, s[34:35]
                                        ; implicit-def: $vgpr3
.LBB6_1985:                             ;   in Loop: Header=BB6_138 Depth=3
	s_andn2_saveexec_b64 s[26:27], s[30:31]
	s_cbranch_execz .LBB6_1987
; %bb.1986:                             ;   in Loop: Header=BB6_138 Depth=3
	v_or_b32_e32 v0, 0x7b, v3
	buffer_store_dword v0, off, s[0:3], s33 offset:580 ; 4-byte Folded Spill
.LBB6_1987:                             ;   in Loop: Header=BB6_138 Depth=3
	s_or_b64 exec, exec, s[26:27]
                                        ; implicit-def: $vgpr2
                                        ; implicit-def: $vgpr0_vgpr1
.LBB6_1988:                             ;   in Loop: Header=BB6_138 Depth=3
	s_andn2_saveexec_b64 s[26:27], s[94:95]
	s_cbranch_execz .LBB6_1994
; %bb.1989:                             ;   in Loop: Header=BB6_138 Depth=3
	v_cmp_ne_u64_e32 vcc, 0, v[0:1]
                                        ; implicit-def: $vgpr0
                                        ; kill: killed $vgpr0
	s_and_saveexec_b64 s[62:63], vcc
	s_xor_b64 s[94:95], exec, s[62:63]
	s_cbranch_execz .LBB6_1991
; %bb.1990:                             ;   in Loop: Header=BB6_138 Depth=3
	v_or_b32_sdwa v0, v2, s44 dst_sel:DWORD dst_unused:UNUSED_PAD src0_sel:BYTE_3 src1_sel:DWORD
	buffer_store_dword v0, off, s[0:3], s33 offset:580 ; 4-byte Folded Spill
                                        ; implicit-def: $vgpr2
.LBB6_1991:                             ;   in Loop: Header=BB6_138 Depth=3
	s_andn2_saveexec_b64 s[94:95], s[94:95]
	s_cbranch_execz .LBB6_1993
; %bb.1992:                             ;   in Loop: Header=BB6_138 Depth=3
	v_cmp_lt_i32_e32 vcc, -1, v2
	v_bfrev_b32_e32 v0, 0.5
	v_mov_b32_e32 v1, 0x7c
	v_cndmask_b32_e32 v0, v0, v1, vcc
	buffer_store_dword v0, off, s[0:3], s33 offset:580 ; 4-byte Folded Spill
.LBB6_1993:                             ;   in Loop: Header=BB6_138 Depth=3
	s_or_b64 exec, exec, s[94:95]
.LBB6_1994:                             ;   in Loop: Header=BB6_138 Depth=3
	s_or_b64 exec, exec, s[26:27]
	v_lshrrev_b32_e32 v0, 16, v8
	v_cmp_ne_u16_sdwa s[62:63], v0, v33 src0_sel:BYTE_0 src1_sel:DWORD
	v_mov_b32_e32 v1, 0
	s_and_saveexec_b64 s[26:27], s[62:63]
	s_cbranch_execz .LBB6_2002
; %bb.1995:                             ;   in Loop: Header=BB6_138 Depth=3
	v_cmp_ne_u16_sdwa s[62:63], v0, s97 src0_sel:BYTE_0 src1_sel:DWORD
	v_bfrev_b32_e32 v1, 1
	s_and_saveexec_b64 s[94:95], s[62:63]
	s_cbranch_execz .LBB6_2001
; %bb.1996:                             ;   in Loop: Header=BB6_138 Depth=3
	v_and_b32_e32 v1, 0x7c0000, v8
	v_bfe_u32 v2, v8, 16, 2
	v_cmp_ne_u32_e32 vcc, s45, v1
                                        ; implicit-def: $vgpr1
	s_and_saveexec_b64 s[62:63], vcc
	s_xor_b64 s[30:31], exec, s[62:63]
	s_cbranch_execz .LBB6_1998
; %bb.1997:                             ;   in Loop: Header=BB6_138 Depth=3
	v_ffbh_u32_e32 v1, v2
	v_min_u32_e32 v4, 32, v1
	v_subrev_u32_e32 v1, 29, v4
	v_lshlrev_b64 v[0:1], v1, v[0:1]
	v_bfe_u32 v3, v8, 18, 5
	v_and_b32_e32 v0, 3, v0
	v_cmp_eq_u32_e32 vcc, 0, v3
	v_sub_u32_e32 v1, 30, v4
	v_cndmask_b32_e32 v0, v2, v0, vcc
	v_lshlrev_b32_e32 v2, 8, v8
	v_cndmask_b32_e32 v1, v3, v1, vcc
	v_and_b32_e32 v2, 0x80000000, v2
	v_lshl_add_u32 v1, v1, 23, v2
	v_lshl_or_b32 v0, v0, 21, v1
	v_add_u32_e32 v1, 0x38000000, v0
                                        ; implicit-def: $vgpr2
                                        ; implicit-def: $vgpr0
.LBB6_1998:                             ;   in Loop: Header=BB6_138 Depth=3
	s_andn2_saveexec_b64 s[30:31], s[30:31]
; %bb.1999:                             ;   in Loop: Header=BB6_138 Depth=3
	v_mov_b32_e32 v1, -1
	v_cmp_gt_i16_sdwa vcc, sext(v0), v1 src0_sel:BYTE_0 src1_sel:DWORD
	v_mov_b32_e32 v0, 0xff800000
	v_mov_b32_e32 v1, 0x7f800000
	v_cndmask_b32_e32 v0, v0, v1, vcc
	v_cmp_eq_u32_e32 vcc, 0, v2
	v_mov_b32_e32 v1, 0x7f800001
	v_cndmask_b32_e32 v1, v1, v0, vcc
; %bb.2000:                             ;   in Loop: Header=BB6_138 Depth=3
	s_or_b64 exec, exec, s[30:31]
.LBB6_2001:                             ;   in Loop: Header=BB6_138 Depth=3
	s_or_b64 exec, exec, s[94:95]
.LBB6_2002:                             ;   in Loop: Header=BB6_138 Depth=3
	s_or_b64 exec, exec, s[26:27]
	v_mul_f32_e32 v2, v14, v1
	v_and_b32_e32 v3, 0x7f800000, v2
	v_mov_b32_e32 v4, v33
	v_cmp_ne_u64_e32 vcc, s[76:77], v[3:4]
	v_and_b32_e32 v0, 0x7fffff, v2
	v_mov_b32_e32 v1, v33
                                        ; implicit-def: $vgpr3
                                        ; kill: killed $vgpr3
	s_and_saveexec_b64 s[26:27], vcc
	s_xor_b64 s[94:95], exec, s[26:27]
	s_cbranch_execz .LBB6_2016
; %bb.2003:                             ;   in Loop: Header=BB6_138 Depth=3
	v_and_b32_e32 v3, 0x7fffffff, v2
	v_mov_b32_e32 v4, v33
	v_cmp_gt_u64_e32 vcc, s[78:79], v[3:4]
	v_and_b32_sdwa v3, v2, s97 dst_sel:DWORD dst_unused:UNUSED_PAD src0_sel:BYTE_3 src1_sel:DWORD
                                        ; implicit-def: $vgpr4
                                        ; kill: killed $vgpr4
	s_and_saveexec_b64 s[26:27], vcc
	s_xor_b64 s[30:31], exec, s[26:27]
	s_cbranch_execz .LBB6_2013
; %bb.2004:                             ;   in Loop: Header=BB6_138 Depth=3
	v_mov_b32_e32 v4, 0
	v_cmp_ne_u32_e32 vcc, 0, v2
	buffer_store_dword v4, off, s[0:3], s33 offset:584 ; 4-byte Folded Spill
	s_and_saveexec_b64 s[34:35], vcc
	s_cbranch_execz .LBB6_2012
; %bb.2005:                             ;   in Loop: Header=BB6_138 Depth=3
	v_bfe_u32 v5, v2, 23, 8
	v_cmp_gt_u32_e64 s[26:27], s47, v5
	v_sub_u32_e32 v2, 0x71, v5
	v_cmp_eq_u32_e32 vcc, 0, v5
	v_cndmask_b32_e64 v2, 0, v2, s[26:27]
	v_mov_b32_e32 v6, 0x70
	v_cndmask_b32_e32 v6, v2, v6, vcc
	v_add_u32_e32 v2, 21, v6
	v_or_b32_e32 v4, 0x800000, v0
	v_lshlrev_b64 v[15:16], v2, -1
	v_cndmask_b32_e32 v0, v4, v0, vcc
	v_add_u32_e32 v2, 20, v6
	v_bfi_b32 v15, v15, 0, v0
	v_lshlrev_b64 v[17:18], v2, 1
	v_lshrrev_b64 v[0:1], v6, v[0:1]
	v_bfi_b32 v16, v16, 0, 0
	v_cmp_eq_u64_e64 s[26:27], v[15:16], v[17:18]
	v_mov_b32_e32 v2, v1
	v_mov_b32_e32 v1, v0
	s_and_saveexec_b64 s[36:37], s[26:27]
; %bb.2006:                             ;   in Loop: Header=BB6_138 Depth=3
	v_bfe_u32 v1, v0, 21, 1
	v_add_co_u32_e64 v1, s[26:27], v0, v1
	v_add_co_u32_e64 v1, s[26:27], -1, v1
; %bb.2007:                             ;   in Loop: Header=BB6_138 Depth=3
	s_or_b64 exec, exec, s[36:37]
	v_add_u32_e32 v2, 0xffffff81, v5
	v_mov_b32_e32 v4, 0xffffff82
	v_cndmask_b32_e32 v2, v2, v4, vcc
	v_lshrrev_b32_e32 v4, 23, v0
	v_add3_u32 v6, v6, v2, v4
	v_add_u32_e32 v5, 14, v6
	v_and_b32_e32 v1, 0x1fffff, v1
	v_add_u32_e32 v0, v1, v0
	v_mov_b32_e32 v1, v33
	v_cmp_ne_u32_e32 vcc, 0, v5
                                        ; implicit-def: $vgpr2
	s_and_saveexec_b64 s[26:27], vcc
	s_xor_b64 s[26:27], exec, s[26:27]
; %bb.2008:                             ;   in Loop: Header=BB6_138 Depth=3
	v_cmp_lt_u64_e32 vcc, s[88:89], v[0:1]
	v_add_u32_e32 v2, 15, v6
	v_cndmask_b32_e64 v4, 0, 1, vcc
	v_lshrrev_b64 v[0:1], v4, v[0:1]
	v_cndmask_b32_e32 v2, v5, v2, vcc
; %bb.2009:                             ;   in Loop: Header=BB6_138 Depth=3
	s_andn2_saveexec_b64 s[26:27], s[26:27]
; %bb.2010:                             ;   in Loop: Header=BB6_138 Depth=3
	v_bfe_u32 v2, v0, 23, 1
; %bb.2011:                             ;   in Loop: Header=BB6_138 Depth=3
	s_or_b64 exec, exec, s[26:27]
	v_lshrrev_b64 v[0:1], 21, v[0:1]
	v_cmp_gt_i32_e32 vcc, 32, v2
	v_cndmask_b32_e32 v1, 0, v1, vcc
	v_cndmask_b32_e32 v0, 3, v0, vcc
	v_cmp_eq_u64_e64 s[26:27], 0, v[0:1]
	v_min_i32_e32 v1, 31, v2
	v_lshlrev_b32_e32 v1, 2, v1
	v_cmp_eq_u32_e32 vcc, 0, v2
	v_and_b32_e32 v1, 0xfc, v1
	v_and_or_b32 v0, v0, 3, v1
	s_and_b64 s[26:27], vcc, s[26:27]
	v_cndmask_b32_e64 v0, v0, 0, s[26:27]
	v_or_b32_e32 v0, v0, v3
	buffer_store_dword v0, off, s[0:3], s33 offset:584 ; 4-byte Folded Spill
.LBB6_2012:                             ;   in Loop: Header=BB6_138 Depth=3
	s_or_b64 exec, exec, s[34:35]
                                        ; implicit-def: $vgpr3
.LBB6_2013:                             ;   in Loop: Header=BB6_138 Depth=3
	s_andn2_saveexec_b64 s[26:27], s[30:31]
	s_cbranch_execz .LBB6_2015
; %bb.2014:                             ;   in Loop: Header=BB6_138 Depth=3
	v_or_b32_e32 v0, 0x7b, v3
	buffer_store_dword v0, off, s[0:3], s33 offset:584 ; 4-byte Folded Spill
.LBB6_2015:                             ;   in Loop: Header=BB6_138 Depth=3
	s_or_b64 exec, exec, s[26:27]
                                        ; implicit-def: $vgpr2
                                        ; implicit-def: $vgpr0_vgpr1
.LBB6_2016:                             ;   in Loop: Header=BB6_138 Depth=3
	s_andn2_saveexec_b64 s[26:27], s[94:95]
	s_cbranch_execz .LBB6_2022
; %bb.2017:                             ;   in Loop: Header=BB6_138 Depth=3
	v_cmp_ne_u64_e32 vcc, 0, v[0:1]
                                        ; implicit-def: $vgpr0
                                        ; kill: killed $vgpr0
	s_and_saveexec_b64 s[62:63], vcc
	s_xor_b64 s[94:95], exec, s[62:63]
	s_cbranch_execz .LBB6_2019
; %bb.2018:                             ;   in Loop: Header=BB6_138 Depth=3
	v_or_b32_sdwa v0, v2, s44 dst_sel:DWORD dst_unused:UNUSED_PAD src0_sel:BYTE_3 src1_sel:DWORD
	buffer_store_dword v0, off, s[0:3], s33 offset:584 ; 4-byte Folded Spill
                                        ; implicit-def: $vgpr2
.LBB6_2019:                             ;   in Loop: Header=BB6_138 Depth=3
	s_andn2_saveexec_b64 s[94:95], s[94:95]
	s_cbranch_execz .LBB6_2021
; %bb.2020:                             ;   in Loop: Header=BB6_138 Depth=3
	v_cmp_lt_i32_e32 vcc, -1, v2
	v_bfrev_b32_e32 v0, 0.5
	v_mov_b32_e32 v1, 0x7c
	v_cndmask_b32_e32 v0, v0, v1, vcc
	buffer_store_dword v0, off, s[0:3], s33 offset:584 ; 4-byte Folded Spill
.LBB6_2021:                             ;   in Loop: Header=BB6_138 Depth=3
	s_or_b64 exec, exec, s[94:95]
.LBB6_2022:                             ;   in Loop: Header=BB6_138 Depth=3
	s_or_b64 exec, exec, s[26:27]
	v_cmp_lt_u32_e32 vcc, s57, v8
	v_mov_b32_e32 v1, 0
	s_and_saveexec_b64 s[26:27], vcc
	s_cbranch_execz .LBB6_2030
; %bb.2023:                             ;   in Loop: Header=BB6_138 Depth=3
	v_lshrrev_b32_e32 v0, 24, v8
	v_cmp_ne_u32_e32 vcc, s97, v0
	v_bfrev_b32_e32 v1, 1
	s_and_saveexec_b64 s[94:95], vcc
	s_cbranch_execz .LBB6_2029
; %bb.2024:                             ;   in Loop: Header=BB6_138 Depth=3
	v_and_b32_e32 v1, 0x7c000000, v8
	v_bfe_u32 v2, v8, 24, 2
	v_cmp_ne_u32_e32 vcc, s68, v1
                                        ; implicit-def: $vgpr1
	s_and_saveexec_b64 s[62:63], vcc
	s_xor_b64 s[30:31], exec, s[62:63]
	s_cbranch_execz .LBB6_2026
; %bb.2025:                             ;   in Loop: Header=BB6_138 Depth=3
	v_ffbh_u32_e32 v1, v2
	v_min_u32_e32 v4, 32, v1
	v_subrev_u32_e32 v1, 29, v4
	v_lshlrev_b64 v[0:1], v1, v[0:1]
	v_bfe_u32 v3, v8, 26, 5
	v_sub_u32_e32 v1, 30, v4
	v_and_b32_e32 v0, 3, v0
	v_cmp_eq_u32_e32 vcc, 0, v3
	v_cndmask_b32_e32 v1, v3, v1, vcc
	v_cndmask_b32_e32 v0, v2, v0, vcc
	v_and_b32_e32 v2, 0x80000000, v8
	v_lshl_add_u32 v1, v1, 23, v2
	v_lshl_or_b32 v0, v0, 21, v1
	v_add_u32_e32 v1, 0x38000000, v0
                                        ; implicit-def: $vgpr2
.LBB6_2026:                             ;   in Loop: Header=BB6_138 Depth=3
	s_andn2_saveexec_b64 s[30:31], s[30:31]
; %bb.2027:                             ;   in Loop: Header=BB6_138 Depth=3
	v_cmp_lt_i32_e32 vcc, -1, v8
	v_mov_b32_e32 v0, 0xff800000
	v_mov_b32_e32 v1, 0x7f800000
	v_cndmask_b32_e32 v0, v0, v1, vcc
	v_cmp_eq_u32_e32 vcc, 0, v2
	v_mov_b32_e32 v1, 0x7f800001
	v_cndmask_b32_e32 v1, v1, v0, vcc
; %bb.2028:                             ;   in Loop: Header=BB6_138 Depth=3
	s_or_b64 exec, exec, s[30:31]
.LBB6_2029:                             ;   in Loop: Header=BB6_138 Depth=3
	s_or_b64 exec, exec, s[94:95]
.LBB6_2030:                             ;   in Loop: Header=BB6_138 Depth=3
	s_or_b64 exec, exec, s[26:27]
	v_mul_f32_e32 v2, v14, v1
	v_and_b32_e32 v3, 0x7f800000, v2
	v_mov_b32_e32 v4, v33
	v_cmp_ne_u64_e32 vcc, s[76:77], v[3:4]
	v_and_b32_e32 v0, 0x7fffff, v2
	v_mov_b32_e32 v1, v33
                                        ; implicit-def: $vgpr3
                                        ; kill: killed $vgpr3
	s_and_saveexec_b64 s[26:27], vcc
	s_xor_b64 s[94:95], exec, s[26:27]
	s_cbranch_execz .LBB6_2044
; %bb.2031:                             ;   in Loop: Header=BB6_138 Depth=3
	v_and_b32_e32 v3, 0x7fffffff, v2
	v_mov_b32_e32 v4, v33
	v_cmp_gt_u64_e32 vcc, s[78:79], v[3:4]
	v_and_b32_sdwa v3, v2, s97 dst_sel:DWORD dst_unused:UNUSED_PAD src0_sel:BYTE_3 src1_sel:DWORD
                                        ; implicit-def: $vgpr4
                                        ; kill: killed $vgpr4
	s_and_saveexec_b64 s[26:27], vcc
	s_xor_b64 s[30:31], exec, s[26:27]
	s_cbranch_execz .LBB6_2041
; %bb.2032:                             ;   in Loop: Header=BB6_138 Depth=3
	v_mov_b32_e32 v4, 0
	v_cmp_ne_u32_e32 vcc, 0, v2
	buffer_store_dword v4, off, s[0:3], s33 offset:588 ; 4-byte Folded Spill
	s_and_saveexec_b64 s[34:35], vcc
	s_cbranch_execz .LBB6_2040
; %bb.2033:                             ;   in Loop: Header=BB6_138 Depth=3
	v_bfe_u32 v5, v2, 23, 8
	v_cmp_gt_u32_e64 s[26:27], s47, v5
	v_sub_u32_e32 v2, 0x71, v5
	v_cmp_eq_u32_e32 vcc, 0, v5
	v_cndmask_b32_e64 v2, 0, v2, s[26:27]
	v_mov_b32_e32 v6, 0x70
	v_cndmask_b32_e32 v6, v2, v6, vcc
	v_add_u32_e32 v2, 21, v6
	v_or_b32_e32 v4, 0x800000, v0
	v_lshlrev_b64 v[15:16], v2, -1
	v_cndmask_b32_e32 v0, v4, v0, vcc
	v_add_u32_e32 v2, 20, v6
	v_bfi_b32 v15, v15, 0, v0
	v_lshlrev_b64 v[17:18], v2, 1
	v_lshrrev_b64 v[0:1], v6, v[0:1]
	v_bfi_b32 v16, v16, 0, 0
	v_cmp_eq_u64_e64 s[26:27], v[15:16], v[17:18]
	v_mov_b32_e32 v2, v1
	v_mov_b32_e32 v1, v0
	s_and_saveexec_b64 s[36:37], s[26:27]
; %bb.2034:                             ;   in Loop: Header=BB6_138 Depth=3
	v_bfe_u32 v1, v0, 21, 1
	v_add_co_u32_e64 v1, s[26:27], v0, v1
	v_add_co_u32_e64 v1, s[26:27], -1, v1
; %bb.2035:                             ;   in Loop: Header=BB6_138 Depth=3
	s_or_b64 exec, exec, s[36:37]
	v_add_u32_e32 v2, 0xffffff81, v5
	v_mov_b32_e32 v4, 0xffffff82
	v_cndmask_b32_e32 v2, v2, v4, vcc
	v_lshrrev_b32_e32 v4, 23, v0
	v_add3_u32 v6, v6, v2, v4
	v_add_u32_e32 v5, 14, v6
	v_and_b32_e32 v1, 0x1fffff, v1
	v_add_u32_e32 v0, v1, v0
	v_mov_b32_e32 v1, v33
	v_cmp_ne_u32_e32 vcc, 0, v5
                                        ; implicit-def: $vgpr2
	s_and_saveexec_b64 s[26:27], vcc
	s_xor_b64 s[26:27], exec, s[26:27]
; %bb.2036:                             ;   in Loop: Header=BB6_138 Depth=3
	v_cmp_lt_u64_e32 vcc, s[88:89], v[0:1]
	v_add_u32_e32 v2, 15, v6
	v_cndmask_b32_e64 v4, 0, 1, vcc
	v_lshrrev_b64 v[0:1], v4, v[0:1]
	v_cndmask_b32_e32 v2, v5, v2, vcc
; %bb.2037:                             ;   in Loop: Header=BB6_138 Depth=3
	s_andn2_saveexec_b64 s[26:27], s[26:27]
; %bb.2038:                             ;   in Loop: Header=BB6_138 Depth=3
	v_bfe_u32 v2, v0, 23, 1
; %bb.2039:                             ;   in Loop: Header=BB6_138 Depth=3
	s_or_b64 exec, exec, s[26:27]
	v_lshrrev_b64 v[0:1], 21, v[0:1]
	v_cmp_gt_i32_e32 vcc, 32, v2
	v_cndmask_b32_e32 v1, 0, v1, vcc
	v_cndmask_b32_e32 v0, 3, v0, vcc
	v_cmp_eq_u64_e64 s[26:27], 0, v[0:1]
	v_min_i32_e32 v1, 31, v2
	v_lshlrev_b32_e32 v1, 2, v1
	v_cmp_eq_u32_e32 vcc, 0, v2
	v_and_b32_e32 v1, 0xfc, v1
	v_and_or_b32 v0, v0, 3, v1
	s_and_b64 s[26:27], vcc, s[26:27]
	v_cndmask_b32_e64 v0, v0, 0, s[26:27]
	v_or_b32_e32 v0, v0, v3
	buffer_store_dword v0, off, s[0:3], s33 offset:588 ; 4-byte Folded Spill
.LBB6_2040:                             ;   in Loop: Header=BB6_138 Depth=3
	s_or_b64 exec, exec, s[34:35]
                                        ; implicit-def: $vgpr3
.LBB6_2041:                             ;   in Loop: Header=BB6_138 Depth=3
	s_andn2_saveexec_b64 s[26:27], s[30:31]
	s_cbranch_execz .LBB6_2043
; %bb.2042:                             ;   in Loop: Header=BB6_138 Depth=3
	v_or_b32_e32 v0, 0x7b, v3
	buffer_store_dword v0, off, s[0:3], s33 offset:588 ; 4-byte Folded Spill
.LBB6_2043:                             ;   in Loop: Header=BB6_138 Depth=3
	s_or_b64 exec, exec, s[26:27]
                                        ; implicit-def: $vgpr2
                                        ; implicit-def: $vgpr0_vgpr1
.LBB6_2044:                             ;   in Loop: Header=BB6_138 Depth=3
	s_andn2_saveexec_b64 s[26:27], s[94:95]
	s_cbranch_execz .LBB6_2050
; %bb.2045:                             ;   in Loop: Header=BB6_138 Depth=3
	v_cmp_ne_u64_e32 vcc, 0, v[0:1]
                                        ; implicit-def: $vgpr0
                                        ; kill: killed $vgpr0
	s_and_saveexec_b64 s[62:63], vcc
	s_xor_b64 s[94:95], exec, s[62:63]
	s_cbranch_execz .LBB6_2047
; %bb.2046:                             ;   in Loop: Header=BB6_138 Depth=3
	v_or_b32_sdwa v0, v2, s44 dst_sel:DWORD dst_unused:UNUSED_PAD src0_sel:BYTE_3 src1_sel:DWORD
	buffer_store_dword v0, off, s[0:3], s33 offset:588 ; 4-byte Folded Spill
                                        ; implicit-def: $vgpr2
.LBB6_2047:                             ;   in Loop: Header=BB6_138 Depth=3
	s_andn2_saveexec_b64 s[94:95], s[94:95]
	s_cbranch_execz .LBB6_2049
; %bb.2048:                             ;   in Loop: Header=BB6_138 Depth=3
	v_cmp_lt_i32_e32 vcc, -1, v2
	v_bfrev_b32_e32 v0, 0.5
	v_mov_b32_e32 v1, 0x7c
	v_cndmask_b32_e32 v0, v0, v1, vcc
	buffer_store_dword v0, off, s[0:3], s33 offset:588 ; 4-byte Folded Spill
.LBB6_2049:                             ;   in Loop: Header=BB6_138 Depth=3
	s_or_b64 exec, exec, s[94:95]
.LBB6_2050:                             ;   in Loop: Header=BB6_138 Depth=3
	s_or_b64 exec, exec, s[26:27]
	v_mov_b32_e32 v0, v9
	v_mov_b32_e32 v1, v33
	v_cmp_ne_u16_sdwa s[62:63], v9, v33 src0_sel:BYTE_0 src1_sel:DWORD
	v_mov_b32_e32 v2, 0
	s_and_saveexec_b64 s[26:27], s[62:63]
	s_cbranch_execz .LBB6_2058
; %bb.2051:                             ;   in Loop: Header=BB6_138 Depth=3
	v_cmp_ne_u16_sdwa s[62:63], v9, s97 src0_sel:BYTE_0 src1_sel:DWORD
	v_bfrev_b32_e32 v2, 1
	s_and_saveexec_b64 s[94:95], s[62:63]
	s_cbranch_execz .LBB6_2057
; %bb.2052:                             ;   in Loop: Header=BB6_138 Depth=3
	v_and_b32_e32 v2, 0x7c, v9
	v_and_b32_e32 v3, 3, v9
	v_cmp_ne_u32_e32 vcc, s86, v2
                                        ; implicit-def: $vgpr2
	s_and_saveexec_b64 s[62:63], vcc
	s_xor_b64 s[30:31], exec, s[62:63]
	s_cbranch_execz .LBB6_2054
; %bb.2053:                             ;   in Loop: Header=BB6_138 Depth=3
	v_ffbh_u32_e32 v2, v3
	v_min_u32_e32 v5, 32, v2
	v_subrev_u32_e32 v2, 29, v5
	v_lshlrev_b64 v[1:2], v2, v[0:1]
	v_bfe_u32 v4, v9, 2, 5
	v_and_b32_e32 v1, 3, v1
	v_cmp_eq_u32_e32 vcc, 0, v4
	v_sub_u32_e32 v2, 30, v5
	v_cndmask_b32_e32 v1, v3, v1, vcc
	v_lshlrev_b32_e32 v3, 24, v9
	v_cndmask_b32_e32 v2, v4, v2, vcc
	v_and_b32_e32 v3, 0x80000000, v3
	v_lshl_add_u32 v2, v2, 23, v3
	v_lshl_or_b32 v1, v1, 21, v2
	v_add_u32_e32 v2, 0x38000000, v1
                                        ; implicit-def: $vgpr3
.LBB6_2054:                             ;   in Loop: Header=BB6_138 Depth=3
	s_andn2_saveexec_b64 s[30:31], s[30:31]
; %bb.2055:                             ;   in Loop: Header=BB6_138 Depth=3
	v_mov_b32_e32 v1, -1
	v_cmp_gt_i16_sdwa vcc, sext(v9), v1 src0_sel:BYTE_0 src1_sel:DWORD
	v_mov_b32_e32 v1, 0xff800000
	v_mov_b32_e32 v2, 0x7f800000
	v_cndmask_b32_e32 v1, v1, v2, vcc
	v_cmp_eq_u32_e32 vcc, 0, v3
	v_mov_b32_e32 v2, 0x7f800001
	v_cndmask_b32_e32 v2, v2, v1, vcc
; %bb.2056:                             ;   in Loop: Header=BB6_138 Depth=3
	s_or_b64 exec, exec, s[30:31]
.LBB6_2057:                             ;   in Loop: Header=BB6_138 Depth=3
	s_or_b64 exec, exec, s[94:95]
.LBB6_2058:                             ;   in Loop: Header=BB6_138 Depth=3
	s_or_b64 exec, exec, s[26:27]
	v_mul_f32_e32 v3, v14, v2
	v_and_b32_e32 v4, 0x7f800000, v3
	v_mov_b32_e32 v5, v33
	v_cmp_ne_u64_e32 vcc, s[76:77], v[4:5]
	v_and_b32_e32 v1, 0x7fffff, v3
	v_mov_b32_e32 v2, v33
                                        ; implicit-def: $vgpr4
                                        ; kill: killed $vgpr4
	s_and_saveexec_b64 s[26:27], vcc
	s_xor_b64 s[94:95], exec, s[26:27]
	s_cbranch_execz .LBB6_2072
; %bb.2059:                             ;   in Loop: Header=BB6_138 Depth=3
	v_and_b32_e32 v4, 0x7fffffff, v3
	v_mov_b32_e32 v5, v33
	v_cmp_gt_u64_e32 vcc, s[78:79], v[4:5]
	v_and_b32_sdwa v5, v3, s97 dst_sel:DWORD dst_unused:UNUSED_PAD src0_sel:BYTE_3 src1_sel:DWORD
                                        ; implicit-def: $vgpr4
                                        ; kill: killed $vgpr4
	s_and_saveexec_b64 s[26:27], vcc
	s_xor_b64 s[30:31], exec, s[26:27]
	s_cbranch_execz .LBB6_2069
; %bb.2060:                             ;   in Loop: Header=BB6_138 Depth=3
	v_mov_b32_e32 v4, 0
	v_cmp_ne_u32_e32 vcc, 0, v3
	buffer_store_dword v4, off, s[0:3], s33 offset:592 ; 4-byte Folded Spill
	s_and_saveexec_b64 s[34:35], vcc
	s_cbranch_execz .LBB6_2068
; %bb.2061:                             ;   in Loop: Header=BB6_138 Depth=3
	v_bfe_u32 v6, v3, 23, 8
	v_cmp_gt_u32_e64 s[26:27], s47, v6
	v_sub_u32_e32 v3, 0x71, v6
	v_cmp_eq_u32_e32 vcc, 0, v6
	v_cndmask_b32_e64 v3, 0, v3, s[26:27]
	v_mov_b32_e32 v7, 0x70
	v_cndmask_b32_e32 v7, v3, v7, vcc
	v_or_b32_e32 v4, 0x800000, v1
	v_add_u32_e32 v3, 21, v7
	v_cndmask_b32_e32 v1, v4, v1, vcc
	v_lshlrev_b64 v[3:4], v3, -1
	v_add_u32_e32 v15, 20, v7
	v_bfi_b32 v3, v3, 0, v1
	v_lshlrev_b64 v[15:16], v15, 1
	v_lshrrev_b64 v[1:2], v7, v[1:2]
	v_bfi_b32 v4, v4, 0, 0
	v_cmp_eq_u64_e64 s[26:27], v[3:4], v[15:16]
	v_mov_b32_e32 v3, v2
	v_mov_b32_e32 v2, v1
	s_and_saveexec_b64 s[36:37], s[26:27]
; %bb.2062:                             ;   in Loop: Header=BB6_138 Depth=3
	v_bfe_u32 v2, v1, 21, 1
	v_add_co_u32_e64 v2, s[26:27], v1, v2
	v_add_co_u32_e64 v2, s[26:27], -1, v2
; %bb.2063:                             ;   in Loop: Header=BB6_138 Depth=3
	s_or_b64 exec, exec, s[36:37]
	v_add_u32_e32 v3, 0xffffff81, v6
	v_mov_b32_e32 v4, 0xffffff82
	v_cndmask_b32_e32 v3, v3, v4, vcc
	v_lshrrev_b32_e32 v4, 23, v1
	v_add3_u32 v7, v7, v3, v4
	v_add_u32_e32 v6, 14, v7
	v_and_b32_e32 v2, 0x1fffff, v2
	v_add_u32_e32 v1, v2, v1
	v_mov_b32_e32 v2, v33
	v_cmp_ne_u32_e32 vcc, 0, v6
                                        ; implicit-def: $vgpr3
	s_and_saveexec_b64 s[26:27], vcc
	s_xor_b64 s[26:27], exec, s[26:27]
; %bb.2064:                             ;   in Loop: Header=BB6_138 Depth=3
	v_cmp_lt_u64_e32 vcc, s[88:89], v[1:2]
	v_add_u32_e32 v3, 15, v7
	v_cndmask_b32_e64 v4, 0, 1, vcc
	v_lshrrev_b64 v[1:2], v4, v[1:2]
	v_cndmask_b32_e32 v3, v6, v3, vcc
; %bb.2065:                             ;   in Loop: Header=BB6_138 Depth=3
	s_andn2_saveexec_b64 s[26:27], s[26:27]
; %bb.2066:                             ;   in Loop: Header=BB6_138 Depth=3
	v_bfe_u32 v3, v1, 23, 1
; %bb.2067:                             ;   in Loop: Header=BB6_138 Depth=3
	s_or_b64 exec, exec, s[26:27]
	v_lshrrev_b64 v[1:2], 21, v[1:2]
	v_cmp_gt_i32_e32 vcc, 32, v3
	v_cndmask_b32_e32 v2, 0, v2, vcc
	v_cndmask_b32_e32 v1, 3, v1, vcc
	v_cmp_eq_u64_e64 s[26:27], 0, v[1:2]
	v_min_i32_e32 v2, 31, v3
	v_lshlrev_b32_e32 v2, 2, v2
	v_cmp_eq_u32_e32 vcc, 0, v3
	v_and_b32_e32 v2, 0xfc, v2
	v_and_or_b32 v1, v1, 3, v2
	s_and_b64 s[26:27], vcc, s[26:27]
	v_cndmask_b32_e64 v1, v1, 0, s[26:27]
	v_or_b32_e32 v1, v1, v5
	buffer_store_dword v1, off, s[0:3], s33 offset:592 ; 4-byte Folded Spill
.LBB6_2068:                             ;   in Loop: Header=BB6_138 Depth=3
	s_or_b64 exec, exec, s[34:35]
                                        ; implicit-def: $vgpr5
.LBB6_2069:                             ;   in Loop: Header=BB6_138 Depth=3
	s_andn2_saveexec_b64 s[26:27], s[30:31]
	s_cbranch_execz .LBB6_2071
; %bb.2070:                             ;   in Loop: Header=BB6_138 Depth=3
	v_or_b32_e32 v1, 0x7b, v5
	buffer_store_dword v1, off, s[0:3], s33 offset:592 ; 4-byte Folded Spill
.LBB6_2071:                             ;   in Loop: Header=BB6_138 Depth=3
	s_or_b64 exec, exec, s[26:27]
                                        ; implicit-def: $vgpr3
                                        ; implicit-def: $vgpr1_vgpr2
.LBB6_2072:                             ;   in Loop: Header=BB6_138 Depth=3
	s_andn2_saveexec_b64 s[26:27], s[94:95]
	s_cbranch_execz .LBB6_2078
; %bb.2073:                             ;   in Loop: Header=BB6_138 Depth=3
	v_cmp_ne_u64_e32 vcc, 0, v[1:2]
                                        ; implicit-def: $vgpr1
                                        ; kill: killed $vgpr1
	s_and_saveexec_b64 s[62:63], vcc
	s_xor_b64 s[94:95], exec, s[62:63]
	s_cbranch_execz .LBB6_2075
; %bb.2074:                             ;   in Loop: Header=BB6_138 Depth=3
	v_or_b32_sdwa v1, v3, s44 dst_sel:DWORD dst_unused:UNUSED_PAD src0_sel:BYTE_3 src1_sel:DWORD
	buffer_store_dword v1, off, s[0:3], s33 offset:592 ; 4-byte Folded Spill
                                        ; implicit-def: $vgpr3
.LBB6_2075:                             ;   in Loop: Header=BB6_138 Depth=3
	s_andn2_saveexec_b64 s[94:95], s[94:95]
	s_cbranch_execz .LBB6_2077
; %bb.2076:                             ;   in Loop: Header=BB6_138 Depth=3
	v_cmp_lt_i32_e32 vcc, -1, v3
	v_bfrev_b32_e32 v1, 0.5
	v_mov_b32_e32 v2, 0x7c
	v_cndmask_b32_e32 v1, v1, v2, vcc
	buffer_store_dword v1, off, s[0:3], s33 offset:592 ; 4-byte Folded Spill
.LBB6_2077:                             ;   in Loop: Header=BB6_138 Depth=3
	s_or_b64 exec, exec, s[94:95]
.LBB6_2078:                             ;   in Loop: Header=BB6_138 Depth=3
	s_or_b64 exec, exec, s[26:27]
	v_lshrrev_b16_e32 v1, 8, v0
	v_cmp_ne_u16_e32 vcc, 0, v1
	v_mov_b32_e32 v2, 0
	s_and_saveexec_b64 s[26:27], vcc
	s_cbranch_execz .LBB6_2086
; %bb.2079:                             ;   in Loop: Header=BB6_138 Depth=3
	v_cmp_ne_u16_e32 vcc, s97, v1
	v_bfrev_b32_e32 v2, 1
	s_and_saveexec_b64 s[94:95], vcc
	s_cbranch_execz .LBB6_2085
; %bb.2080:                             ;   in Loop: Header=BB6_138 Depth=3
	v_and_b32_e32 v2, 0x7c, v1
	v_and_b32_e32 v3, 3, v1
	v_cmp_ne_u32_e32 vcc, s86, v2
                                        ; implicit-def: $vgpr2
	s_and_saveexec_b64 s[62:63], vcc
	s_xor_b64 s[30:31], exec, s[62:63]
	s_cbranch_execz .LBB6_2082
; %bb.2081:                             ;   in Loop: Header=BB6_138 Depth=3
	v_ffbh_u32_e32 v5, v3
	v_min_u32_e32 v5, 32, v5
	v_mov_b32_e32 v2, v33
	v_subrev_u32_e32 v6, 29, v5
	v_bfe_u32 v4, v1, 2, 5
	v_lshlrev_b64 v[1:2], v6, v[1:2]
	v_sub_u32_e32 v2, 30, v5
	v_cmp_eq_u32_e32 vcc, 0, v4
	v_lshlrev_b32_e32 v0, 16, v0
	v_and_b32_e32 v1, 3, v1
	v_cndmask_b32_e32 v2, v4, v2, vcc
	v_and_b32_e32 v0, 0x80000000, v0
	v_cndmask_b32_e32 v1, v3, v1, vcc
	v_lshl_add_u32 v0, v2, 23, v0
	v_lshl_or_b32 v0, v1, 21, v0
	v_add_u32_e32 v2, 0x38000000, v0
                                        ; implicit-def: $vgpr3
                                        ; implicit-def: $vgpr0_vgpr1
.LBB6_2082:                             ;   in Loop: Header=BB6_138 Depth=3
	s_andn2_saveexec_b64 s[30:31], s[30:31]
; %bb.2083:                             ;   in Loop: Header=BB6_138 Depth=3
	v_cmp_lt_i16_e32 vcc, -1, v0
	v_mov_b32_e32 v0, 0xff800000
	v_mov_b32_e32 v1, 0x7f800000
	v_cndmask_b32_e32 v0, v0, v1, vcc
	v_cmp_eq_u32_e32 vcc, 0, v3
	v_mov_b32_e32 v1, 0x7f800001
	v_cndmask_b32_e32 v2, v1, v0, vcc
; %bb.2084:                             ;   in Loop: Header=BB6_138 Depth=3
	s_or_b64 exec, exec, s[30:31]
.LBB6_2085:                             ;   in Loop: Header=BB6_138 Depth=3
	s_or_b64 exec, exec, s[94:95]
.LBB6_2086:                             ;   in Loop: Header=BB6_138 Depth=3
	s_or_b64 exec, exec, s[26:27]
	v_mul_f32_e32 v2, v14, v2
	v_and_b32_e32 v3, 0x7f800000, v2
	v_mov_b32_e32 v4, v33
	v_cmp_ne_u64_e32 vcc, s[76:77], v[3:4]
	v_and_b32_e32 v0, 0x7fffff, v2
	v_mov_b32_e32 v1, v33
                                        ; implicit-def: $vgpr3
                                        ; kill: killed $vgpr3
	s_and_saveexec_b64 s[26:27], vcc
	s_xor_b64 s[94:95], exec, s[26:27]
	s_cbranch_execz .LBB6_2100
; %bb.2087:                             ;   in Loop: Header=BB6_138 Depth=3
	v_and_b32_e32 v3, 0x7fffffff, v2
	v_mov_b32_e32 v4, v33
	v_cmp_gt_u64_e32 vcc, s[78:79], v[3:4]
	v_and_b32_sdwa v3, v2, s97 dst_sel:DWORD dst_unused:UNUSED_PAD src0_sel:BYTE_3 src1_sel:DWORD
                                        ; implicit-def: $vgpr4
                                        ; kill: killed $vgpr4
	s_and_saveexec_b64 s[26:27], vcc
	s_xor_b64 s[30:31], exec, s[26:27]
	s_cbranch_execz .LBB6_2097
; %bb.2088:                             ;   in Loop: Header=BB6_138 Depth=3
	v_mov_b32_e32 v4, 0
	v_cmp_ne_u32_e32 vcc, 0, v2
	buffer_store_dword v4, off, s[0:3], s33 offset:596 ; 4-byte Folded Spill
	s_and_saveexec_b64 s[34:35], vcc
	s_cbranch_execz .LBB6_2096
; %bb.2089:                             ;   in Loop: Header=BB6_138 Depth=3
	v_bfe_u32 v5, v2, 23, 8
	v_cmp_gt_u32_e64 s[26:27], s47, v5
	v_sub_u32_e32 v2, 0x71, v5
	v_cmp_eq_u32_e32 vcc, 0, v5
	v_cndmask_b32_e64 v2, 0, v2, s[26:27]
	v_mov_b32_e32 v6, 0x70
	v_cndmask_b32_e32 v6, v2, v6, vcc
	v_add_u32_e32 v2, 21, v6
	v_or_b32_e32 v4, 0x800000, v0
	v_lshlrev_b64 v[15:16], v2, -1
	v_cndmask_b32_e32 v0, v4, v0, vcc
	v_add_u32_e32 v2, 20, v6
	v_bfi_b32 v15, v15, 0, v0
	v_lshlrev_b64 v[17:18], v2, 1
	v_lshrrev_b64 v[0:1], v6, v[0:1]
	v_bfi_b32 v16, v16, 0, 0
	v_cmp_eq_u64_e64 s[26:27], v[15:16], v[17:18]
	v_mov_b32_e32 v2, v1
	v_mov_b32_e32 v1, v0
	s_and_saveexec_b64 s[36:37], s[26:27]
; %bb.2090:                             ;   in Loop: Header=BB6_138 Depth=3
	v_bfe_u32 v1, v0, 21, 1
	v_add_co_u32_e64 v1, s[26:27], v0, v1
	v_add_co_u32_e64 v1, s[26:27], -1, v1
; %bb.2091:                             ;   in Loop: Header=BB6_138 Depth=3
	s_or_b64 exec, exec, s[36:37]
	v_add_u32_e32 v2, 0xffffff81, v5
	v_mov_b32_e32 v4, 0xffffff82
	v_cndmask_b32_e32 v2, v2, v4, vcc
	v_lshrrev_b32_e32 v4, 23, v0
	v_add3_u32 v6, v6, v2, v4
	v_add_u32_e32 v5, 14, v6
	v_and_b32_e32 v1, 0x1fffff, v1
	v_add_u32_e32 v0, v1, v0
	v_mov_b32_e32 v1, v33
	v_cmp_ne_u32_e32 vcc, 0, v5
                                        ; implicit-def: $vgpr2
	s_and_saveexec_b64 s[26:27], vcc
	s_xor_b64 s[26:27], exec, s[26:27]
; %bb.2092:                             ;   in Loop: Header=BB6_138 Depth=3
	v_cmp_lt_u64_e32 vcc, s[88:89], v[0:1]
	v_add_u32_e32 v2, 15, v6
	v_cndmask_b32_e64 v4, 0, 1, vcc
	v_lshrrev_b64 v[0:1], v4, v[0:1]
	v_cndmask_b32_e32 v2, v5, v2, vcc
; %bb.2093:                             ;   in Loop: Header=BB6_138 Depth=3
	s_andn2_saveexec_b64 s[26:27], s[26:27]
; %bb.2094:                             ;   in Loop: Header=BB6_138 Depth=3
	v_bfe_u32 v2, v0, 23, 1
; %bb.2095:                             ;   in Loop: Header=BB6_138 Depth=3
	s_or_b64 exec, exec, s[26:27]
	v_lshrrev_b64 v[0:1], 21, v[0:1]
	v_cmp_gt_i32_e32 vcc, 32, v2
	v_cndmask_b32_e32 v1, 0, v1, vcc
	v_cndmask_b32_e32 v0, 3, v0, vcc
	v_cmp_eq_u64_e64 s[26:27], 0, v[0:1]
	v_min_i32_e32 v1, 31, v2
	v_lshlrev_b32_e32 v1, 2, v1
	v_cmp_eq_u32_e32 vcc, 0, v2
	v_and_b32_e32 v1, 0xfc, v1
	v_and_or_b32 v0, v0, 3, v1
	s_and_b64 s[26:27], vcc, s[26:27]
	v_cndmask_b32_e64 v0, v0, 0, s[26:27]
	v_or_b32_e32 v0, v0, v3
	buffer_store_dword v0, off, s[0:3], s33 offset:596 ; 4-byte Folded Spill
.LBB6_2096:                             ;   in Loop: Header=BB6_138 Depth=3
	s_or_b64 exec, exec, s[34:35]
                                        ; implicit-def: $vgpr3
.LBB6_2097:                             ;   in Loop: Header=BB6_138 Depth=3
	s_andn2_saveexec_b64 s[26:27], s[30:31]
	s_cbranch_execz .LBB6_2099
; %bb.2098:                             ;   in Loop: Header=BB6_138 Depth=3
	v_or_b32_e32 v0, 0x7b, v3
	buffer_store_dword v0, off, s[0:3], s33 offset:596 ; 4-byte Folded Spill
.LBB6_2099:                             ;   in Loop: Header=BB6_138 Depth=3
	s_or_b64 exec, exec, s[26:27]
                                        ; implicit-def: $vgpr2
                                        ; implicit-def: $vgpr0_vgpr1
.LBB6_2100:                             ;   in Loop: Header=BB6_138 Depth=3
	s_andn2_saveexec_b64 s[26:27], s[94:95]
	s_cbranch_execz .LBB6_2106
; %bb.2101:                             ;   in Loop: Header=BB6_138 Depth=3
	v_cmp_ne_u64_e32 vcc, 0, v[0:1]
                                        ; implicit-def: $vgpr0
                                        ; kill: killed $vgpr0
	s_and_saveexec_b64 s[62:63], vcc
	s_xor_b64 s[94:95], exec, s[62:63]
	s_cbranch_execz .LBB6_2103
; %bb.2102:                             ;   in Loop: Header=BB6_138 Depth=3
	v_or_b32_sdwa v0, v2, s44 dst_sel:DWORD dst_unused:UNUSED_PAD src0_sel:BYTE_3 src1_sel:DWORD
	buffer_store_dword v0, off, s[0:3], s33 offset:596 ; 4-byte Folded Spill
                                        ; implicit-def: $vgpr2
.LBB6_2103:                             ;   in Loop: Header=BB6_138 Depth=3
	s_andn2_saveexec_b64 s[94:95], s[94:95]
	s_cbranch_execz .LBB6_2105
; %bb.2104:                             ;   in Loop: Header=BB6_138 Depth=3
	v_cmp_lt_i32_e32 vcc, -1, v2
	v_bfrev_b32_e32 v0, 0.5
	v_mov_b32_e32 v1, 0x7c
	v_cndmask_b32_e32 v0, v0, v1, vcc
	buffer_store_dword v0, off, s[0:3], s33 offset:596 ; 4-byte Folded Spill
.LBB6_2105:                             ;   in Loop: Header=BB6_138 Depth=3
	s_or_b64 exec, exec, s[94:95]
.LBB6_2106:                             ;   in Loop: Header=BB6_138 Depth=3
	s_or_b64 exec, exec, s[26:27]
	v_lshrrev_b32_e32 v0, 16, v9
	v_cmp_ne_u16_sdwa s[62:63], v0, v33 src0_sel:BYTE_0 src1_sel:DWORD
	v_mov_b32_e32 v1, 0
	s_and_saveexec_b64 s[26:27], s[62:63]
	s_cbranch_execz .LBB6_2114
; %bb.2107:                             ;   in Loop: Header=BB6_138 Depth=3
	v_cmp_ne_u16_sdwa s[62:63], v0, s97 src0_sel:BYTE_0 src1_sel:DWORD
	v_bfrev_b32_e32 v1, 1
	s_and_saveexec_b64 s[94:95], s[62:63]
	s_cbranch_execz .LBB6_2113
; %bb.2108:                             ;   in Loop: Header=BB6_138 Depth=3
	v_and_b32_e32 v1, 0x7c0000, v9
	v_bfe_u32 v2, v9, 16, 2
	v_cmp_ne_u32_e32 vcc, s45, v1
                                        ; implicit-def: $vgpr1
	s_and_saveexec_b64 s[62:63], vcc
	s_xor_b64 s[30:31], exec, s[62:63]
	s_cbranch_execz .LBB6_2110
; %bb.2109:                             ;   in Loop: Header=BB6_138 Depth=3
	v_ffbh_u32_e32 v1, v2
	v_min_u32_e32 v4, 32, v1
	v_subrev_u32_e32 v1, 29, v4
	v_lshlrev_b64 v[0:1], v1, v[0:1]
	v_bfe_u32 v3, v9, 18, 5
	v_and_b32_e32 v0, 3, v0
	v_cmp_eq_u32_e32 vcc, 0, v3
	v_sub_u32_e32 v1, 30, v4
	v_cndmask_b32_e32 v0, v2, v0, vcc
	v_lshlrev_b32_e32 v2, 8, v9
	v_cndmask_b32_e32 v1, v3, v1, vcc
	v_and_b32_e32 v2, 0x80000000, v2
	v_lshl_add_u32 v1, v1, 23, v2
	v_lshl_or_b32 v0, v0, 21, v1
	v_add_u32_e32 v1, 0x38000000, v0
                                        ; implicit-def: $vgpr2
                                        ; implicit-def: $vgpr0
.LBB6_2110:                             ;   in Loop: Header=BB6_138 Depth=3
	s_andn2_saveexec_b64 s[30:31], s[30:31]
; %bb.2111:                             ;   in Loop: Header=BB6_138 Depth=3
	v_mov_b32_e32 v1, -1
	v_cmp_gt_i16_sdwa vcc, sext(v0), v1 src0_sel:BYTE_0 src1_sel:DWORD
	v_mov_b32_e32 v0, 0xff800000
	v_mov_b32_e32 v1, 0x7f800000
	v_cndmask_b32_e32 v0, v0, v1, vcc
	v_cmp_eq_u32_e32 vcc, 0, v2
	v_mov_b32_e32 v1, 0x7f800001
	v_cndmask_b32_e32 v1, v1, v0, vcc
; %bb.2112:                             ;   in Loop: Header=BB6_138 Depth=3
	s_or_b64 exec, exec, s[30:31]
.LBB6_2113:                             ;   in Loop: Header=BB6_138 Depth=3
	s_or_b64 exec, exec, s[94:95]
.LBB6_2114:                             ;   in Loop: Header=BB6_138 Depth=3
	s_or_b64 exec, exec, s[26:27]
	v_mul_f32_e32 v2, v14, v1
	v_and_b32_e32 v3, 0x7f800000, v2
	v_mov_b32_e32 v4, v33
	v_cmp_ne_u64_e32 vcc, s[76:77], v[3:4]
	v_and_b32_e32 v0, 0x7fffff, v2
	v_mov_b32_e32 v1, v33
                                        ; implicit-def: $vgpr3
                                        ; kill: killed $vgpr3
	s_and_saveexec_b64 s[26:27], vcc
	s_xor_b64 s[94:95], exec, s[26:27]
	s_cbranch_execz .LBB6_2128
; %bb.2115:                             ;   in Loop: Header=BB6_138 Depth=3
	v_and_b32_e32 v3, 0x7fffffff, v2
	v_mov_b32_e32 v4, v33
	v_cmp_gt_u64_e32 vcc, s[78:79], v[3:4]
	v_and_b32_sdwa v3, v2, s97 dst_sel:DWORD dst_unused:UNUSED_PAD src0_sel:BYTE_3 src1_sel:DWORD
                                        ; implicit-def: $vgpr4
                                        ; kill: killed $vgpr4
	s_and_saveexec_b64 s[26:27], vcc
	s_xor_b64 s[30:31], exec, s[26:27]
	s_cbranch_execz .LBB6_2125
; %bb.2116:                             ;   in Loop: Header=BB6_138 Depth=3
	v_mov_b32_e32 v4, 0
	v_cmp_ne_u32_e32 vcc, 0, v2
	buffer_store_dword v4, off, s[0:3], s33 offset:600 ; 4-byte Folded Spill
	s_and_saveexec_b64 s[34:35], vcc
	s_cbranch_execz .LBB6_2124
; %bb.2117:                             ;   in Loop: Header=BB6_138 Depth=3
	v_bfe_u32 v5, v2, 23, 8
	v_cmp_gt_u32_e64 s[26:27], s47, v5
	v_sub_u32_e32 v2, 0x71, v5
	v_cmp_eq_u32_e32 vcc, 0, v5
	v_cndmask_b32_e64 v2, 0, v2, s[26:27]
	v_mov_b32_e32 v6, 0x70
	v_cndmask_b32_e32 v6, v2, v6, vcc
	v_add_u32_e32 v2, 21, v6
	v_or_b32_e32 v4, 0x800000, v0
	v_lshlrev_b64 v[15:16], v2, -1
	v_cndmask_b32_e32 v0, v4, v0, vcc
	v_add_u32_e32 v2, 20, v6
	v_bfi_b32 v15, v15, 0, v0
	v_lshlrev_b64 v[17:18], v2, 1
	v_lshrrev_b64 v[0:1], v6, v[0:1]
	v_bfi_b32 v16, v16, 0, 0
	v_cmp_eq_u64_e64 s[26:27], v[15:16], v[17:18]
	v_mov_b32_e32 v2, v1
	v_mov_b32_e32 v1, v0
	s_and_saveexec_b64 s[36:37], s[26:27]
; %bb.2118:                             ;   in Loop: Header=BB6_138 Depth=3
	v_bfe_u32 v1, v0, 21, 1
	v_add_co_u32_e64 v1, s[26:27], v0, v1
	v_add_co_u32_e64 v1, s[26:27], -1, v1
; %bb.2119:                             ;   in Loop: Header=BB6_138 Depth=3
	s_or_b64 exec, exec, s[36:37]
	v_add_u32_e32 v2, 0xffffff81, v5
	v_mov_b32_e32 v4, 0xffffff82
	v_cndmask_b32_e32 v2, v2, v4, vcc
	v_lshrrev_b32_e32 v4, 23, v0
	v_add3_u32 v6, v6, v2, v4
	v_add_u32_e32 v5, 14, v6
	v_and_b32_e32 v1, 0x1fffff, v1
	v_add_u32_e32 v0, v1, v0
	v_mov_b32_e32 v1, v33
	v_cmp_ne_u32_e32 vcc, 0, v5
                                        ; implicit-def: $vgpr2
	s_and_saveexec_b64 s[26:27], vcc
	s_xor_b64 s[26:27], exec, s[26:27]
; %bb.2120:                             ;   in Loop: Header=BB6_138 Depth=3
	v_cmp_lt_u64_e32 vcc, s[88:89], v[0:1]
	v_add_u32_e32 v2, 15, v6
	v_cndmask_b32_e64 v4, 0, 1, vcc
	v_lshrrev_b64 v[0:1], v4, v[0:1]
	v_cndmask_b32_e32 v2, v5, v2, vcc
; %bb.2121:                             ;   in Loop: Header=BB6_138 Depth=3
	s_andn2_saveexec_b64 s[26:27], s[26:27]
; %bb.2122:                             ;   in Loop: Header=BB6_138 Depth=3
	v_bfe_u32 v2, v0, 23, 1
; %bb.2123:                             ;   in Loop: Header=BB6_138 Depth=3
	s_or_b64 exec, exec, s[26:27]
	v_lshrrev_b64 v[0:1], 21, v[0:1]
	v_cmp_gt_i32_e32 vcc, 32, v2
	v_cndmask_b32_e32 v1, 0, v1, vcc
	v_cndmask_b32_e32 v0, 3, v0, vcc
	v_cmp_eq_u64_e64 s[26:27], 0, v[0:1]
	v_min_i32_e32 v1, 31, v2
	v_lshlrev_b32_e32 v1, 2, v1
	v_cmp_eq_u32_e32 vcc, 0, v2
	v_and_b32_e32 v1, 0xfc, v1
	v_and_or_b32 v0, v0, 3, v1
	s_and_b64 s[26:27], vcc, s[26:27]
	v_cndmask_b32_e64 v0, v0, 0, s[26:27]
	v_or_b32_e32 v0, v0, v3
	buffer_store_dword v0, off, s[0:3], s33 offset:600 ; 4-byte Folded Spill
.LBB6_2124:                             ;   in Loop: Header=BB6_138 Depth=3
	s_or_b64 exec, exec, s[34:35]
                                        ; implicit-def: $vgpr3
.LBB6_2125:                             ;   in Loop: Header=BB6_138 Depth=3
	s_andn2_saveexec_b64 s[26:27], s[30:31]
	s_cbranch_execz .LBB6_2127
; %bb.2126:                             ;   in Loop: Header=BB6_138 Depth=3
	v_or_b32_e32 v0, 0x7b, v3
	buffer_store_dword v0, off, s[0:3], s33 offset:600 ; 4-byte Folded Spill
.LBB6_2127:                             ;   in Loop: Header=BB6_138 Depth=3
	s_or_b64 exec, exec, s[26:27]
                                        ; implicit-def: $vgpr2
                                        ; implicit-def: $vgpr0_vgpr1
.LBB6_2128:                             ;   in Loop: Header=BB6_138 Depth=3
	s_andn2_saveexec_b64 s[26:27], s[94:95]
	s_cbranch_execz .LBB6_2134
; %bb.2129:                             ;   in Loop: Header=BB6_138 Depth=3
	v_cmp_ne_u64_e32 vcc, 0, v[0:1]
                                        ; implicit-def: $vgpr0
                                        ; kill: killed $vgpr0
	s_and_saveexec_b64 s[62:63], vcc
	s_xor_b64 s[94:95], exec, s[62:63]
	s_cbranch_execz .LBB6_2131
; %bb.2130:                             ;   in Loop: Header=BB6_138 Depth=3
	v_or_b32_sdwa v0, v2, s44 dst_sel:DWORD dst_unused:UNUSED_PAD src0_sel:BYTE_3 src1_sel:DWORD
	buffer_store_dword v0, off, s[0:3], s33 offset:600 ; 4-byte Folded Spill
                                        ; implicit-def: $vgpr2
.LBB6_2131:                             ;   in Loop: Header=BB6_138 Depth=3
	s_andn2_saveexec_b64 s[94:95], s[94:95]
	s_cbranch_execz .LBB6_2133
; %bb.2132:                             ;   in Loop: Header=BB6_138 Depth=3
	v_cmp_lt_i32_e32 vcc, -1, v2
	v_bfrev_b32_e32 v0, 0.5
	v_mov_b32_e32 v1, 0x7c
	v_cndmask_b32_e32 v0, v0, v1, vcc
	buffer_store_dword v0, off, s[0:3], s33 offset:600 ; 4-byte Folded Spill
.LBB6_2133:                             ;   in Loop: Header=BB6_138 Depth=3
	s_or_b64 exec, exec, s[94:95]
.LBB6_2134:                             ;   in Loop: Header=BB6_138 Depth=3
	s_or_b64 exec, exec, s[26:27]
	v_cmp_lt_u64_e32 vcc, s[56:57], v[8:9]
	v_mov_b32_e32 v1, 0
	s_and_saveexec_b64 s[26:27], vcc
	s_cbranch_execz .LBB6_2142
; %bb.2135:                             ;   in Loop: Header=BB6_138 Depth=3
	v_lshrrev_b32_e32 v0, 24, v9
	v_cmp_ne_u32_e32 vcc, s97, v0
	v_bfrev_b32_e32 v1, 1
	s_and_saveexec_b64 s[94:95], vcc
	s_cbranch_execz .LBB6_2141
; %bb.2136:                             ;   in Loop: Header=BB6_138 Depth=3
	v_and_b32_e32 v1, 0x7c000000, v9
	v_bfe_u32 v2, v9, 24, 2
	v_cmp_ne_u32_e32 vcc, s68, v1
                                        ; implicit-def: $vgpr1
	s_and_saveexec_b64 s[62:63], vcc
	s_xor_b64 s[30:31], exec, s[62:63]
	s_cbranch_execz .LBB6_2138
; %bb.2137:                             ;   in Loop: Header=BB6_138 Depth=3
	v_ffbh_u32_e32 v1, v2
	v_min_u32_e32 v4, 32, v1
	v_subrev_u32_e32 v1, 29, v4
	v_lshlrev_b64 v[0:1], v1, v[0:1]
	v_bfe_u32 v3, v9, 26, 5
	v_sub_u32_e32 v1, 30, v4
	v_and_b32_e32 v0, 3, v0
	v_cmp_eq_u32_e32 vcc, 0, v3
	v_cndmask_b32_e32 v1, v3, v1, vcc
	v_cndmask_b32_e32 v0, v2, v0, vcc
	v_and_b32_e32 v2, 0x80000000, v9
	v_lshl_add_u32 v1, v1, 23, v2
	v_lshl_or_b32 v0, v0, 21, v1
	v_add_u32_e32 v1, 0x38000000, v0
                                        ; implicit-def: $vgpr2
.LBB6_2138:                             ;   in Loop: Header=BB6_138 Depth=3
	s_andn2_saveexec_b64 s[30:31], s[30:31]
; %bb.2139:                             ;   in Loop: Header=BB6_138 Depth=3
	v_cmp_lt_i64_e32 vcc, -1, v[8:9]
	v_mov_b32_e32 v0, 0xff800000
	v_mov_b32_e32 v1, 0x7f800000
	v_cndmask_b32_e32 v0, v0, v1, vcc
	v_cmp_eq_u32_e32 vcc, 0, v2
	v_mov_b32_e32 v1, 0x7f800001
	v_cndmask_b32_e32 v1, v1, v0, vcc
; %bb.2140:                             ;   in Loop: Header=BB6_138 Depth=3
	s_or_b64 exec, exec, s[30:31]
.LBB6_2141:                             ;   in Loop: Header=BB6_138 Depth=3
	s_or_b64 exec, exec, s[94:95]
.LBB6_2142:                             ;   in Loop: Header=BB6_138 Depth=3
	s_or_b64 exec, exec, s[26:27]
	v_mul_f32_e32 v2, v14, v1
	v_and_b32_e32 v3, 0x7f800000, v2
	v_mov_b32_e32 v4, v33
	v_cmp_ne_u64_e32 vcc, s[76:77], v[3:4]
	v_and_b32_e32 v0, 0x7fffff, v2
	v_mov_b32_e32 v1, v33
                                        ; implicit-def: $vgpr3
                                        ; kill: killed $vgpr3
	s_and_saveexec_b64 s[26:27], vcc
	s_xor_b64 s[94:95], exec, s[26:27]
	s_cbranch_execz .LBB6_2156
; %bb.2143:                             ;   in Loop: Header=BB6_138 Depth=3
	v_and_b32_e32 v3, 0x7fffffff, v2
	v_mov_b32_e32 v4, v33
	v_cmp_gt_u64_e32 vcc, s[78:79], v[3:4]
	v_and_b32_sdwa v3, v2, s97 dst_sel:DWORD dst_unused:UNUSED_PAD src0_sel:BYTE_3 src1_sel:DWORD
                                        ; implicit-def: $vgpr4
                                        ; kill: killed $vgpr4
	s_and_saveexec_b64 s[26:27], vcc
	s_xor_b64 s[30:31], exec, s[26:27]
	s_cbranch_execz .LBB6_2153
; %bb.2144:                             ;   in Loop: Header=BB6_138 Depth=3
	v_mov_b32_e32 v4, 0
	v_cmp_ne_u32_e32 vcc, 0, v2
	buffer_store_dword v4, off, s[0:3], s33 offset:604 ; 4-byte Folded Spill
	s_and_saveexec_b64 s[34:35], vcc
	s_cbranch_execz .LBB6_2152
; %bb.2145:                             ;   in Loop: Header=BB6_138 Depth=3
	v_bfe_u32 v5, v2, 23, 8
	v_cmp_gt_u32_e64 s[26:27], s47, v5
	v_sub_u32_e32 v2, 0x71, v5
	v_cmp_eq_u32_e32 vcc, 0, v5
	v_cndmask_b32_e64 v2, 0, v2, s[26:27]
	v_mov_b32_e32 v6, 0x70
	v_cndmask_b32_e32 v6, v2, v6, vcc
	v_add_u32_e32 v2, 21, v6
	v_or_b32_e32 v4, 0x800000, v0
	v_lshlrev_b64 v[7:8], v2, -1
	v_cndmask_b32_e32 v0, v4, v0, vcc
	v_add_u32_e32 v2, 20, v6
	v_bfi_b32 v7, v7, 0, v0
	v_lshlrev_b64 v[15:16], v2, 1
	v_lshrrev_b64 v[0:1], v6, v[0:1]
	v_bfi_b32 v8, v8, 0, 0
	v_cmp_eq_u64_e64 s[26:27], v[7:8], v[15:16]
	v_mov_b32_e32 v2, v1
	v_mov_b32_e32 v1, v0
	s_and_saveexec_b64 s[36:37], s[26:27]
; %bb.2146:                             ;   in Loop: Header=BB6_138 Depth=3
	v_bfe_u32 v1, v0, 21, 1
	v_add_co_u32_e64 v1, s[26:27], v0, v1
	v_add_co_u32_e64 v1, s[26:27], -1, v1
; %bb.2147:                             ;   in Loop: Header=BB6_138 Depth=3
	s_or_b64 exec, exec, s[36:37]
	v_add_u32_e32 v2, 0xffffff81, v5
	v_mov_b32_e32 v4, 0xffffff82
	v_cndmask_b32_e32 v2, v2, v4, vcc
	v_lshrrev_b32_e32 v4, 23, v0
	v_add3_u32 v6, v6, v2, v4
	v_add_u32_e32 v5, 14, v6
	v_and_b32_e32 v1, 0x1fffff, v1
	v_add_u32_e32 v0, v1, v0
	v_mov_b32_e32 v1, v33
	v_cmp_ne_u32_e32 vcc, 0, v5
                                        ; implicit-def: $vgpr2
	s_and_saveexec_b64 s[26:27], vcc
	s_xor_b64 s[26:27], exec, s[26:27]
; %bb.2148:                             ;   in Loop: Header=BB6_138 Depth=3
	v_cmp_lt_u64_e32 vcc, s[88:89], v[0:1]
	v_add_u32_e32 v2, 15, v6
	v_cndmask_b32_e64 v4, 0, 1, vcc
	v_lshrrev_b64 v[0:1], v4, v[0:1]
	v_cndmask_b32_e32 v2, v5, v2, vcc
; %bb.2149:                             ;   in Loop: Header=BB6_138 Depth=3
	s_andn2_saveexec_b64 s[26:27], s[26:27]
; %bb.2150:                             ;   in Loop: Header=BB6_138 Depth=3
	v_bfe_u32 v2, v0, 23, 1
; %bb.2151:                             ;   in Loop: Header=BB6_138 Depth=3
	s_or_b64 exec, exec, s[26:27]
	v_lshrrev_b64 v[0:1], 21, v[0:1]
	v_cmp_gt_i32_e32 vcc, 32, v2
	v_cndmask_b32_e32 v1, 0, v1, vcc
	v_cndmask_b32_e32 v0, 3, v0, vcc
	v_cmp_eq_u64_e64 s[26:27], 0, v[0:1]
	v_min_i32_e32 v1, 31, v2
	v_lshlrev_b32_e32 v1, 2, v1
	v_cmp_eq_u32_e32 vcc, 0, v2
	v_and_b32_e32 v1, 0xfc, v1
	v_and_or_b32 v0, v0, 3, v1
	s_and_b64 s[26:27], vcc, s[26:27]
	v_cndmask_b32_e64 v0, v0, 0, s[26:27]
	v_or_b32_e32 v0, v0, v3
	buffer_store_dword v0, off, s[0:3], s33 offset:604 ; 4-byte Folded Spill
.LBB6_2152:                             ;   in Loop: Header=BB6_138 Depth=3
	s_or_b64 exec, exec, s[34:35]
                                        ; implicit-def: $vgpr3
.LBB6_2153:                             ;   in Loop: Header=BB6_138 Depth=3
	s_andn2_saveexec_b64 s[26:27], s[30:31]
	s_cbranch_execz .LBB6_2155
; %bb.2154:                             ;   in Loop: Header=BB6_138 Depth=3
	v_or_b32_e32 v0, 0x7b, v3
	buffer_store_dword v0, off, s[0:3], s33 offset:604 ; 4-byte Folded Spill
.LBB6_2155:                             ;   in Loop: Header=BB6_138 Depth=3
	s_or_b64 exec, exec, s[26:27]
                                        ; implicit-def: $vgpr2
                                        ; implicit-def: $vgpr0_vgpr1
.LBB6_2156:                             ;   in Loop: Header=BB6_138 Depth=3
	s_andn2_saveexec_b64 s[26:27], s[94:95]
	s_cbranch_execz .LBB6_2162
; %bb.2157:                             ;   in Loop: Header=BB6_138 Depth=3
	v_cmp_ne_u64_e32 vcc, 0, v[0:1]
                                        ; implicit-def: $vgpr0
                                        ; kill: killed $vgpr0
	s_and_saveexec_b64 s[62:63], vcc
	s_xor_b64 s[94:95], exec, s[62:63]
	s_cbranch_execz .LBB6_2159
; %bb.2158:                             ;   in Loop: Header=BB6_138 Depth=3
	v_or_b32_sdwa v0, v2, s44 dst_sel:DWORD dst_unused:UNUSED_PAD src0_sel:BYTE_3 src1_sel:DWORD
	buffer_store_dword v0, off, s[0:3], s33 offset:604 ; 4-byte Folded Spill
                                        ; implicit-def: $vgpr2
.LBB6_2159:                             ;   in Loop: Header=BB6_138 Depth=3
	s_andn2_saveexec_b64 s[94:95], s[94:95]
	s_cbranch_execz .LBB6_2161
; %bb.2160:                             ;   in Loop: Header=BB6_138 Depth=3
	v_cmp_lt_i32_e32 vcc, -1, v2
	v_bfrev_b32_e32 v0, 0.5
	v_mov_b32_e32 v1, 0x7c
	v_cndmask_b32_e32 v0, v0, v1, vcc
	buffer_store_dword v0, off, s[0:3], s33 offset:604 ; 4-byte Folded Spill
.LBB6_2161:                             ;   in Loop: Header=BB6_138 Depth=3
	s_or_b64 exec, exec, s[94:95]
.LBB6_2162:                             ;   in Loop: Header=BB6_138 Depth=3
	s_or_b64 exec, exec, s[26:27]
	v_cmp_ne_u16_sdwa s[62:63], v10, v33 src0_sel:BYTE_0 src1_sel:DWORD
	v_mov_b32_e32 v0, 0
	s_and_saveexec_b64 s[26:27], s[62:63]
	s_cbranch_execz .LBB6_2170
; %bb.2163:                             ;   in Loop: Header=BB6_138 Depth=3
	v_cmp_ne_u16_sdwa s[62:63], sext(v10), s46 src0_sel:BYTE_0 src1_sel:DWORD
	v_bfrev_b32_e32 v0, 1
	s_and_saveexec_b64 s[94:95], s[62:63]
	s_cbranch_execz .LBB6_2169
; %bb.2164:                             ;   in Loop: Header=BB6_138 Depth=3
	v_and_b32_e32 v0, 0x7c, v10
	v_and_b32_e32 v1, 3, v10
	v_cmp_ne_u32_e32 vcc, s86, v0
                                        ; implicit-def: $vgpr0
	s_and_saveexec_b64 s[62:63], vcc
	s_xor_b64 s[30:31], exec, s[62:63]
	s_cbranch_execz .LBB6_2166
; %bb.2165:                             ;   in Loop: Header=BB6_138 Depth=3
	v_ffbh_u32_e32 v2, v1
	v_min_u32_e32 v4, 32, v2
	v_subrev_u32_e32 v2, 29, v4
	v_lshlrev_b64 v[2:3], v2, v[10:11]
	v_bfe_u32 v0, v10, 2, 5
	v_and_b32_e32 v2, 3, v2
	v_cmp_eq_u32_e32 vcc, 0, v0
	v_sub_u32_e32 v3, 30, v4
	v_cndmask_b32_e32 v1, v1, v2, vcc
	v_lshlrev_b32_e32 v2, 24, v10
	v_cndmask_b32_e32 v0, v0, v3, vcc
	v_and_b32_e32 v2, 0x80000000, v2
	v_lshl_add_u32 v0, v0, 23, v2
	v_lshl_or_b32 v0, v1, 21, v0
	v_add_u32_e32 v0, 0x38000000, v0
                                        ; implicit-def: $vgpr1
.LBB6_2166:                             ;   in Loop: Header=BB6_138 Depth=3
	s_andn2_saveexec_b64 s[30:31], s[30:31]
; %bb.2167:                             ;   in Loop: Header=BB6_138 Depth=3
	v_mov_b32_e32 v0, -1
	v_cmp_gt_i16_sdwa vcc, sext(v10), v0 src0_sel:BYTE_0 src1_sel:DWORD
	v_mov_b32_e32 v0, 0xff800000
	v_mov_b32_e32 v2, 0x7f800000
	v_cndmask_b32_e32 v0, v0, v2, vcc
	v_cmp_eq_u32_e32 vcc, 0, v1
	v_mov_b32_e32 v1, 0x7f800001
	v_cndmask_b32_e32 v0, v1, v0, vcc
; %bb.2168:                             ;   in Loop: Header=BB6_138 Depth=3
	s_or_b64 exec, exec, s[30:31]
.LBB6_2169:                             ;   in Loop: Header=BB6_138 Depth=3
	s_or_b64 exec, exec, s[94:95]
.LBB6_2170:                             ;   in Loop: Header=BB6_138 Depth=3
	s_or_b64 exec, exec, s[26:27]
	v_mul_f32_e32 v2, v14, v0
	v_and_b32_e32 v3, 0x7f800000, v2
	v_mov_b32_e32 v4, v33
	v_cmp_ne_u64_e32 vcc, s[76:77], v[3:4]
	v_and_b32_e32 v0, 0x7fffff, v2
	v_mov_b32_e32 v1, v33
                                        ; implicit-def: $vgpr3
                                        ; kill: killed $vgpr3
	s_and_saveexec_b64 s[26:27], vcc
	s_xor_b64 s[94:95], exec, s[26:27]
	s_cbranch_execz .LBB6_2184
; %bb.2171:                             ;   in Loop: Header=BB6_138 Depth=3
	v_and_b32_e32 v3, 0x7fffffff, v2
	v_mov_b32_e32 v4, v33
	v_cmp_gt_u64_e32 vcc, s[78:79], v[3:4]
	v_and_b32_sdwa v3, v2, s97 dst_sel:DWORD dst_unused:UNUSED_PAD src0_sel:BYTE_3 src1_sel:DWORD
                                        ; implicit-def: $vgpr4
                                        ; kill: killed $vgpr4
	s_and_saveexec_b64 s[26:27], vcc
	s_xor_b64 s[30:31], exec, s[26:27]
	s_cbranch_execz .LBB6_2181
; %bb.2172:                             ;   in Loop: Header=BB6_138 Depth=3
	v_mov_b32_e32 v4, 0
	v_cmp_ne_u32_e32 vcc, 0, v2
	buffer_store_dword v4, off, s[0:3], s33 offset:608 ; 4-byte Folded Spill
	s_and_saveexec_b64 s[34:35], vcc
	s_cbranch_execz .LBB6_2180
; %bb.2173:                             ;   in Loop: Header=BB6_138 Depth=3
	v_bfe_u32 v5, v2, 23, 8
	v_cmp_gt_u32_e64 s[26:27], s47, v5
	v_sub_u32_e32 v2, 0x71, v5
	v_cmp_eq_u32_e32 vcc, 0, v5
	v_cndmask_b32_e64 v2, 0, v2, s[26:27]
	v_mov_b32_e32 v6, 0x70
	v_cndmask_b32_e32 v6, v2, v6, vcc
	v_add_u32_e32 v2, 21, v6
	v_or_b32_e32 v4, 0x800000, v0
	v_lshlrev_b64 v[7:8], v2, -1
	v_cndmask_b32_e32 v0, v4, v0, vcc
	v_add_u32_e32 v2, 20, v6
	v_bfi_b32 v7, v7, 0, v0
	v_lshlrev_b64 v[15:16], v2, 1
	v_lshrrev_b64 v[0:1], v6, v[0:1]
	v_bfi_b32 v8, v8, 0, 0
	v_cmp_eq_u64_e64 s[26:27], v[7:8], v[15:16]
	v_mov_b32_e32 v2, v1
	v_mov_b32_e32 v1, v0
	s_and_saveexec_b64 s[36:37], s[26:27]
; %bb.2174:                             ;   in Loop: Header=BB6_138 Depth=3
	v_bfe_u32 v1, v0, 21, 1
	v_add_co_u32_e64 v1, s[26:27], v0, v1
	v_add_co_u32_e64 v1, s[26:27], -1, v1
; %bb.2175:                             ;   in Loop: Header=BB6_138 Depth=3
	s_or_b64 exec, exec, s[36:37]
	v_add_u32_e32 v2, 0xffffff81, v5
	v_mov_b32_e32 v4, 0xffffff82
	v_cndmask_b32_e32 v2, v2, v4, vcc
	v_lshrrev_b32_e32 v4, 23, v0
	v_add3_u32 v6, v6, v2, v4
	v_add_u32_e32 v5, 14, v6
	v_and_b32_e32 v1, 0x1fffff, v1
	v_add_u32_e32 v0, v1, v0
	v_mov_b32_e32 v1, v33
	v_cmp_ne_u32_e32 vcc, 0, v5
                                        ; implicit-def: $vgpr2
	s_and_saveexec_b64 s[26:27], vcc
	s_xor_b64 s[26:27], exec, s[26:27]
; %bb.2176:                             ;   in Loop: Header=BB6_138 Depth=3
	v_cmp_lt_u64_e32 vcc, s[88:89], v[0:1]
	v_add_u32_e32 v2, 15, v6
	v_cndmask_b32_e64 v4, 0, 1, vcc
	v_lshrrev_b64 v[0:1], v4, v[0:1]
	v_cndmask_b32_e32 v2, v5, v2, vcc
; %bb.2177:                             ;   in Loop: Header=BB6_138 Depth=3
	s_andn2_saveexec_b64 s[26:27], s[26:27]
; %bb.2178:                             ;   in Loop: Header=BB6_138 Depth=3
	v_bfe_u32 v2, v0, 23, 1
; %bb.2179:                             ;   in Loop: Header=BB6_138 Depth=3
	s_or_b64 exec, exec, s[26:27]
	v_lshrrev_b64 v[0:1], 21, v[0:1]
	v_cmp_gt_i32_e32 vcc, 32, v2
	v_cndmask_b32_e32 v1, 0, v1, vcc
	v_cndmask_b32_e32 v0, 3, v0, vcc
	v_cmp_eq_u64_e64 s[26:27], 0, v[0:1]
	v_min_i32_e32 v1, 31, v2
	v_lshlrev_b32_e32 v1, 2, v1
	v_cmp_eq_u32_e32 vcc, 0, v2
	v_and_b32_e32 v1, 0xfc, v1
	v_and_or_b32 v0, v0, 3, v1
	s_and_b64 s[26:27], vcc, s[26:27]
	v_cndmask_b32_e64 v0, v0, 0, s[26:27]
	v_or_b32_e32 v0, v0, v3
	buffer_store_dword v0, off, s[0:3], s33 offset:608 ; 4-byte Folded Spill
.LBB6_2180:                             ;   in Loop: Header=BB6_138 Depth=3
	s_or_b64 exec, exec, s[34:35]
                                        ; implicit-def: $vgpr3
.LBB6_2181:                             ;   in Loop: Header=BB6_138 Depth=3
	s_andn2_saveexec_b64 s[26:27], s[30:31]
	s_cbranch_execz .LBB6_2183
; %bb.2182:                             ;   in Loop: Header=BB6_138 Depth=3
	v_or_b32_e32 v0, 0x7b, v3
	buffer_store_dword v0, off, s[0:3], s33 offset:608 ; 4-byte Folded Spill
.LBB6_2183:                             ;   in Loop: Header=BB6_138 Depth=3
	s_or_b64 exec, exec, s[26:27]
                                        ; implicit-def: $vgpr2
                                        ; implicit-def: $vgpr0_vgpr1
.LBB6_2184:                             ;   in Loop: Header=BB6_138 Depth=3
	s_andn2_saveexec_b64 s[26:27], s[94:95]
	s_cbranch_execz .LBB6_2190
; %bb.2185:                             ;   in Loop: Header=BB6_138 Depth=3
	v_cmp_ne_u64_e32 vcc, 0, v[0:1]
                                        ; implicit-def: $vgpr0
                                        ; kill: killed $vgpr0
	s_and_saveexec_b64 s[62:63], vcc
	s_xor_b64 s[94:95], exec, s[62:63]
	s_cbranch_execz .LBB6_2187
; %bb.2186:                             ;   in Loop: Header=BB6_138 Depth=3
	v_or_b32_sdwa v0, v2, s44 dst_sel:DWORD dst_unused:UNUSED_PAD src0_sel:BYTE_3 src1_sel:DWORD
	buffer_store_dword v0, off, s[0:3], s33 offset:608 ; 4-byte Folded Spill
                                        ; implicit-def: $vgpr2
.LBB6_2187:                             ;   in Loop: Header=BB6_138 Depth=3
	s_andn2_saveexec_b64 s[94:95], s[94:95]
	s_cbranch_execz .LBB6_2189
; %bb.2188:                             ;   in Loop: Header=BB6_138 Depth=3
	v_cmp_lt_i32_e32 vcc, -1, v2
	v_bfrev_b32_e32 v0, 0.5
	v_mov_b32_e32 v1, 0x7c
	v_cndmask_b32_e32 v0, v0, v1, vcc
	buffer_store_dword v0, off, s[0:3], s33 offset:608 ; 4-byte Folded Spill
.LBB6_2189:                             ;   in Loop: Header=BB6_138 Depth=3
	s_or_b64 exec, exec, s[94:95]
.LBB6_2190:                             ;   in Loop: Header=BB6_138 Depth=3
	s_or_b64 exec, exec, s[26:27]
	v_lshrrev_b16_e32 v0, 8, v10
	v_cmp_ne_u16_e32 vcc, 0, v0
	v_mov_b32_e32 v1, 0
	s_and_saveexec_b64 s[26:27], vcc
	s_cbranch_execz .LBB6_2198
; %bb.2191:                             ;   in Loop: Header=BB6_138 Depth=3
	v_cmp_ne_u16_e32 vcc, s97, v0
	v_bfrev_b32_e32 v1, 1
	s_and_saveexec_b64 s[94:95], vcc
	s_cbranch_execz .LBB6_2197
; %bb.2192:                             ;   in Loop: Header=BB6_138 Depth=3
	v_and_b32_e32 v1, 0x7c, v0
	v_and_b32_e32 v2, 3, v0
	v_cmp_ne_u32_e32 vcc, s86, v1
                                        ; implicit-def: $vgpr1
	s_and_saveexec_b64 s[62:63], vcc
	s_xor_b64 s[30:31], exec, s[62:63]
	s_cbranch_execz .LBB6_2194
; %bb.2193:                             ;   in Loop: Header=BB6_138 Depth=3
	v_ffbh_u32_e32 v4, v2
	v_min_u32_e32 v4, 32, v4
	v_mov_b32_e32 v1, v33
	v_subrev_u32_e32 v5, 29, v4
	v_bfe_u32 v3, v0, 2, 5
	v_lshlrev_b64 v[0:1], v5, v[0:1]
	v_cmp_eq_u32_e32 vcc, 0, v3
	v_and_b32_e32 v0, 3, v0
	v_sub_u32_e32 v1, 30, v4
	v_cndmask_b32_e32 v0, v2, v0, vcc
	v_lshlrev_b32_e32 v2, 16, v10
	v_cndmask_b32_e32 v1, v3, v1, vcc
	v_and_b32_e32 v2, 0x80000000, v2
	v_lshl_add_u32 v1, v1, 23, v2
	v_lshl_or_b32 v0, v0, 21, v1
	v_add_u32_e32 v1, 0x38000000, v0
                                        ; implicit-def: $vgpr2
.LBB6_2194:                             ;   in Loop: Header=BB6_138 Depth=3
	s_andn2_saveexec_b64 s[30:31], s[30:31]
; %bb.2195:                             ;   in Loop: Header=BB6_138 Depth=3
	v_cmp_lt_i16_e32 vcc, -1, v10
	v_mov_b32_e32 v0, 0xff800000
	v_mov_b32_e32 v1, 0x7f800000
	v_cndmask_b32_e32 v0, v0, v1, vcc
	v_cmp_eq_u32_e32 vcc, 0, v2
	v_mov_b32_e32 v1, 0x7f800001
	v_cndmask_b32_e32 v1, v1, v0, vcc
; %bb.2196:                             ;   in Loop: Header=BB6_138 Depth=3
	s_or_b64 exec, exec, s[30:31]
.LBB6_2197:                             ;   in Loop: Header=BB6_138 Depth=3
	s_or_b64 exec, exec, s[94:95]
.LBB6_2198:                             ;   in Loop: Header=BB6_138 Depth=3
	s_or_b64 exec, exec, s[26:27]
	v_mul_f32_e32 v2, v14, v1
	v_and_b32_e32 v3, 0x7f800000, v2
	v_mov_b32_e32 v4, v33
	v_cmp_ne_u64_e32 vcc, s[76:77], v[3:4]
	v_and_b32_e32 v0, 0x7fffff, v2
	v_mov_b32_e32 v1, v33
                                        ; implicit-def: $vgpr3
                                        ; kill: killed $vgpr3
	s_and_saveexec_b64 s[26:27], vcc
	s_xor_b64 s[94:95], exec, s[26:27]
	s_cbranch_execz .LBB6_2212
; %bb.2199:                             ;   in Loop: Header=BB6_138 Depth=3
	v_and_b32_e32 v3, 0x7fffffff, v2
	v_mov_b32_e32 v4, v33
	v_cmp_gt_u64_e32 vcc, s[78:79], v[3:4]
	v_and_b32_sdwa v3, v2, s97 dst_sel:DWORD dst_unused:UNUSED_PAD src0_sel:BYTE_3 src1_sel:DWORD
                                        ; implicit-def: $vgpr4
                                        ; kill: killed $vgpr4
	s_and_saveexec_b64 s[26:27], vcc
	s_xor_b64 s[30:31], exec, s[26:27]
	s_cbranch_execz .LBB6_2209
; %bb.2200:                             ;   in Loop: Header=BB6_138 Depth=3
	v_mov_b32_e32 v4, 0
	v_cmp_ne_u32_e32 vcc, 0, v2
	buffer_store_dword v4, off, s[0:3], s33 offset:612 ; 4-byte Folded Spill
	s_and_saveexec_b64 s[34:35], vcc
	s_cbranch_execz .LBB6_2208
; %bb.2201:                             ;   in Loop: Header=BB6_138 Depth=3
	v_bfe_u32 v5, v2, 23, 8
	v_cmp_gt_u32_e64 s[26:27], s47, v5
	v_sub_u32_e32 v2, 0x71, v5
	v_cmp_eq_u32_e32 vcc, 0, v5
	v_cndmask_b32_e64 v2, 0, v2, s[26:27]
	v_mov_b32_e32 v6, 0x70
	v_cndmask_b32_e32 v6, v2, v6, vcc
	v_add_u32_e32 v2, 21, v6
	v_or_b32_e32 v4, 0x800000, v0
	v_lshlrev_b64 v[7:8], v2, -1
	v_cndmask_b32_e32 v0, v4, v0, vcc
	v_add_u32_e32 v2, 20, v6
	v_bfi_b32 v7, v7, 0, v0
	v_lshlrev_b64 v[15:16], v2, 1
	v_lshrrev_b64 v[0:1], v6, v[0:1]
	v_bfi_b32 v8, v8, 0, 0
	v_cmp_eq_u64_e64 s[26:27], v[7:8], v[15:16]
	v_mov_b32_e32 v2, v1
	v_mov_b32_e32 v1, v0
	s_and_saveexec_b64 s[36:37], s[26:27]
; %bb.2202:                             ;   in Loop: Header=BB6_138 Depth=3
	v_bfe_u32 v1, v0, 21, 1
	v_add_co_u32_e64 v1, s[26:27], v0, v1
	v_add_co_u32_e64 v1, s[26:27], -1, v1
; %bb.2203:                             ;   in Loop: Header=BB6_138 Depth=3
	s_or_b64 exec, exec, s[36:37]
	v_add_u32_e32 v2, 0xffffff81, v5
	v_mov_b32_e32 v4, 0xffffff82
	v_cndmask_b32_e32 v2, v2, v4, vcc
	v_lshrrev_b32_e32 v4, 23, v0
	v_add3_u32 v6, v6, v2, v4
	v_add_u32_e32 v5, 14, v6
	v_and_b32_e32 v1, 0x1fffff, v1
	v_add_u32_e32 v0, v1, v0
	v_mov_b32_e32 v1, v33
	v_cmp_ne_u32_e32 vcc, 0, v5
                                        ; implicit-def: $vgpr2
	s_and_saveexec_b64 s[26:27], vcc
	s_xor_b64 s[26:27], exec, s[26:27]
; %bb.2204:                             ;   in Loop: Header=BB6_138 Depth=3
	v_cmp_lt_u64_e32 vcc, s[88:89], v[0:1]
	v_add_u32_e32 v2, 15, v6
	v_cndmask_b32_e64 v4, 0, 1, vcc
	v_lshrrev_b64 v[0:1], v4, v[0:1]
	v_cndmask_b32_e32 v2, v5, v2, vcc
; %bb.2205:                             ;   in Loop: Header=BB6_138 Depth=3
	s_andn2_saveexec_b64 s[26:27], s[26:27]
; %bb.2206:                             ;   in Loop: Header=BB6_138 Depth=3
	v_bfe_u32 v2, v0, 23, 1
; %bb.2207:                             ;   in Loop: Header=BB6_138 Depth=3
	s_or_b64 exec, exec, s[26:27]
	v_lshrrev_b64 v[0:1], 21, v[0:1]
	v_cmp_gt_i32_e32 vcc, 32, v2
	v_cndmask_b32_e32 v1, 0, v1, vcc
	v_cndmask_b32_e32 v0, 3, v0, vcc
	v_cmp_eq_u64_e64 s[26:27], 0, v[0:1]
	v_min_i32_e32 v1, 31, v2
	v_lshlrev_b32_e32 v1, 2, v1
	v_cmp_eq_u32_e32 vcc, 0, v2
	v_and_b32_e32 v1, 0xfc, v1
	v_and_or_b32 v0, v0, 3, v1
	s_and_b64 s[26:27], vcc, s[26:27]
	v_cndmask_b32_e64 v0, v0, 0, s[26:27]
	v_or_b32_e32 v0, v0, v3
	buffer_store_dword v0, off, s[0:3], s33 offset:612 ; 4-byte Folded Spill
.LBB6_2208:                             ;   in Loop: Header=BB6_138 Depth=3
	s_or_b64 exec, exec, s[34:35]
                                        ; implicit-def: $vgpr3
.LBB6_2209:                             ;   in Loop: Header=BB6_138 Depth=3
	s_andn2_saveexec_b64 s[26:27], s[30:31]
	s_cbranch_execz .LBB6_2211
; %bb.2210:                             ;   in Loop: Header=BB6_138 Depth=3
	v_or_b32_e32 v0, 0x7b, v3
	buffer_store_dword v0, off, s[0:3], s33 offset:612 ; 4-byte Folded Spill
.LBB6_2211:                             ;   in Loop: Header=BB6_138 Depth=3
	s_or_b64 exec, exec, s[26:27]
                                        ; implicit-def: $vgpr2
                                        ; implicit-def: $vgpr0_vgpr1
.LBB6_2212:                             ;   in Loop: Header=BB6_138 Depth=3
	s_andn2_saveexec_b64 s[26:27], s[94:95]
	s_cbranch_execz .LBB6_2218
; %bb.2213:                             ;   in Loop: Header=BB6_138 Depth=3
	v_cmp_ne_u64_e32 vcc, 0, v[0:1]
                                        ; implicit-def: $vgpr0
                                        ; kill: killed $vgpr0
	s_and_saveexec_b64 s[62:63], vcc
	s_xor_b64 s[94:95], exec, s[62:63]
	s_cbranch_execz .LBB6_2215
; %bb.2214:                             ;   in Loop: Header=BB6_138 Depth=3
	v_or_b32_sdwa v0, v2, s44 dst_sel:DWORD dst_unused:UNUSED_PAD src0_sel:BYTE_3 src1_sel:DWORD
	buffer_store_dword v0, off, s[0:3], s33 offset:612 ; 4-byte Folded Spill
                                        ; implicit-def: $vgpr2
.LBB6_2215:                             ;   in Loop: Header=BB6_138 Depth=3
	s_andn2_saveexec_b64 s[94:95], s[94:95]
	s_cbranch_execz .LBB6_2217
; %bb.2216:                             ;   in Loop: Header=BB6_138 Depth=3
	v_cmp_lt_i32_e32 vcc, -1, v2
	v_bfrev_b32_e32 v0, 0.5
	v_mov_b32_e32 v1, 0x7c
	v_cndmask_b32_e32 v0, v0, v1, vcc
	buffer_store_dword v0, off, s[0:3], s33 offset:612 ; 4-byte Folded Spill
.LBB6_2217:                             ;   in Loop: Header=BB6_138 Depth=3
	s_or_b64 exec, exec, s[94:95]
.LBB6_2218:                             ;   in Loop: Header=BB6_138 Depth=3
	s_or_b64 exec, exec, s[26:27]
	v_lshrrev_b32_e32 v0, 16, v10
	v_cmp_ne_u16_sdwa s[62:63], v0, v33 src0_sel:BYTE_0 src1_sel:DWORD
	v_mov_b32_e32 v1, 0
	s_and_saveexec_b64 s[26:27], s[62:63]
	s_cbranch_execz .LBB6_2226
; %bb.2219:                             ;   in Loop: Header=BB6_138 Depth=3
	v_cmp_ne_u16_sdwa s[62:63], v0, s97 src0_sel:BYTE_0 src1_sel:DWORD
	v_bfrev_b32_e32 v1, 1
	s_and_saveexec_b64 s[94:95], s[62:63]
	s_cbranch_execz .LBB6_2225
; %bb.2220:                             ;   in Loop: Header=BB6_138 Depth=3
	v_and_b32_e32 v1, 0x7c0000, v10
	v_bfe_u32 v2, v10, 16, 2
	v_cmp_ne_u32_e32 vcc, s45, v1
                                        ; implicit-def: $vgpr1
	s_and_saveexec_b64 s[62:63], vcc
	s_xor_b64 s[30:31], exec, s[62:63]
	s_cbranch_execz .LBB6_2222
; %bb.2221:                             ;   in Loop: Header=BB6_138 Depth=3
	v_ffbh_u32_e32 v1, v2
	v_min_u32_e32 v4, 32, v1
	v_subrev_u32_e32 v1, 29, v4
	v_lshlrev_b64 v[0:1], v1, v[0:1]
	v_bfe_u32 v3, v10, 18, 5
	v_and_b32_e32 v0, 3, v0
	v_cmp_eq_u32_e32 vcc, 0, v3
	v_sub_u32_e32 v1, 30, v4
	v_cndmask_b32_e32 v0, v2, v0, vcc
	v_lshlrev_b32_e32 v2, 8, v10
	v_cndmask_b32_e32 v1, v3, v1, vcc
	v_and_b32_e32 v2, 0x80000000, v2
	v_lshl_add_u32 v1, v1, 23, v2
	v_lshl_or_b32 v0, v0, 21, v1
	v_add_u32_e32 v1, 0x38000000, v0
                                        ; implicit-def: $vgpr2
                                        ; implicit-def: $vgpr0
.LBB6_2222:                             ;   in Loop: Header=BB6_138 Depth=3
	s_andn2_saveexec_b64 s[30:31], s[30:31]
; %bb.2223:                             ;   in Loop: Header=BB6_138 Depth=3
	v_mov_b32_e32 v1, -1
	v_cmp_gt_i16_sdwa vcc, sext(v0), v1 src0_sel:BYTE_0 src1_sel:DWORD
	v_mov_b32_e32 v0, 0xff800000
	v_mov_b32_e32 v1, 0x7f800000
	v_cndmask_b32_e32 v0, v0, v1, vcc
	v_cmp_eq_u32_e32 vcc, 0, v2
	v_mov_b32_e32 v1, 0x7f800001
	v_cndmask_b32_e32 v1, v1, v0, vcc
; %bb.2224:                             ;   in Loop: Header=BB6_138 Depth=3
	s_or_b64 exec, exec, s[30:31]
.LBB6_2225:                             ;   in Loop: Header=BB6_138 Depth=3
	s_or_b64 exec, exec, s[94:95]
.LBB6_2226:                             ;   in Loop: Header=BB6_138 Depth=3
	s_or_b64 exec, exec, s[26:27]
	v_mul_f32_e32 v2, v14, v1
	v_and_b32_e32 v3, 0x7f800000, v2
	v_mov_b32_e32 v4, v33
	v_cmp_ne_u64_e32 vcc, s[76:77], v[3:4]
	v_and_b32_e32 v0, 0x7fffff, v2
	v_mov_b32_e32 v1, v33
                                        ; implicit-def: $vgpr3
                                        ; kill: killed $vgpr3
	s_and_saveexec_b64 s[26:27], vcc
	s_xor_b64 s[94:95], exec, s[26:27]
	s_cbranch_execz .LBB6_2240
; %bb.2227:                             ;   in Loop: Header=BB6_138 Depth=3
	v_and_b32_e32 v3, 0x7fffffff, v2
	v_mov_b32_e32 v4, v33
	v_cmp_gt_u64_e32 vcc, s[78:79], v[3:4]
	v_and_b32_sdwa v3, v2, s97 dst_sel:DWORD dst_unused:UNUSED_PAD src0_sel:BYTE_3 src1_sel:DWORD
                                        ; implicit-def: $vgpr4
                                        ; kill: killed $vgpr4
	s_and_saveexec_b64 s[26:27], vcc
	s_xor_b64 s[30:31], exec, s[26:27]
	s_cbranch_execz .LBB6_2237
; %bb.2228:                             ;   in Loop: Header=BB6_138 Depth=3
	v_mov_b32_e32 v4, 0
	v_cmp_ne_u32_e32 vcc, 0, v2
	buffer_store_dword v4, off, s[0:3], s33 offset:616 ; 4-byte Folded Spill
	s_and_saveexec_b64 s[34:35], vcc
	s_cbranch_execz .LBB6_2236
; %bb.2229:                             ;   in Loop: Header=BB6_138 Depth=3
	v_bfe_u32 v5, v2, 23, 8
	v_cmp_gt_u32_e64 s[26:27], s47, v5
	v_sub_u32_e32 v2, 0x71, v5
	v_cmp_eq_u32_e32 vcc, 0, v5
	v_cndmask_b32_e64 v2, 0, v2, s[26:27]
	v_mov_b32_e32 v6, 0x70
	v_cndmask_b32_e32 v6, v2, v6, vcc
	v_add_u32_e32 v2, 21, v6
	v_or_b32_e32 v4, 0x800000, v0
	v_lshlrev_b64 v[7:8], v2, -1
	v_cndmask_b32_e32 v0, v4, v0, vcc
	v_add_u32_e32 v2, 20, v6
	v_bfi_b32 v7, v7, 0, v0
	v_lshlrev_b64 v[15:16], v2, 1
	v_lshrrev_b64 v[0:1], v6, v[0:1]
	v_bfi_b32 v8, v8, 0, 0
	v_cmp_eq_u64_e64 s[26:27], v[7:8], v[15:16]
	v_mov_b32_e32 v2, v1
	v_mov_b32_e32 v1, v0
	s_and_saveexec_b64 s[36:37], s[26:27]
; %bb.2230:                             ;   in Loop: Header=BB6_138 Depth=3
	v_bfe_u32 v1, v0, 21, 1
	v_add_co_u32_e64 v1, s[26:27], v0, v1
	v_add_co_u32_e64 v1, s[26:27], -1, v1
; %bb.2231:                             ;   in Loop: Header=BB6_138 Depth=3
	s_or_b64 exec, exec, s[36:37]
	v_add_u32_e32 v2, 0xffffff81, v5
	v_mov_b32_e32 v4, 0xffffff82
	v_cndmask_b32_e32 v2, v2, v4, vcc
	v_lshrrev_b32_e32 v4, 23, v0
	v_add3_u32 v6, v6, v2, v4
	v_add_u32_e32 v5, 14, v6
	v_and_b32_e32 v1, 0x1fffff, v1
	v_add_u32_e32 v0, v1, v0
	v_mov_b32_e32 v1, v33
	v_cmp_ne_u32_e32 vcc, 0, v5
                                        ; implicit-def: $vgpr2
	s_and_saveexec_b64 s[26:27], vcc
	s_xor_b64 s[26:27], exec, s[26:27]
; %bb.2232:                             ;   in Loop: Header=BB6_138 Depth=3
	v_cmp_lt_u64_e32 vcc, s[88:89], v[0:1]
	v_add_u32_e32 v2, 15, v6
	v_cndmask_b32_e64 v4, 0, 1, vcc
	v_lshrrev_b64 v[0:1], v4, v[0:1]
	v_cndmask_b32_e32 v2, v5, v2, vcc
; %bb.2233:                             ;   in Loop: Header=BB6_138 Depth=3
	s_andn2_saveexec_b64 s[26:27], s[26:27]
; %bb.2234:                             ;   in Loop: Header=BB6_138 Depth=3
	v_bfe_u32 v2, v0, 23, 1
; %bb.2235:                             ;   in Loop: Header=BB6_138 Depth=3
	s_or_b64 exec, exec, s[26:27]
	v_lshrrev_b64 v[0:1], 21, v[0:1]
	v_cmp_gt_i32_e32 vcc, 32, v2
	v_cndmask_b32_e32 v1, 0, v1, vcc
	v_cndmask_b32_e32 v0, 3, v0, vcc
	v_cmp_eq_u64_e64 s[26:27], 0, v[0:1]
	v_min_i32_e32 v1, 31, v2
	v_lshlrev_b32_e32 v1, 2, v1
	v_cmp_eq_u32_e32 vcc, 0, v2
	v_and_b32_e32 v1, 0xfc, v1
	v_and_or_b32 v0, v0, 3, v1
	s_and_b64 s[26:27], vcc, s[26:27]
	v_cndmask_b32_e64 v0, v0, 0, s[26:27]
	v_or_b32_e32 v0, v0, v3
	buffer_store_dword v0, off, s[0:3], s33 offset:616 ; 4-byte Folded Spill
.LBB6_2236:                             ;   in Loop: Header=BB6_138 Depth=3
	s_or_b64 exec, exec, s[34:35]
                                        ; implicit-def: $vgpr3
.LBB6_2237:                             ;   in Loop: Header=BB6_138 Depth=3
	s_andn2_saveexec_b64 s[26:27], s[30:31]
	s_cbranch_execz .LBB6_2239
; %bb.2238:                             ;   in Loop: Header=BB6_138 Depth=3
	v_or_b32_e32 v0, 0x7b, v3
	buffer_store_dword v0, off, s[0:3], s33 offset:616 ; 4-byte Folded Spill
.LBB6_2239:                             ;   in Loop: Header=BB6_138 Depth=3
	s_or_b64 exec, exec, s[26:27]
                                        ; implicit-def: $vgpr2
                                        ; implicit-def: $vgpr0_vgpr1
.LBB6_2240:                             ;   in Loop: Header=BB6_138 Depth=3
	s_andn2_saveexec_b64 s[26:27], s[94:95]
	s_cbranch_execz .LBB6_2246
; %bb.2241:                             ;   in Loop: Header=BB6_138 Depth=3
	v_cmp_ne_u64_e32 vcc, 0, v[0:1]
                                        ; implicit-def: $vgpr0
                                        ; kill: killed $vgpr0
	s_and_saveexec_b64 s[62:63], vcc
	s_xor_b64 s[94:95], exec, s[62:63]
	s_cbranch_execz .LBB6_2243
; %bb.2242:                             ;   in Loop: Header=BB6_138 Depth=3
	v_or_b32_sdwa v0, v2, s44 dst_sel:DWORD dst_unused:UNUSED_PAD src0_sel:BYTE_3 src1_sel:DWORD
	buffer_store_dword v0, off, s[0:3], s33 offset:616 ; 4-byte Folded Spill
                                        ; implicit-def: $vgpr2
.LBB6_2243:                             ;   in Loop: Header=BB6_138 Depth=3
	s_andn2_saveexec_b64 s[94:95], s[94:95]
	s_cbranch_execz .LBB6_2245
; %bb.2244:                             ;   in Loop: Header=BB6_138 Depth=3
	v_cmp_lt_i32_e32 vcc, -1, v2
	v_bfrev_b32_e32 v0, 0.5
	v_mov_b32_e32 v1, 0x7c
	v_cndmask_b32_e32 v0, v0, v1, vcc
	buffer_store_dword v0, off, s[0:3], s33 offset:616 ; 4-byte Folded Spill
.LBB6_2245:                             ;   in Loop: Header=BB6_138 Depth=3
	s_or_b64 exec, exec, s[94:95]
.LBB6_2246:                             ;   in Loop: Header=BB6_138 Depth=3
	s_or_b64 exec, exec, s[26:27]
	v_cmp_lt_u32_e32 vcc, s57, v10
	v_mov_b32_e32 v1, 0
	s_and_saveexec_b64 s[26:27], vcc
	s_cbranch_execz .LBB6_2254
; %bb.2247:                             ;   in Loop: Header=BB6_138 Depth=3
	v_lshrrev_b32_e32 v0, 24, v10
	v_cmp_ne_u32_e32 vcc, s97, v0
	v_bfrev_b32_e32 v1, 1
	s_and_saveexec_b64 s[94:95], vcc
	s_cbranch_execz .LBB6_2253
; %bb.2248:                             ;   in Loop: Header=BB6_138 Depth=3
	v_and_b32_e32 v1, 0x7c000000, v10
	v_bfe_u32 v2, v10, 24, 2
	v_cmp_ne_u32_e32 vcc, s68, v1
                                        ; implicit-def: $vgpr1
	s_and_saveexec_b64 s[62:63], vcc
	s_xor_b64 s[30:31], exec, s[62:63]
	s_cbranch_execz .LBB6_2250
; %bb.2249:                             ;   in Loop: Header=BB6_138 Depth=3
	v_ffbh_u32_e32 v1, v2
	v_min_u32_e32 v4, 32, v1
	v_subrev_u32_e32 v1, 29, v4
	v_lshlrev_b64 v[0:1], v1, v[0:1]
	v_bfe_u32 v3, v10, 26, 5
	v_sub_u32_e32 v1, 30, v4
	v_and_b32_e32 v0, 3, v0
	v_cmp_eq_u32_e32 vcc, 0, v3
	v_cndmask_b32_e32 v1, v3, v1, vcc
	v_cndmask_b32_e32 v0, v2, v0, vcc
	v_and_b32_e32 v2, 0x80000000, v10
	v_lshl_add_u32 v1, v1, 23, v2
	v_lshl_or_b32 v0, v0, 21, v1
	v_add_u32_e32 v1, 0x38000000, v0
                                        ; implicit-def: $vgpr2
.LBB6_2250:                             ;   in Loop: Header=BB6_138 Depth=3
	s_andn2_saveexec_b64 s[30:31], s[30:31]
; %bb.2251:                             ;   in Loop: Header=BB6_138 Depth=3
	v_cmp_lt_i32_e32 vcc, -1, v10
	v_mov_b32_e32 v0, 0xff800000
	v_mov_b32_e32 v1, 0x7f800000
	v_cndmask_b32_e32 v0, v0, v1, vcc
	v_cmp_eq_u32_e32 vcc, 0, v2
	v_mov_b32_e32 v1, 0x7f800001
	v_cndmask_b32_e32 v1, v1, v0, vcc
; %bb.2252:                             ;   in Loop: Header=BB6_138 Depth=3
	s_or_b64 exec, exec, s[30:31]
.LBB6_2253:                             ;   in Loop: Header=BB6_138 Depth=3
	s_or_b64 exec, exec, s[94:95]
.LBB6_2254:                             ;   in Loop: Header=BB6_138 Depth=3
	s_or_b64 exec, exec, s[26:27]
	v_mul_f32_e32 v2, v14, v1
	v_and_b32_e32 v3, 0x7f800000, v2
	v_mov_b32_e32 v4, v33
	v_cmp_ne_u64_e32 vcc, s[76:77], v[3:4]
	v_and_b32_e32 v0, 0x7fffff, v2
	v_mov_b32_e32 v1, v33
                                        ; implicit-def: $vgpr3
                                        ; kill: killed $vgpr3
	s_and_saveexec_b64 s[26:27], vcc
	s_xor_b64 s[94:95], exec, s[26:27]
	s_cbranch_execz .LBB6_2268
; %bb.2255:                             ;   in Loop: Header=BB6_138 Depth=3
	v_and_b32_e32 v3, 0x7fffffff, v2
	v_mov_b32_e32 v4, v33
	v_cmp_gt_u64_e32 vcc, s[78:79], v[3:4]
	v_and_b32_sdwa v3, v2, s97 dst_sel:DWORD dst_unused:UNUSED_PAD src0_sel:BYTE_3 src1_sel:DWORD
                                        ; implicit-def: $vgpr4
                                        ; kill: killed $vgpr4
	s_and_saveexec_b64 s[26:27], vcc
	s_xor_b64 s[30:31], exec, s[26:27]
	s_cbranch_execz .LBB6_2265
; %bb.2256:                             ;   in Loop: Header=BB6_138 Depth=3
	v_mov_b32_e32 v4, 0
	v_cmp_ne_u32_e32 vcc, 0, v2
	buffer_store_dword v4, off, s[0:3], s33 offset:620 ; 4-byte Folded Spill
	s_and_saveexec_b64 s[34:35], vcc
	s_cbranch_execz .LBB6_2264
; %bb.2257:                             ;   in Loop: Header=BB6_138 Depth=3
	v_bfe_u32 v5, v2, 23, 8
	v_cmp_gt_u32_e64 s[26:27], s47, v5
	v_sub_u32_e32 v2, 0x71, v5
	v_cmp_eq_u32_e32 vcc, 0, v5
	v_cndmask_b32_e64 v2, 0, v2, s[26:27]
	v_mov_b32_e32 v6, 0x70
	v_cndmask_b32_e32 v6, v2, v6, vcc
	v_add_u32_e32 v2, 21, v6
	v_or_b32_e32 v4, 0x800000, v0
	v_lshlrev_b64 v[7:8], v2, -1
	v_cndmask_b32_e32 v0, v4, v0, vcc
	v_add_u32_e32 v2, 20, v6
	v_bfi_b32 v7, v7, 0, v0
	v_lshlrev_b64 v[15:16], v2, 1
	v_lshrrev_b64 v[0:1], v6, v[0:1]
	v_bfi_b32 v8, v8, 0, 0
	v_cmp_eq_u64_e64 s[26:27], v[7:8], v[15:16]
	v_mov_b32_e32 v2, v1
	v_mov_b32_e32 v1, v0
	s_and_saveexec_b64 s[36:37], s[26:27]
; %bb.2258:                             ;   in Loop: Header=BB6_138 Depth=3
	v_bfe_u32 v1, v0, 21, 1
	v_add_co_u32_e64 v1, s[26:27], v0, v1
	v_add_co_u32_e64 v1, s[26:27], -1, v1
; %bb.2259:                             ;   in Loop: Header=BB6_138 Depth=3
	s_or_b64 exec, exec, s[36:37]
	v_add_u32_e32 v2, 0xffffff81, v5
	v_mov_b32_e32 v4, 0xffffff82
	v_cndmask_b32_e32 v2, v2, v4, vcc
	v_lshrrev_b32_e32 v4, 23, v0
	v_add3_u32 v6, v6, v2, v4
	v_add_u32_e32 v5, 14, v6
	v_and_b32_e32 v1, 0x1fffff, v1
	v_add_u32_e32 v0, v1, v0
	v_mov_b32_e32 v1, v33
	v_cmp_ne_u32_e32 vcc, 0, v5
                                        ; implicit-def: $vgpr2
	s_and_saveexec_b64 s[26:27], vcc
	s_xor_b64 s[26:27], exec, s[26:27]
; %bb.2260:                             ;   in Loop: Header=BB6_138 Depth=3
	v_cmp_lt_u64_e32 vcc, s[88:89], v[0:1]
	v_add_u32_e32 v2, 15, v6
	v_cndmask_b32_e64 v4, 0, 1, vcc
	v_lshrrev_b64 v[0:1], v4, v[0:1]
	v_cndmask_b32_e32 v2, v5, v2, vcc
; %bb.2261:                             ;   in Loop: Header=BB6_138 Depth=3
	s_andn2_saveexec_b64 s[26:27], s[26:27]
; %bb.2262:                             ;   in Loop: Header=BB6_138 Depth=3
	v_bfe_u32 v2, v0, 23, 1
; %bb.2263:                             ;   in Loop: Header=BB6_138 Depth=3
	s_or_b64 exec, exec, s[26:27]
	v_lshrrev_b64 v[0:1], 21, v[0:1]
	v_cmp_gt_i32_e32 vcc, 32, v2
	v_cndmask_b32_e32 v1, 0, v1, vcc
	v_cndmask_b32_e32 v0, 3, v0, vcc
	v_cmp_eq_u64_e64 s[26:27], 0, v[0:1]
	v_min_i32_e32 v1, 31, v2
	v_lshlrev_b32_e32 v1, 2, v1
	v_cmp_eq_u32_e32 vcc, 0, v2
	v_and_b32_e32 v1, 0xfc, v1
	v_and_or_b32 v0, v0, 3, v1
	s_and_b64 s[26:27], vcc, s[26:27]
	v_cndmask_b32_e64 v0, v0, 0, s[26:27]
	v_or_b32_e32 v0, v0, v3
	buffer_store_dword v0, off, s[0:3], s33 offset:620 ; 4-byte Folded Spill
.LBB6_2264:                             ;   in Loop: Header=BB6_138 Depth=3
	s_or_b64 exec, exec, s[34:35]
                                        ; implicit-def: $vgpr3
.LBB6_2265:                             ;   in Loop: Header=BB6_138 Depth=3
	s_andn2_saveexec_b64 s[26:27], s[30:31]
	s_cbranch_execz .LBB6_2267
; %bb.2266:                             ;   in Loop: Header=BB6_138 Depth=3
	v_or_b32_e32 v0, 0x7b, v3
	buffer_store_dword v0, off, s[0:3], s33 offset:620 ; 4-byte Folded Spill
.LBB6_2267:                             ;   in Loop: Header=BB6_138 Depth=3
	s_or_b64 exec, exec, s[26:27]
                                        ; implicit-def: $vgpr2
                                        ; implicit-def: $vgpr0_vgpr1
.LBB6_2268:                             ;   in Loop: Header=BB6_138 Depth=3
	s_andn2_saveexec_b64 s[26:27], s[94:95]
	s_cbranch_execz .LBB6_2274
; %bb.2269:                             ;   in Loop: Header=BB6_138 Depth=3
	v_cmp_ne_u64_e32 vcc, 0, v[0:1]
                                        ; implicit-def: $vgpr0
                                        ; kill: killed $vgpr0
	s_and_saveexec_b64 s[62:63], vcc
	s_xor_b64 s[94:95], exec, s[62:63]
	s_cbranch_execz .LBB6_2271
; %bb.2270:                             ;   in Loop: Header=BB6_138 Depth=3
	v_or_b32_sdwa v0, v2, s44 dst_sel:DWORD dst_unused:UNUSED_PAD src0_sel:BYTE_3 src1_sel:DWORD
	buffer_store_dword v0, off, s[0:3], s33 offset:620 ; 4-byte Folded Spill
                                        ; implicit-def: $vgpr2
.LBB6_2271:                             ;   in Loop: Header=BB6_138 Depth=3
	s_andn2_saveexec_b64 s[94:95], s[94:95]
	s_cbranch_execz .LBB6_2273
; %bb.2272:                             ;   in Loop: Header=BB6_138 Depth=3
	v_cmp_lt_i32_e32 vcc, -1, v2
	v_bfrev_b32_e32 v0, 0.5
	v_mov_b32_e32 v1, 0x7c
	v_cndmask_b32_e32 v0, v0, v1, vcc
	buffer_store_dword v0, off, s[0:3], s33 offset:620 ; 4-byte Folded Spill
.LBB6_2273:                             ;   in Loop: Header=BB6_138 Depth=3
	s_or_b64 exec, exec, s[94:95]
.LBB6_2274:                             ;   in Loop: Header=BB6_138 Depth=3
	s_or_b64 exec, exec, s[26:27]
	v_mov_b32_e32 v0, v11
	v_mov_b32_e32 v1, v33
	v_cmp_ne_u16_sdwa s[62:63], v11, v33 src0_sel:BYTE_0 src1_sel:DWORD
	v_mov_b32_e32 v2, 0
	s_and_saveexec_b64 s[26:27], s[62:63]
	s_cbranch_execz .LBB6_2282
; %bb.2275:                             ;   in Loop: Header=BB6_138 Depth=3
	v_cmp_ne_u16_sdwa s[62:63], v11, s97 src0_sel:BYTE_0 src1_sel:DWORD
	v_bfrev_b32_e32 v2, 1
	s_and_saveexec_b64 s[94:95], s[62:63]
	s_cbranch_execz .LBB6_2281
; %bb.2276:                             ;   in Loop: Header=BB6_138 Depth=3
	v_and_b32_e32 v2, 0x7c, v11
	v_and_b32_e32 v3, 3, v11
	v_cmp_ne_u32_e32 vcc, s86, v2
                                        ; implicit-def: $vgpr2
	s_and_saveexec_b64 s[62:63], vcc
	s_xor_b64 s[30:31], exec, s[62:63]
	s_cbranch_execz .LBB6_2278
; %bb.2277:                             ;   in Loop: Header=BB6_138 Depth=3
	v_ffbh_u32_e32 v2, v3
	v_min_u32_e32 v5, 32, v2
	v_subrev_u32_e32 v2, 29, v5
	v_lshlrev_b64 v[1:2], v2, v[0:1]
	v_bfe_u32 v4, v11, 2, 5
	v_and_b32_e32 v1, 3, v1
	v_cmp_eq_u32_e32 vcc, 0, v4
	v_sub_u32_e32 v2, 30, v5
	v_cndmask_b32_e32 v1, v3, v1, vcc
	v_lshlrev_b32_e32 v3, 24, v11
	v_cndmask_b32_e32 v2, v4, v2, vcc
	v_and_b32_e32 v3, 0x80000000, v3
	v_lshl_add_u32 v2, v2, 23, v3
	v_lshl_or_b32 v1, v1, 21, v2
	v_add_u32_e32 v2, 0x38000000, v1
                                        ; implicit-def: $vgpr3
.LBB6_2278:                             ;   in Loop: Header=BB6_138 Depth=3
	s_andn2_saveexec_b64 s[30:31], s[30:31]
; %bb.2279:                             ;   in Loop: Header=BB6_138 Depth=3
	v_mov_b32_e32 v1, -1
	v_cmp_gt_i16_sdwa vcc, sext(v11), v1 src0_sel:BYTE_0 src1_sel:DWORD
	v_mov_b32_e32 v1, 0xff800000
	v_mov_b32_e32 v2, 0x7f800000
	v_cndmask_b32_e32 v1, v1, v2, vcc
	v_cmp_eq_u32_e32 vcc, 0, v3
	v_mov_b32_e32 v2, 0x7f800001
	v_cndmask_b32_e32 v2, v2, v1, vcc
; %bb.2280:                             ;   in Loop: Header=BB6_138 Depth=3
	s_or_b64 exec, exec, s[30:31]
.LBB6_2281:                             ;   in Loop: Header=BB6_138 Depth=3
	s_or_b64 exec, exec, s[94:95]
.LBB6_2282:                             ;   in Loop: Header=BB6_138 Depth=3
	s_or_b64 exec, exec, s[26:27]
	v_mul_f32_e32 v3, v14, v2
	v_and_b32_e32 v4, 0x7f800000, v3
	v_mov_b32_e32 v5, v33
	v_cmp_ne_u64_e32 vcc, s[76:77], v[4:5]
	v_and_b32_e32 v1, 0x7fffff, v3
	v_mov_b32_e32 v2, v33
                                        ; implicit-def: $vgpr4
                                        ; kill: killed $vgpr4
	s_and_saveexec_b64 s[26:27], vcc
	s_xor_b64 s[94:95], exec, s[26:27]
	s_cbranch_execz .LBB6_2296
; %bb.2283:                             ;   in Loop: Header=BB6_138 Depth=3
	v_and_b32_e32 v4, 0x7fffffff, v3
	v_mov_b32_e32 v5, v33
	v_cmp_gt_u64_e32 vcc, s[78:79], v[4:5]
	v_and_b32_sdwa v5, v3, s97 dst_sel:DWORD dst_unused:UNUSED_PAD src0_sel:BYTE_3 src1_sel:DWORD
                                        ; implicit-def: $vgpr4
                                        ; kill: killed $vgpr4
	s_and_saveexec_b64 s[26:27], vcc
	s_xor_b64 s[30:31], exec, s[26:27]
	s_cbranch_execz .LBB6_2293
; %bb.2284:                             ;   in Loop: Header=BB6_138 Depth=3
	v_mov_b32_e32 v4, 0
	v_cmp_ne_u32_e32 vcc, 0, v3
	buffer_store_dword v4, off, s[0:3], s33 offset:624 ; 4-byte Folded Spill
	s_and_saveexec_b64 s[34:35], vcc
	s_cbranch_execz .LBB6_2292
; %bb.2285:                             ;   in Loop: Header=BB6_138 Depth=3
	v_bfe_u32 v6, v3, 23, 8
	v_cmp_gt_u32_e64 s[26:27], s47, v6
	v_sub_u32_e32 v3, 0x71, v6
	v_cmp_eq_u32_e32 vcc, 0, v6
	v_cndmask_b32_e64 v3, 0, v3, s[26:27]
	v_mov_b32_e32 v7, 0x70
	v_cndmask_b32_e32 v7, v3, v7, vcc
	v_or_b32_e32 v4, 0x800000, v1
	v_add_u32_e32 v3, 21, v7
	v_cndmask_b32_e32 v1, v4, v1, vcc
	v_lshlrev_b64 v[3:4], v3, -1
	v_add_u32_e32 v8, 20, v7
	v_bfi_b32 v3, v3, 0, v1
	v_lshlrev_b64 v[8:9], v8, 1
	v_lshrrev_b64 v[1:2], v7, v[1:2]
	v_bfi_b32 v4, v4, 0, 0
	v_cmp_eq_u64_e64 s[26:27], v[3:4], v[8:9]
	v_mov_b32_e32 v3, v2
	v_mov_b32_e32 v2, v1
	s_and_saveexec_b64 s[36:37], s[26:27]
; %bb.2286:                             ;   in Loop: Header=BB6_138 Depth=3
	v_bfe_u32 v2, v1, 21, 1
	v_add_co_u32_e64 v2, s[26:27], v1, v2
	v_add_co_u32_e64 v2, s[26:27], -1, v2
; %bb.2287:                             ;   in Loop: Header=BB6_138 Depth=3
	s_or_b64 exec, exec, s[36:37]
	v_add_u32_e32 v3, 0xffffff81, v6
	v_mov_b32_e32 v4, 0xffffff82
	v_cndmask_b32_e32 v3, v3, v4, vcc
	v_lshrrev_b32_e32 v4, 23, v1
	v_add3_u32 v7, v7, v3, v4
	v_add_u32_e32 v6, 14, v7
	v_and_b32_e32 v2, 0x1fffff, v2
	v_add_u32_e32 v1, v2, v1
	v_mov_b32_e32 v2, v33
	v_cmp_ne_u32_e32 vcc, 0, v6
                                        ; implicit-def: $vgpr3
	s_and_saveexec_b64 s[26:27], vcc
	s_xor_b64 s[26:27], exec, s[26:27]
; %bb.2288:                             ;   in Loop: Header=BB6_138 Depth=3
	v_cmp_lt_u64_e32 vcc, s[88:89], v[1:2]
	v_add_u32_e32 v3, 15, v7
	v_cndmask_b32_e64 v4, 0, 1, vcc
	v_lshrrev_b64 v[1:2], v4, v[1:2]
	v_cndmask_b32_e32 v3, v6, v3, vcc
; %bb.2289:                             ;   in Loop: Header=BB6_138 Depth=3
	s_andn2_saveexec_b64 s[26:27], s[26:27]
; %bb.2290:                             ;   in Loop: Header=BB6_138 Depth=3
	v_bfe_u32 v3, v1, 23, 1
; %bb.2291:                             ;   in Loop: Header=BB6_138 Depth=3
	s_or_b64 exec, exec, s[26:27]
	v_lshrrev_b64 v[1:2], 21, v[1:2]
	v_cmp_gt_i32_e32 vcc, 32, v3
	v_cndmask_b32_e32 v2, 0, v2, vcc
	v_cndmask_b32_e32 v1, 3, v1, vcc
	v_cmp_eq_u64_e64 s[26:27], 0, v[1:2]
	v_min_i32_e32 v2, 31, v3
	v_lshlrev_b32_e32 v2, 2, v2
	v_cmp_eq_u32_e32 vcc, 0, v3
	v_and_b32_e32 v2, 0xfc, v2
	v_and_or_b32 v1, v1, 3, v2
	s_and_b64 s[26:27], vcc, s[26:27]
	v_cndmask_b32_e64 v1, v1, 0, s[26:27]
	v_or_b32_e32 v1, v1, v5
	buffer_store_dword v1, off, s[0:3], s33 offset:624 ; 4-byte Folded Spill
.LBB6_2292:                             ;   in Loop: Header=BB6_138 Depth=3
	s_or_b64 exec, exec, s[34:35]
                                        ; implicit-def: $vgpr5
.LBB6_2293:                             ;   in Loop: Header=BB6_138 Depth=3
	s_andn2_saveexec_b64 s[26:27], s[30:31]
	s_cbranch_execz .LBB6_2295
; %bb.2294:                             ;   in Loop: Header=BB6_138 Depth=3
	v_or_b32_e32 v1, 0x7b, v5
	buffer_store_dword v1, off, s[0:3], s33 offset:624 ; 4-byte Folded Spill
.LBB6_2295:                             ;   in Loop: Header=BB6_138 Depth=3
	s_or_b64 exec, exec, s[26:27]
                                        ; implicit-def: $vgpr3
                                        ; implicit-def: $vgpr1_vgpr2
.LBB6_2296:                             ;   in Loop: Header=BB6_138 Depth=3
	s_andn2_saveexec_b64 s[26:27], s[94:95]
	s_cbranch_execz .LBB6_2302
; %bb.2297:                             ;   in Loop: Header=BB6_138 Depth=3
	v_cmp_ne_u64_e32 vcc, 0, v[1:2]
                                        ; implicit-def: $vgpr1
                                        ; kill: killed $vgpr1
	s_and_saveexec_b64 s[62:63], vcc
	s_xor_b64 s[94:95], exec, s[62:63]
	s_cbranch_execz .LBB6_2299
; %bb.2298:                             ;   in Loop: Header=BB6_138 Depth=3
	v_or_b32_sdwa v1, v3, s44 dst_sel:DWORD dst_unused:UNUSED_PAD src0_sel:BYTE_3 src1_sel:DWORD
	buffer_store_dword v1, off, s[0:3], s33 offset:624 ; 4-byte Folded Spill
                                        ; implicit-def: $vgpr3
.LBB6_2299:                             ;   in Loop: Header=BB6_138 Depth=3
	s_andn2_saveexec_b64 s[94:95], s[94:95]
	s_cbranch_execz .LBB6_2301
; %bb.2300:                             ;   in Loop: Header=BB6_138 Depth=3
	v_cmp_lt_i32_e32 vcc, -1, v3
	v_bfrev_b32_e32 v1, 0.5
	v_mov_b32_e32 v2, 0x7c
	v_cndmask_b32_e32 v1, v1, v2, vcc
	buffer_store_dword v1, off, s[0:3], s33 offset:624 ; 4-byte Folded Spill
.LBB6_2301:                             ;   in Loop: Header=BB6_138 Depth=3
	s_or_b64 exec, exec, s[94:95]
.LBB6_2302:                             ;   in Loop: Header=BB6_138 Depth=3
	s_or_b64 exec, exec, s[26:27]
	v_lshrrev_b16_e32 v1, 8, v0
	v_cmp_ne_u16_e32 vcc, 0, v1
	v_mov_b32_e32 v2, 0
	s_and_saveexec_b64 s[26:27], vcc
	s_cbranch_execz .LBB6_2310
; %bb.2303:                             ;   in Loop: Header=BB6_138 Depth=3
	v_cmp_ne_u16_e32 vcc, s97, v1
	v_bfrev_b32_e32 v2, 1
	s_and_saveexec_b64 s[94:95], vcc
	s_cbranch_execz .LBB6_2309
; %bb.2304:                             ;   in Loop: Header=BB6_138 Depth=3
	v_and_b32_e32 v2, 0x7c, v1
	v_and_b32_e32 v3, 3, v1
	v_cmp_ne_u32_e32 vcc, s86, v2
                                        ; implicit-def: $vgpr2
	s_and_saveexec_b64 s[62:63], vcc
	s_xor_b64 s[30:31], exec, s[62:63]
	s_cbranch_execz .LBB6_2306
; %bb.2305:                             ;   in Loop: Header=BB6_138 Depth=3
	v_ffbh_u32_e32 v5, v3
	v_min_u32_e32 v5, 32, v5
	v_mov_b32_e32 v2, v33
	v_subrev_u32_e32 v6, 29, v5
	v_bfe_u32 v4, v1, 2, 5
	v_lshlrev_b64 v[1:2], v6, v[1:2]
	v_sub_u32_e32 v2, 30, v5
	v_cmp_eq_u32_e32 vcc, 0, v4
	v_lshlrev_b32_e32 v0, 16, v0
	v_and_b32_e32 v1, 3, v1
	v_cndmask_b32_e32 v2, v4, v2, vcc
	v_and_b32_e32 v0, 0x80000000, v0
	v_cndmask_b32_e32 v1, v3, v1, vcc
	v_lshl_add_u32 v0, v2, 23, v0
	v_lshl_or_b32 v0, v1, 21, v0
	v_add_u32_e32 v2, 0x38000000, v0
                                        ; implicit-def: $vgpr3
                                        ; implicit-def: $vgpr0_vgpr1
.LBB6_2306:                             ;   in Loop: Header=BB6_138 Depth=3
	s_andn2_saveexec_b64 s[30:31], s[30:31]
; %bb.2307:                             ;   in Loop: Header=BB6_138 Depth=3
	v_cmp_lt_i16_e32 vcc, -1, v0
	v_mov_b32_e32 v0, 0xff800000
	v_mov_b32_e32 v1, 0x7f800000
	v_cndmask_b32_e32 v0, v0, v1, vcc
	v_cmp_eq_u32_e32 vcc, 0, v3
	v_mov_b32_e32 v1, 0x7f800001
	v_cndmask_b32_e32 v2, v1, v0, vcc
; %bb.2308:                             ;   in Loop: Header=BB6_138 Depth=3
	s_or_b64 exec, exec, s[30:31]
.LBB6_2309:                             ;   in Loop: Header=BB6_138 Depth=3
	s_or_b64 exec, exec, s[94:95]
.LBB6_2310:                             ;   in Loop: Header=BB6_138 Depth=3
	s_or_b64 exec, exec, s[26:27]
	v_mul_f32_e32 v2, v14, v2
	v_and_b32_e32 v3, 0x7f800000, v2
	v_mov_b32_e32 v4, v33
	v_cmp_ne_u64_e32 vcc, s[76:77], v[3:4]
	v_and_b32_e32 v0, 0x7fffff, v2
	v_mov_b32_e32 v1, v33
                                        ; implicit-def: $vgpr3
                                        ; kill: killed $vgpr3
	s_and_saveexec_b64 s[26:27], vcc
	s_xor_b64 s[94:95], exec, s[26:27]
	s_cbranch_execz .LBB6_2324
; %bb.2311:                             ;   in Loop: Header=BB6_138 Depth=3
	v_and_b32_e32 v3, 0x7fffffff, v2
	v_mov_b32_e32 v4, v33
	v_cmp_gt_u64_e32 vcc, s[78:79], v[3:4]
	v_and_b32_sdwa v3, v2, s97 dst_sel:DWORD dst_unused:UNUSED_PAD src0_sel:BYTE_3 src1_sel:DWORD
                                        ; implicit-def: $vgpr4
                                        ; kill: killed $vgpr4
	s_and_saveexec_b64 s[26:27], vcc
	s_xor_b64 s[30:31], exec, s[26:27]
	s_cbranch_execz .LBB6_2321
; %bb.2312:                             ;   in Loop: Header=BB6_138 Depth=3
	v_mov_b32_e32 v4, 0
	v_cmp_ne_u32_e32 vcc, 0, v2
	buffer_store_dword v4, off, s[0:3], s33 offset:628 ; 4-byte Folded Spill
	s_and_saveexec_b64 s[34:35], vcc
	s_cbranch_execz .LBB6_2320
; %bb.2313:                             ;   in Loop: Header=BB6_138 Depth=3
	v_bfe_u32 v5, v2, 23, 8
	v_cmp_gt_u32_e64 s[26:27], s47, v5
	v_sub_u32_e32 v2, 0x71, v5
	v_cmp_eq_u32_e32 vcc, 0, v5
	v_cndmask_b32_e64 v2, 0, v2, s[26:27]
	v_mov_b32_e32 v6, 0x70
	v_cndmask_b32_e32 v6, v2, v6, vcc
	v_add_u32_e32 v2, 21, v6
	v_or_b32_e32 v4, 0x800000, v0
	v_lshlrev_b64 v[7:8], v2, -1
	v_cndmask_b32_e32 v0, v4, v0, vcc
	v_add_u32_e32 v2, 20, v6
	v_bfi_b32 v7, v7, 0, v0
	v_lshlrev_b64 v[15:16], v2, 1
	v_lshrrev_b64 v[0:1], v6, v[0:1]
	v_bfi_b32 v8, v8, 0, 0
	v_cmp_eq_u64_e64 s[26:27], v[7:8], v[15:16]
	v_mov_b32_e32 v2, v1
	v_mov_b32_e32 v1, v0
	s_and_saveexec_b64 s[36:37], s[26:27]
; %bb.2314:                             ;   in Loop: Header=BB6_138 Depth=3
	v_bfe_u32 v1, v0, 21, 1
	v_add_co_u32_e64 v1, s[26:27], v0, v1
	v_add_co_u32_e64 v1, s[26:27], -1, v1
; %bb.2315:                             ;   in Loop: Header=BB6_138 Depth=3
	s_or_b64 exec, exec, s[36:37]
	v_add_u32_e32 v2, 0xffffff81, v5
	v_mov_b32_e32 v4, 0xffffff82
	v_cndmask_b32_e32 v2, v2, v4, vcc
	v_lshrrev_b32_e32 v4, 23, v0
	v_add3_u32 v6, v6, v2, v4
	v_add_u32_e32 v5, 14, v6
	v_and_b32_e32 v1, 0x1fffff, v1
	v_add_u32_e32 v0, v1, v0
	v_mov_b32_e32 v1, v33
	v_cmp_ne_u32_e32 vcc, 0, v5
                                        ; implicit-def: $vgpr2
	s_and_saveexec_b64 s[26:27], vcc
	s_xor_b64 s[26:27], exec, s[26:27]
; %bb.2316:                             ;   in Loop: Header=BB6_138 Depth=3
	v_cmp_lt_u64_e32 vcc, s[88:89], v[0:1]
	v_add_u32_e32 v2, 15, v6
	v_cndmask_b32_e64 v4, 0, 1, vcc
	v_lshrrev_b64 v[0:1], v4, v[0:1]
	v_cndmask_b32_e32 v2, v5, v2, vcc
; %bb.2317:                             ;   in Loop: Header=BB6_138 Depth=3
	s_andn2_saveexec_b64 s[26:27], s[26:27]
; %bb.2318:                             ;   in Loop: Header=BB6_138 Depth=3
	v_bfe_u32 v2, v0, 23, 1
; %bb.2319:                             ;   in Loop: Header=BB6_138 Depth=3
	s_or_b64 exec, exec, s[26:27]
	v_lshrrev_b64 v[0:1], 21, v[0:1]
	v_cmp_gt_i32_e32 vcc, 32, v2
	v_cndmask_b32_e32 v1, 0, v1, vcc
	v_cndmask_b32_e32 v0, 3, v0, vcc
	v_cmp_eq_u64_e64 s[26:27], 0, v[0:1]
	v_min_i32_e32 v1, 31, v2
	v_lshlrev_b32_e32 v1, 2, v1
	v_cmp_eq_u32_e32 vcc, 0, v2
	v_and_b32_e32 v1, 0xfc, v1
	v_and_or_b32 v0, v0, 3, v1
	s_and_b64 s[26:27], vcc, s[26:27]
	v_cndmask_b32_e64 v0, v0, 0, s[26:27]
	v_or_b32_e32 v0, v0, v3
	buffer_store_dword v0, off, s[0:3], s33 offset:628 ; 4-byte Folded Spill
.LBB6_2320:                             ;   in Loop: Header=BB6_138 Depth=3
	s_or_b64 exec, exec, s[34:35]
                                        ; implicit-def: $vgpr3
.LBB6_2321:                             ;   in Loop: Header=BB6_138 Depth=3
	s_andn2_saveexec_b64 s[26:27], s[30:31]
	s_cbranch_execz .LBB6_2323
; %bb.2322:                             ;   in Loop: Header=BB6_138 Depth=3
	v_or_b32_e32 v0, 0x7b, v3
	buffer_store_dword v0, off, s[0:3], s33 offset:628 ; 4-byte Folded Spill
.LBB6_2323:                             ;   in Loop: Header=BB6_138 Depth=3
	s_or_b64 exec, exec, s[26:27]
                                        ; implicit-def: $vgpr2
                                        ; implicit-def: $vgpr0_vgpr1
.LBB6_2324:                             ;   in Loop: Header=BB6_138 Depth=3
	s_andn2_saveexec_b64 s[26:27], s[94:95]
	s_cbranch_execz .LBB6_2330
; %bb.2325:                             ;   in Loop: Header=BB6_138 Depth=3
	v_cmp_ne_u64_e32 vcc, 0, v[0:1]
                                        ; implicit-def: $vgpr0
                                        ; kill: killed $vgpr0
	s_and_saveexec_b64 s[62:63], vcc
	s_xor_b64 s[94:95], exec, s[62:63]
	s_cbranch_execz .LBB6_2327
; %bb.2326:                             ;   in Loop: Header=BB6_138 Depth=3
	v_or_b32_sdwa v0, v2, s44 dst_sel:DWORD dst_unused:UNUSED_PAD src0_sel:BYTE_3 src1_sel:DWORD
	buffer_store_dword v0, off, s[0:3], s33 offset:628 ; 4-byte Folded Spill
                                        ; implicit-def: $vgpr2
.LBB6_2327:                             ;   in Loop: Header=BB6_138 Depth=3
	s_andn2_saveexec_b64 s[94:95], s[94:95]
	s_cbranch_execz .LBB6_2329
; %bb.2328:                             ;   in Loop: Header=BB6_138 Depth=3
	v_cmp_lt_i32_e32 vcc, -1, v2
	v_bfrev_b32_e32 v0, 0.5
	v_mov_b32_e32 v1, 0x7c
	v_cndmask_b32_e32 v0, v0, v1, vcc
	buffer_store_dword v0, off, s[0:3], s33 offset:628 ; 4-byte Folded Spill
.LBB6_2329:                             ;   in Loop: Header=BB6_138 Depth=3
	s_or_b64 exec, exec, s[94:95]
.LBB6_2330:                             ;   in Loop: Header=BB6_138 Depth=3
	s_or_b64 exec, exec, s[26:27]
	v_lshrrev_b32_e32 v0, 16, v11
	v_cmp_ne_u16_sdwa s[62:63], v0, v33 src0_sel:BYTE_0 src1_sel:DWORD
	v_mov_b32_e32 v1, 0
	s_and_saveexec_b64 s[26:27], s[62:63]
	s_cbranch_execz .LBB6_2338
; %bb.2331:                             ;   in Loop: Header=BB6_138 Depth=3
	v_cmp_ne_u16_sdwa s[62:63], v0, s97 src0_sel:BYTE_0 src1_sel:DWORD
	v_bfrev_b32_e32 v1, 1
	s_and_saveexec_b64 s[94:95], s[62:63]
	s_cbranch_execz .LBB6_2337
; %bb.2332:                             ;   in Loop: Header=BB6_138 Depth=3
	v_and_b32_e32 v1, 0x7c0000, v11
	v_bfe_u32 v2, v11, 16, 2
	v_cmp_ne_u32_e32 vcc, s45, v1
                                        ; implicit-def: $vgpr1
	s_and_saveexec_b64 s[62:63], vcc
	s_xor_b64 s[30:31], exec, s[62:63]
	s_cbranch_execz .LBB6_2334
; %bb.2333:                             ;   in Loop: Header=BB6_138 Depth=3
	v_ffbh_u32_e32 v1, v2
	v_min_u32_e32 v4, 32, v1
	v_subrev_u32_e32 v1, 29, v4
	v_lshlrev_b64 v[0:1], v1, v[0:1]
	v_bfe_u32 v3, v11, 18, 5
	v_and_b32_e32 v0, 3, v0
	v_cmp_eq_u32_e32 vcc, 0, v3
	v_sub_u32_e32 v1, 30, v4
	v_cndmask_b32_e32 v0, v2, v0, vcc
	v_lshlrev_b32_e32 v2, 8, v11
	v_cndmask_b32_e32 v1, v3, v1, vcc
	v_and_b32_e32 v2, 0x80000000, v2
	v_lshl_add_u32 v1, v1, 23, v2
	v_lshl_or_b32 v0, v0, 21, v1
	v_add_u32_e32 v1, 0x38000000, v0
                                        ; implicit-def: $vgpr2
                                        ; implicit-def: $vgpr0
.LBB6_2334:                             ;   in Loop: Header=BB6_138 Depth=3
	s_andn2_saveexec_b64 s[30:31], s[30:31]
; %bb.2335:                             ;   in Loop: Header=BB6_138 Depth=3
	v_mov_b32_e32 v1, -1
	v_cmp_gt_i16_sdwa vcc, sext(v0), v1 src0_sel:BYTE_0 src1_sel:DWORD
	v_mov_b32_e32 v0, 0xff800000
	v_mov_b32_e32 v1, 0x7f800000
	v_cndmask_b32_e32 v0, v0, v1, vcc
	v_cmp_eq_u32_e32 vcc, 0, v2
	v_mov_b32_e32 v1, 0x7f800001
	v_cndmask_b32_e32 v1, v1, v0, vcc
; %bb.2336:                             ;   in Loop: Header=BB6_138 Depth=3
	s_or_b64 exec, exec, s[30:31]
.LBB6_2337:                             ;   in Loop: Header=BB6_138 Depth=3
	s_or_b64 exec, exec, s[94:95]
.LBB6_2338:                             ;   in Loop: Header=BB6_138 Depth=3
	s_or_b64 exec, exec, s[26:27]
	v_mul_f32_e32 v2, v14, v1
	v_and_b32_e32 v3, 0x7f800000, v2
	v_mov_b32_e32 v4, v33
	v_cmp_ne_u64_e32 vcc, s[76:77], v[3:4]
	v_and_b32_e32 v0, 0x7fffff, v2
	v_mov_b32_e32 v1, v33
                                        ; implicit-def: $vgpr3
                                        ; kill: killed $vgpr3
	s_and_saveexec_b64 s[26:27], vcc
	s_xor_b64 s[94:95], exec, s[26:27]
	s_cbranch_execz .LBB6_2352
; %bb.2339:                             ;   in Loop: Header=BB6_138 Depth=3
	v_and_b32_e32 v3, 0x7fffffff, v2
	v_mov_b32_e32 v4, v33
	v_cmp_gt_u64_e32 vcc, s[78:79], v[3:4]
	v_and_b32_sdwa v3, v2, s97 dst_sel:DWORD dst_unused:UNUSED_PAD src0_sel:BYTE_3 src1_sel:DWORD
                                        ; implicit-def: $vgpr4
                                        ; kill: killed $vgpr4
	s_and_saveexec_b64 s[26:27], vcc
	s_xor_b64 s[30:31], exec, s[26:27]
	s_cbranch_execz .LBB6_2349
; %bb.2340:                             ;   in Loop: Header=BB6_138 Depth=3
	v_mov_b32_e32 v4, 0
	v_cmp_ne_u32_e32 vcc, 0, v2
	buffer_store_dword v4, off, s[0:3], s33 offset:632 ; 4-byte Folded Spill
	s_and_saveexec_b64 s[34:35], vcc
	s_cbranch_execz .LBB6_2348
; %bb.2341:                             ;   in Loop: Header=BB6_138 Depth=3
	v_bfe_u32 v5, v2, 23, 8
	v_cmp_gt_u32_e64 s[26:27], s47, v5
	v_sub_u32_e32 v2, 0x71, v5
	v_cmp_eq_u32_e32 vcc, 0, v5
	v_cndmask_b32_e64 v2, 0, v2, s[26:27]
	v_mov_b32_e32 v6, 0x70
	v_cndmask_b32_e32 v6, v2, v6, vcc
	v_add_u32_e32 v2, 21, v6
	v_or_b32_e32 v4, 0x800000, v0
	v_lshlrev_b64 v[7:8], v2, -1
	v_cndmask_b32_e32 v0, v4, v0, vcc
	v_add_u32_e32 v2, 20, v6
	v_bfi_b32 v7, v7, 0, v0
	v_lshlrev_b64 v[15:16], v2, 1
	v_lshrrev_b64 v[0:1], v6, v[0:1]
	v_bfi_b32 v8, v8, 0, 0
	v_cmp_eq_u64_e64 s[26:27], v[7:8], v[15:16]
	v_mov_b32_e32 v2, v1
	v_mov_b32_e32 v1, v0
	s_and_saveexec_b64 s[36:37], s[26:27]
; %bb.2342:                             ;   in Loop: Header=BB6_138 Depth=3
	v_bfe_u32 v1, v0, 21, 1
	v_add_co_u32_e64 v1, s[26:27], v0, v1
	v_add_co_u32_e64 v1, s[26:27], -1, v1
; %bb.2343:                             ;   in Loop: Header=BB6_138 Depth=3
	s_or_b64 exec, exec, s[36:37]
	v_add_u32_e32 v2, 0xffffff81, v5
	v_mov_b32_e32 v4, 0xffffff82
	v_cndmask_b32_e32 v2, v2, v4, vcc
	v_lshrrev_b32_e32 v4, 23, v0
	v_add3_u32 v6, v6, v2, v4
	v_add_u32_e32 v5, 14, v6
	v_and_b32_e32 v1, 0x1fffff, v1
	v_add_u32_e32 v0, v1, v0
	v_mov_b32_e32 v1, v33
	v_cmp_ne_u32_e32 vcc, 0, v5
                                        ; implicit-def: $vgpr2
	s_and_saveexec_b64 s[26:27], vcc
	s_xor_b64 s[26:27], exec, s[26:27]
; %bb.2344:                             ;   in Loop: Header=BB6_138 Depth=3
	v_cmp_lt_u64_e32 vcc, s[88:89], v[0:1]
	v_add_u32_e32 v2, 15, v6
	v_cndmask_b32_e64 v4, 0, 1, vcc
	v_lshrrev_b64 v[0:1], v4, v[0:1]
	v_cndmask_b32_e32 v2, v5, v2, vcc
; %bb.2345:                             ;   in Loop: Header=BB6_138 Depth=3
	s_andn2_saveexec_b64 s[26:27], s[26:27]
; %bb.2346:                             ;   in Loop: Header=BB6_138 Depth=3
	v_bfe_u32 v2, v0, 23, 1
; %bb.2347:                             ;   in Loop: Header=BB6_138 Depth=3
	s_or_b64 exec, exec, s[26:27]
	v_lshrrev_b64 v[0:1], 21, v[0:1]
	v_cmp_gt_i32_e32 vcc, 32, v2
	v_cndmask_b32_e32 v1, 0, v1, vcc
	v_cndmask_b32_e32 v0, 3, v0, vcc
	v_cmp_eq_u64_e64 s[26:27], 0, v[0:1]
	v_min_i32_e32 v1, 31, v2
	v_lshlrev_b32_e32 v1, 2, v1
	v_cmp_eq_u32_e32 vcc, 0, v2
	v_and_b32_e32 v1, 0xfc, v1
	v_and_or_b32 v0, v0, 3, v1
	s_and_b64 s[26:27], vcc, s[26:27]
	v_cndmask_b32_e64 v0, v0, 0, s[26:27]
	v_or_b32_e32 v0, v0, v3
	buffer_store_dword v0, off, s[0:3], s33 offset:632 ; 4-byte Folded Spill
.LBB6_2348:                             ;   in Loop: Header=BB6_138 Depth=3
	s_or_b64 exec, exec, s[34:35]
                                        ; implicit-def: $vgpr3
.LBB6_2349:                             ;   in Loop: Header=BB6_138 Depth=3
	s_andn2_saveexec_b64 s[26:27], s[30:31]
	s_cbranch_execz .LBB6_2351
; %bb.2350:                             ;   in Loop: Header=BB6_138 Depth=3
	v_or_b32_e32 v0, 0x7b, v3
	buffer_store_dword v0, off, s[0:3], s33 offset:632 ; 4-byte Folded Spill
.LBB6_2351:                             ;   in Loop: Header=BB6_138 Depth=3
	s_or_b64 exec, exec, s[26:27]
                                        ; implicit-def: $vgpr2
                                        ; implicit-def: $vgpr0_vgpr1
.LBB6_2352:                             ;   in Loop: Header=BB6_138 Depth=3
	s_andn2_saveexec_b64 s[26:27], s[94:95]
	s_cbranch_execz .LBB6_2358
; %bb.2353:                             ;   in Loop: Header=BB6_138 Depth=3
	v_cmp_ne_u64_e32 vcc, 0, v[0:1]
                                        ; implicit-def: $vgpr0
                                        ; kill: killed $vgpr0
	s_and_saveexec_b64 s[62:63], vcc
	s_xor_b64 s[94:95], exec, s[62:63]
	s_cbranch_execz .LBB6_2355
; %bb.2354:                             ;   in Loop: Header=BB6_138 Depth=3
	v_or_b32_sdwa v0, v2, s44 dst_sel:DWORD dst_unused:UNUSED_PAD src0_sel:BYTE_3 src1_sel:DWORD
	buffer_store_dword v0, off, s[0:3], s33 offset:632 ; 4-byte Folded Spill
                                        ; implicit-def: $vgpr2
.LBB6_2355:                             ;   in Loop: Header=BB6_138 Depth=3
	s_andn2_saveexec_b64 s[94:95], s[94:95]
	s_cbranch_execz .LBB6_2357
; %bb.2356:                             ;   in Loop: Header=BB6_138 Depth=3
	v_cmp_lt_i32_e32 vcc, -1, v2
	v_bfrev_b32_e32 v0, 0.5
	v_mov_b32_e32 v1, 0x7c
	v_cndmask_b32_e32 v0, v0, v1, vcc
	buffer_store_dword v0, off, s[0:3], s33 offset:632 ; 4-byte Folded Spill
.LBB6_2357:                             ;   in Loop: Header=BB6_138 Depth=3
	s_or_b64 exec, exec, s[94:95]
.LBB6_2358:                             ;   in Loop: Header=BB6_138 Depth=3
	s_or_b64 exec, exec, s[26:27]
	v_cmp_lt_u64_e32 vcc, s[56:57], v[10:11]
	v_mov_b32_e32 v1, 0
	s_and_saveexec_b64 s[26:27], vcc
	s_cbranch_execz .LBB6_2366
; %bb.2359:                             ;   in Loop: Header=BB6_138 Depth=3
	v_lshrrev_b32_e32 v0, 24, v11
	v_cmp_ne_u32_e32 vcc, s97, v0
	v_bfrev_b32_e32 v1, 1
	s_and_saveexec_b64 s[94:95], vcc
	s_cbranch_execz .LBB6_2365
; %bb.2360:                             ;   in Loop: Header=BB6_138 Depth=3
	v_and_b32_e32 v1, 0x7c000000, v11
	v_bfe_u32 v2, v11, 24, 2
	v_cmp_ne_u32_e32 vcc, s68, v1
                                        ; implicit-def: $vgpr1
	s_and_saveexec_b64 s[62:63], vcc
	s_xor_b64 s[30:31], exec, s[62:63]
	s_cbranch_execz .LBB6_2362
; %bb.2361:                             ;   in Loop: Header=BB6_138 Depth=3
	v_ffbh_u32_e32 v1, v2
	v_min_u32_e32 v4, 32, v1
	v_subrev_u32_e32 v1, 29, v4
	v_lshlrev_b64 v[0:1], v1, v[0:1]
	v_bfe_u32 v3, v11, 26, 5
	v_sub_u32_e32 v1, 30, v4
	v_and_b32_e32 v0, 3, v0
	v_cmp_eq_u32_e32 vcc, 0, v3
	v_cndmask_b32_e32 v1, v3, v1, vcc
	v_cndmask_b32_e32 v0, v2, v0, vcc
	v_and_b32_e32 v2, 0x80000000, v11
	v_lshl_add_u32 v1, v1, 23, v2
	v_lshl_or_b32 v0, v0, 21, v1
	v_add_u32_e32 v1, 0x38000000, v0
                                        ; implicit-def: $vgpr2
                                        ; implicit-def: $vgpr10_vgpr11
.LBB6_2362:                             ;   in Loop: Header=BB6_138 Depth=3
	s_andn2_saveexec_b64 s[30:31], s[30:31]
; %bb.2363:                             ;   in Loop: Header=BB6_138 Depth=3
	v_cmp_lt_i64_e32 vcc, -1, v[10:11]
	v_mov_b32_e32 v0, 0xff800000
	v_mov_b32_e32 v1, 0x7f800000
	v_cndmask_b32_e32 v0, v0, v1, vcc
	v_cmp_eq_u32_e32 vcc, 0, v2
	v_mov_b32_e32 v1, 0x7f800001
	v_cndmask_b32_e32 v1, v1, v0, vcc
; %bb.2364:                             ;   in Loop: Header=BB6_138 Depth=3
	s_or_b64 exec, exec, s[30:31]
.LBB6_2365:                             ;   in Loop: Header=BB6_138 Depth=3
	s_or_b64 exec, exec, s[94:95]
.LBB6_2366:                             ;   in Loop: Header=BB6_138 Depth=3
	s_or_b64 exec, exec, s[26:27]
	v_mul_f32_e32 v2, v14, v1
	v_and_b32_e32 v3, 0x7f800000, v2
	v_mov_b32_e32 v4, v33
	v_cmp_ne_u64_e32 vcc, s[76:77], v[3:4]
	v_and_b32_e32 v0, 0x7fffff, v2
	v_mov_b32_e32 v1, v33
                                        ; implicit-def: $vgpr3
                                        ; kill: killed $vgpr3
	s_and_saveexec_b64 s[26:27], vcc
	s_xor_b64 s[94:95], exec, s[26:27]
	s_cbranch_execz .LBB6_2380
; %bb.2367:                             ;   in Loop: Header=BB6_138 Depth=3
	v_and_b32_e32 v3, 0x7fffffff, v2
	v_mov_b32_e32 v4, v33
	v_cmp_gt_u64_e32 vcc, s[78:79], v[3:4]
	v_and_b32_sdwa v3, v2, s97 dst_sel:DWORD dst_unused:UNUSED_PAD src0_sel:BYTE_3 src1_sel:DWORD
                                        ; implicit-def: $vgpr4
                                        ; kill: killed $vgpr4
	s_and_saveexec_b64 s[26:27], vcc
	s_xor_b64 s[30:31], exec, s[26:27]
	s_cbranch_execz .LBB6_2377
; %bb.2368:                             ;   in Loop: Header=BB6_138 Depth=3
	v_mov_b32_e32 v4, 0
	v_cmp_ne_u32_e32 vcc, 0, v2
	buffer_store_dword v4, off, s[0:3], s33 offset:636 ; 4-byte Folded Spill
	s_and_saveexec_b64 s[34:35], vcc
	s_cbranch_execz .LBB6_2376
; %bb.2369:                             ;   in Loop: Header=BB6_138 Depth=3
	v_bfe_u32 v5, v2, 23, 8
	v_cmp_gt_u32_e64 s[26:27], s47, v5
	v_sub_u32_e32 v2, 0x71, v5
	v_cmp_eq_u32_e32 vcc, 0, v5
	v_cndmask_b32_e64 v2, 0, v2, s[26:27]
	v_mov_b32_e32 v6, 0x70
	v_cndmask_b32_e32 v6, v2, v6, vcc
	v_add_u32_e32 v2, 21, v6
	v_or_b32_e32 v4, 0x800000, v0
	v_lshlrev_b64 v[7:8], v2, -1
	v_cndmask_b32_e32 v0, v4, v0, vcc
	v_add_u32_e32 v2, 20, v6
	v_bfi_b32 v7, v7, 0, v0
	v_lshlrev_b64 v[9:10], v2, 1
	v_lshrrev_b64 v[0:1], v6, v[0:1]
	v_bfi_b32 v8, v8, 0, 0
	v_cmp_eq_u64_e64 s[26:27], v[7:8], v[9:10]
	v_mov_b32_e32 v2, v1
	v_mov_b32_e32 v1, v0
	s_and_saveexec_b64 s[36:37], s[26:27]
; %bb.2370:                             ;   in Loop: Header=BB6_138 Depth=3
	v_bfe_u32 v1, v0, 21, 1
	v_add_co_u32_e64 v1, s[26:27], v0, v1
	v_add_co_u32_e64 v1, s[26:27], -1, v1
; %bb.2371:                             ;   in Loop: Header=BB6_138 Depth=3
	s_or_b64 exec, exec, s[36:37]
	v_add_u32_e32 v2, 0xffffff81, v5
	v_mov_b32_e32 v4, 0xffffff82
	v_cndmask_b32_e32 v2, v2, v4, vcc
	v_lshrrev_b32_e32 v4, 23, v0
	v_add3_u32 v6, v6, v2, v4
	v_add_u32_e32 v5, 14, v6
	v_and_b32_e32 v1, 0x1fffff, v1
	v_add_u32_e32 v0, v1, v0
	v_mov_b32_e32 v1, v33
	v_cmp_ne_u32_e32 vcc, 0, v5
                                        ; implicit-def: $vgpr2
	s_and_saveexec_b64 s[26:27], vcc
	s_xor_b64 s[26:27], exec, s[26:27]
; %bb.2372:                             ;   in Loop: Header=BB6_138 Depth=3
	v_cmp_lt_u64_e32 vcc, s[88:89], v[0:1]
	v_add_u32_e32 v2, 15, v6
	v_cndmask_b32_e64 v4, 0, 1, vcc
	v_lshrrev_b64 v[0:1], v4, v[0:1]
	v_cndmask_b32_e32 v2, v5, v2, vcc
; %bb.2373:                             ;   in Loop: Header=BB6_138 Depth=3
	s_andn2_saveexec_b64 s[26:27], s[26:27]
; %bb.2374:                             ;   in Loop: Header=BB6_138 Depth=3
	v_bfe_u32 v2, v0, 23, 1
; %bb.2375:                             ;   in Loop: Header=BB6_138 Depth=3
	s_or_b64 exec, exec, s[26:27]
	v_lshrrev_b64 v[0:1], 21, v[0:1]
	v_cmp_gt_i32_e32 vcc, 32, v2
	v_cndmask_b32_e32 v1, 0, v1, vcc
	v_cndmask_b32_e32 v0, 3, v0, vcc
	v_cmp_eq_u64_e64 s[26:27], 0, v[0:1]
	v_min_i32_e32 v1, 31, v2
	v_lshlrev_b32_e32 v1, 2, v1
	v_cmp_eq_u32_e32 vcc, 0, v2
	v_and_b32_e32 v1, 0xfc, v1
	v_and_or_b32 v0, v0, 3, v1
	s_and_b64 s[26:27], vcc, s[26:27]
	v_cndmask_b32_e64 v0, v0, 0, s[26:27]
	v_or_b32_e32 v0, v0, v3
	buffer_store_dword v0, off, s[0:3], s33 offset:636 ; 4-byte Folded Spill
.LBB6_2376:                             ;   in Loop: Header=BB6_138 Depth=3
	s_or_b64 exec, exec, s[34:35]
                                        ; implicit-def: $vgpr3
.LBB6_2377:                             ;   in Loop: Header=BB6_138 Depth=3
	s_andn2_saveexec_b64 s[26:27], s[30:31]
	s_cbranch_execz .LBB6_2379
; %bb.2378:                             ;   in Loop: Header=BB6_138 Depth=3
	v_or_b32_e32 v0, 0x7b, v3
	buffer_store_dword v0, off, s[0:3], s33 offset:636 ; 4-byte Folded Spill
.LBB6_2379:                             ;   in Loop: Header=BB6_138 Depth=3
	s_or_b64 exec, exec, s[26:27]
                                        ; implicit-def: $vgpr2
                                        ; implicit-def: $vgpr0_vgpr1
.LBB6_2380:                             ;   in Loop: Header=BB6_138 Depth=3
	s_andn2_saveexec_b64 s[26:27], s[94:95]
	s_cbranch_execz .LBB6_2386
; %bb.2381:                             ;   in Loop: Header=BB6_138 Depth=3
	v_cmp_ne_u64_e32 vcc, 0, v[0:1]
                                        ; implicit-def: $vgpr0
                                        ; kill: killed $vgpr0
	s_and_saveexec_b64 s[62:63], vcc
	s_xor_b64 s[94:95], exec, s[62:63]
	s_cbranch_execz .LBB6_2383
; %bb.2382:                             ;   in Loop: Header=BB6_138 Depth=3
	v_or_b32_sdwa v0, v2, s44 dst_sel:DWORD dst_unused:UNUSED_PAD src0_sel:BYTE_3 src1_sel:DWORD
	buffer_store_dword v0, off, s[0:3], s33 offset:636 ; 4-byte Folded Spill
                                        ; implicit-def: $vgpr2
.LBB6_2383:                             ;   in Loop: Header=BB6_138 Depth=3
	s_andn2_saveexec_b64 s[94:95], s[94:95]
	s_cbranch_execz .LBB6_2385
; %bb.2384:                             ;   in Loop: Header=BB6_138 Depth=3
	v_cmp_lt_i32_e32 vcc, -1, v2
	v_bfrev_b32_e32 v0, 0.5
	v_mov_b32_e32 v1, 0x7c
	v_cndmask_b32_e32 v0, v0, v1, vcc
	buffer_store_dword v0, off, s[0:3], s33 offset:636 ; 4-byte Folded Spill
.LBB6_2385:                             ;   in Loop: Header=BB6_138 Depth=3
	s_or_b64 exec, exec, s[94:95]
.LBB6_2386:                             ;   in Loop: Header=BB6_138 Depth=3
	s_or_b64 exec, exec, s[26:27]
	v_add_co_u32_e32 v0, vcc, 0x1000, v12
	v_addc_co_u32_e32 v1, vcc, 0, v13, vcc
	global_load_dwordx4 v[8:11], v[0:1], off offset:1024 glc slc
	v_mov_b32_e32 v0, 0
	s_waitcnt vmcnt(0)
	v_cmp_ne_u16_sdwa s[62:63], v8, v33 src0_sel:BYTE_0 src1_sel:DWORD
	s_and_saveexec_b64 s[26:27], s[62:63]
	s_cbranch_execz .LBB6_2394
; %bb.2387:                             ;   in Loop: Header=BB6_138 Depth=3
	v_cmp_ne_u16_sdwa s[62:63], sext(v8), s46 src0_sel:BYTE_0 src1_sel:DWORD
	v_bfrev_b32_e32 v0, 1
	s_and_saveexec_b64 s[94:95], s[62:63]
	s_cbranch_execz .LBB6_2393
; %bb.2388:                             ;   in Loop: Header=BB6_138 Depth=3
	v_and_b32_e32 v0, 0x7c, v8
	v_and_b32_e32 v1, 3, v8
	v_cmp_ne_u32_e32 vcc, s86, v0
                                        ; implicit-def: $vgpr0
	s_and_saveexec_b64 s[62:63], vcc
	s_xor_b64 s[30:31], exec, s[62:63]
	s_cbranch_execz .LBB6_2390
; %bb.2389:                             ;   in Loop: Header=BB6_138 Depth=3
	v_ffbh_u32_e32 v2, v1
	v_min_u32_e32 v4, 32, v2
	v_subrev_u32_e32 v2, 29, v4
	v_lshlrev_b64 v[2:3], v2, v[8:9]
	v_bfe_u32 v0, v8, 2, 5
	v_and_b32_e32 v2, 3, v2
	v_cmp_eq_u32_e32 vcc, 0, v0
	v_sub_u32_e32 v3, 30, v4
	v_cndmask_b32_e32 v1, v1, v2, vcc
	v_lshlrev_b32_e32 v2, 24, v8
	v_cndmask_b32_e32 v0, v0, v3, vcc
	v_and_b32_e32 v2, 0x80000000, v2
	v_lshl_add_u32 v0, v0, 23, v2
	v_lshl_or_b32 v0, v1, 21, v0
	v_add_u32_e32 v0, 0x38000000, v0
                                        ; implicit-def: $vgpr1
.LBB6_2390:                             ;   in Loop: Header=BB6_138 Depth=3
	s_andn2_saveexec_b64 s[30:31], s[30:31]
; %bb.2391:                             ;   in Loop: Header=BB6_138 Depth=3
	v_mov_b32_e32 v0, -1
	v_cmp_gt_i16_sdwa vcc, sext(v8), v0 src0_sel:BYTE_0 src1_sel:DWORD
	v_mov_b32_e32 v0, 0xff800000
	v_mov_b32_e32 v2, 0x7f800000
	v_cndmask_b32_e32 v0, v0, v2, vcc
	v_cmp_eq_u32_e32 vcc, 0, v1
	v_mov_b32_e32 v1, 0x7f800001
	v_cndmask_b32_e32 v0, v1, v0, vcc
; %bb.2392:                             ;   in Loop: Header=BB6_138 Depth=3
	s_or_b64 exec, exec, s[30:31]
.LBB6_2393:                             ;   in Loop: Header=BB6_138 Depth=3
	s_or_b64 exec, exec, s[94:95]
.LBB6_2394:                             ;   in Loop: Header=BB6_138 Depth=3
	s_or_b64 exec, exec, s[26:27]
	v_mul_f32_e32 v2, v14, v0
	v_and_b32_e32 v3, 0x7f800000, v2
	v_mov_b32_e32 v4, v33
	v_cmp_ne_u64_e32 vcc, s[76:77], v[3:4]
	v_and_b32_e32 v0, 0x7fffff, v2
	v_mov_b32_e32 v1, v33
                                        ; implicit-def: $vgpr3
                                        ; kill: killed $vgpr3
	s_and_saveexec_b64 s[26:27], vcc
	s_xor_b64 s[94:95], exec, s[26:27]
	s_cbranch_execz .LBB6_2408
; %bb.2395:                             ;   in Loop: Header=BB6_138 Depth=3
	v_and_b32_e32 v3, 0x7fffffff, v2
	v_mov_b32_e32 v4, v33
	v_cmp_gt_u64_e32 vcc, s[78:79], v[3:4]
	v_and_b32_sdwa v3, v2, s97 dst_sel:DWORD dst_unused:UNUSED_PAD src0_sel:BYTE_3 src1_sel:DWORD
                                        ; implicit-def: $vgpr4
                                        ; kill: killed $vgpr4
	s_and_saveexec_b64 s[26:27], vcc
	s_xor_b64 s[30:31], exec, s[26:27]
	s_cbranch_execz .LBB6_2405
; %bb.2396:                             ;   in Loop: Header=BB6_138 Depth=3
	v_mov_b32_e32 v4, 0
	v_cmp_ne_u32_e32 vcc, 0, v2
	buffer_store_dword v4, off, s[0:3], s33 offset:640 ; 4-byte Folded Spill
	s_and_saveexec_b64 s[34:35], vcc
	s_cbranch_execz .LBB6_2404
; %bb.2397:                             ;   in Loop: Header=BB6_138 Depth=3
	v_bfe_u32 v5, v2, 23, 8
	v_cmp_gt_u32_e64 s[26:27], s47, v5
	v_sub_u32_e32 v2, 0x71, v5
	v_cmp_eq_u32_e32 vcc, 0, v5
	v_cndmask_b32_e64 v2, 0, v2, s[26:27]
	v_mov_b32_e32 v6, 0x70
	v_cndmask_b32_e32 v6, v2, v6, vcc
	v_add_u32_e32 v2, 21, v6
	v_or_b32_e32 v4, 0x800000, v0
	v_lshlrev_b64 v[15:16], v2, -1
	v_cndmask_b32_e32 v0, v4, v0, vcc
	v_add_u32_e32 v2, 20, v6
	v_bfi_b32 v15, v15, 0, v0
	v_lshlrev_b64 v[17:18], v2, 1
	v_lshrrev_b64 v[0:1], v6, v[0:1]
	v_bfi_b32 v16, v16, 0, 0
	v_cmp_eq_u64_e64 s[26:27], v[15:16], v[17:18]
	v_mov_b32_e32 v2, v1
	v_mov_b32_e32 v1, v0
	s_and_saveexec_b64 s[36:37], s[26:27]
; %bb.2398:                             ;   in Loop: Header=BB6_138 Depth=3
	v_bfe_u32 v1, v0, 21, 1
	v_add_co_u32_e64 v1, s[26:27], v0, v1
	v_add_co_u32_e64 v1, s[26:27], -1, v1
; %bb.2399:                             ;   in Loop: Header=BB6_138 Depth=3
	s_or_b64 exec, exec, s[36:37]
	v_add_u32_e32 v2, 0xffffff81, v5
	v_mov_b32_e32 v4, 0xffffff82
	v_cndmask_b32_e32 v2, v2, v4, vcc
	v_lshrrev_b32_e32 v4, 23, v0
	v_add3_u32 v6, v6, v2, v4
	v_add_u32_e32 v5, 14, v6
	v_and_b32_e32 v1, 0x1fffff, v1
	v_add_u32_e32 v0, v1, v0
	v_mov_b32_e32 v1, v33
	v_cmp_ne_u32_e32 vcc, 0, v5
                                        ; implicit-def: $vgpr2
	s_and_saveexec_b64 s[26:27], vcc
	s_xor_b64 s[26:27], exec, s[26:27]
; %bb.2400:                             ;   in Loop: Header=BB6_138 Depth=3
	v_cmp_lt_u64_e32 vcc, s[88:89], v[0:1]
	v_add_u32_e32 v2, 15, v6
	v_cndmask_b32_e64 v4, 0, 1, vcc
	v_lshrrev_b64 v[0:1], v4, v[0:1]
	v_cndmask_b32_e32 v2, v5, v2, vcc
; %bb.2401:                             ;   in Loop: Header=BB6_138 Depth=3
	s_andn2_saveexec_b64 s[26:27], s[26:27]
; %bb.2402:                             ;   in Loop: Header=BB6_138 Depth=3
	v_bfe_u32 v2, v0, 23, 1
; %bb.2403:                             ;   in Loop: Header=BB6_138 Depth=3
	s_or_b64 exec, exec, s[26:27]
	v_lshrrev_b64 v[0:1], 21, v[0:1]
	v_cmp_gt_i32_e32 vcc, 32, v2
	v_cndmask_b32_e32 v1, 0, v1, vcc
	v_cndmask_b32_e32 v0, 3, v0, vcc
	v_cmp_eq_u64_e64 s[26:27], 0, v[0:1]
	v_min_i32_e32 v1, 31, v2
	v_lshlrev_b32_e32 v1, 2, v1
	v_cmp_eq_u32_e32 vcc, 0, v2
	v_and_b32_e32 v1, 0xfc, v1
	v_and_or_b32 v0, v0, 3, v1
	s_and_b64 s[26:27], vcc, s[26:27]
	v_cndmask_b32_e64 v0, v0, 0, s[26:27]
	v_or_b32_e32 v0, v0, v3
	buffer_store_dword v0, off, s[0:3], s33 offset:640 ; 4-byte Folded Spill
.LBB6_2404:                             ;   in Loop: Header=BB6_138 Depth=3
	s_or_b64 exec, exec, s[34:35]
                                        ; implicit-def: $vgpr3
.LBB6_2405:                             ;   in Loop: Header=BB6_138 Depth=3
	s_andn2_saveexec_b64 s[26:27], s[30:31]
	s_cbranch_execz .LBB6_2407
; %bb.2406:                             ;   in Loop: Header=BB6_138 Depth=3
	v_or_b32_e32 v0, 0x7b, v3
	buffer_store_dword v0, off, s[0:3], s33 offset:640 ; 4-byte Folded Spill
.LBB6_2407:                             ;   in Loop: Header=BB6_138 Depth=3
	s_or_b64 exec, exec, s[26:27]
                                        ; implicit-def: $vgpr2
                                        ; implicit-def: $vgpr0_vgpr1
.LBB6_2408:                             ;   in Loop: Header=BB6_138 Depth=3
	s_andn2_saveexec_b64 s[26:27], s[94:95]
	s_cbranch_execz .LBB6_2414
; %bb.2409:                             ;   in Loop: Header=BB6_138 Depth=3
	v_cmp_ne_u64_e32 vcc, 0, v[0:1]
                                        ; implicit-def: $vgpr0
                                        ; kill: killed $vgpr0
	s_and_saveexec_b64 s[62:63], vcc
	s_xor_b64 s[94:95], exec, s[62:63]
	s_cbranch_execz .LBB6_2411
; %bb.2410:                             ;   in Loop: Header=BB6_138 Depth=3
	v_or_b32_sdwa v0, v2, s44 dst_sel:DWORD dst_unused:UNUSED_PAD src0_sel:BYTE_3 src1_sel:DWORD
	buffer_store_dword v0, off, s[0:3], s33 offset:640 ; 4-byte Folded Spill
                                        ; implicit-def: $vgpr2
.LBB6_2411:                             ;   in Loop: Header=BB6_138 Depth=3
	s_andn2_saveexec_b64 s[94:95], s[94:95]
	s_cbranch_execz .LBB6_2413
; %bb.2412:                             ;   in Loop: Header=BB6_138 Depth=3
	v_cmp_lt_i32_e32 vcc, -1, v2
	v_bfrev_b32_e32 v0, 0.5
	v_mov_b32_e32 v1, 0x7c
	v_cndmask_b32_e32 v0, v0, v1, vcc
	buffer_store_dword v0, off, s[0:3], s33 offset:640 ; 4-byte Folded Spill
.LBB6_2413:                             ;   in Loop: Header=BB6_138 Depth=3
	s_or_b64 exec, exec, s[94:95]
.LBB6_2414:                             ;   in Loop: Header=BB6_138 Depth=3
	s_or_b64 exec, exec, s[26:27]
	v_lshrrev_b16_e32 v0, 8, v8
	v_cmp_ne_u16_e32 vcc, 0, v0
	v_mov_b32_e32 v1, 0
	s_and_saveexec_b64 s[26:27], vcc
	s_cbranch_execz .LBB6_2422
; %bb.2415:                             ;   in Loop: Header=BB6_138 Depth=3
	v_cmp_ne_u16_e32 vcc, s97, v0
	v_bfrev_b32_e32 v1, 1
	s_and_saveexec_b64 s[94:95], vcc
	s_cbranch_execz .LBB6_2421
; %bb.2416:                             ;   in Loop: Header=BB6_138 Depth=3
	v_and_b32_e32 v1, 0x7c, v0
	v_and_b32_e32 v2, 3, v0
	v_cmp_ne_u32_e32 vcc, s86, v1
                                        ; implicit-def: $vgpr1
	s_and_saveexec_b64 s[62:63], vcc
	s_xor_b64 s[30:31], exec, s[62:63]
	s_cbranch_execz .LBB6_2418
; %bb.2417:                             ;   in Loop: Header=BB6_138 Depth=3
	v_ffbh_u32_e32 v4, v2
	v_min_u32_e32 v4, 32, v4
	v_mov_b32_e32 v1, v33
	v_subrev_u32_e32 v5, 29, v4
	v_bfe_u32 v3, v0, 2, 5
	v_lshlrev_b64 v[0:1], v5, v[0:1]
	v_cmp_eq_u32_e32 vcc, 0, v3
	v_and_b32_e32 v0, 3, v0
	v_sub_u32_e32 v1, 30, v4
	v_cndmask_b32_e32 v0, v2, v0, vcc
	v_lshlrev_b32_e32 v2, 16, v8
	v_cndmask_b32_e32 v1, v3, v1, vcc
	v_and_b32_e32 v2, 0x80000000, v2
	v_lshl_add_u32 v1, v1, 23, v2
	v_lshl_or_b32 v0, v0, 21, v1
	v_add_u32_e32 v1, 0x38000000, v0
                                        ; implicit-def: $vgpr2
.LBB6_2418:                             ;   in Loop: Header=BB6_138 Depth=3
	s_andn2_saveexec_b64 s[30:31], s[30:31]
; %bb.2419:                             ;   in Loop: Header=BB6_138 Depth=3
	v_cmp_lt_i16_e32 vcc, -1, v8
	v_mov_b32_e32 v0, 0xff800000
	v_mov_b32_e32 v1, 0x7f800000
	v_cndmask_b32_e32 v0, v0, v1, vcc
	v_cmp_eq_u32_e32 vcc, 0, v2
	v_mov_b32_e32 v1, 0x7f800001
	v_cndmask_b32_e32 v1, v1, v0, vcc
; %bb.2420:                             ;   in Loop: Header=BB6_138 Depth=3
	s_or_b64 exec, exec, s[30:31]
.LBB6_2421:                             ;   in Loop: Header=BB6_138 Depth=3
	s_or_b64 exec, exec, s[94:95]
.LBB6_2422:                             ;   in Loop: Header=BB6_138 Depth=3
	s_or_b64 exec, exec, s[26:27]
	v_mul_f32_e32 v2, v14, v1
	v_and_b32_e32 v3, 0x7f800000, v2
	v_mov_b32_e32 v4, v33
	v_cmp_ne_u64_e32 vcc, s[76:77], v[3:4]
	v_and_b32_e32 v0, 0x7fffff, v2
	v_mov_b32_e32 v1, v33
                                        ; implicit-def: $vgpr3
                                        ; kill: killed $vgpr3
	s_and_saveexec_b64 s[26:27], vcc
	s_xor_b64 s[94:95], exec, s[26:27]
	s_cbranch_execz .LBB6_2436
; %bb.2423:                             ;   in Loop: Header=BB6_138 Depth=3
	v_and_b32_e32 v3, 0x7fffffff, v2
	v_mov_b32_e32 v4, v33
	v_cmp_gt_u64_e32 vcc, s[78:79], v[3:4]
	v_and_b32_sdwa v3, v2, s97 dst_sel:DWORD dst_unused:UNUSED_PAD src0_sel:BYTE_3 src1_sel:DWORD
                                        ; implicit-def: $vgpr4
                                        ; kill: killed $vgpr4
	s_and_saveexec_b64 s[26:27], vcc
	s_xor_b64 s[30:31], exec, s[26:27]
	s_cbranch_execz .LBB6_2433
; %bb.2424:                             ;   in Loop: Header=BB6_138 Depth=3
	v_mov_b32_e32 v4, 0
	v_cmp_ne_u32_e32 vcc, 0, v2
	buffer_store_dword v4, off, s[0:3], s33 offset:644 ; 4-byte Folded Spill
	s_and_saveexec_b64 s[34:35], vcc
	s_cbranch_execz .LBB6_2432
; %bb.2425:                             ;   in Loop: Header=BB6_138 Depth=3
	v_bfe_u32 v5, v2, 23, 8
	v_cmp_gt_u32_e64 s[26:27], s47, v5
	v_sub_u32_e32 v2, 0x71, v5
	v_cmp_eq_u32_e32 vcc, 0, v5
	v_cndmask_b32_e64 v2, 0, v2, s[26:27]
	v_mov_b32_e32 v6, 0x70
	v_cndmask_b32_e32 v6, v2, v6, vcc
	v_add_u32_e32 v2, 21, v6
	v_or_b32_e32 v4, 0x800000, v0
	v_lshlrev_b64 v[15:16], v2, -1
	v_cndmask_b32_e32 v0, v4, v0, vcc
	v_add_u32_e32 v2, 20, v6
	v_bfi_b32 v15, v15, 0, v0
	v_lshlrev_b64 v[17:18], v2, 1
	v_lshrrev_b64 v[0:1], v6, v[0:1]
	v_bfi_b32 v16, v16, 0, 0
	v_cmp_eq_u64_e64 s[26:27], v[15:16], v[17:18]
	v_mov_b32_e32 v2, v1
	v_mov_b32_e32 v1, v0
	s_and_saveexec_b64 s[36:37], s[26:27]
; %bb.2426:                             ;   in Loop: Header=BB6_138 Depth=3
	v_bfe_u32 v1, v0, 21, 1
	v_add_co_u32_e64 v1, s[26:27], v0, v1
	v_add_co_u32_e64 v1, s[26:27], -1, v1
; %bb.2427:                             ;   in Loop: Header=BB6_138 Depth=3
	s_or_b64 exec, exec, s[36:37]
	v_add_u32_e32 v2, 0xffffff81, v5
	v_mov_b32_e32 v4, 0xffffff82
	v_cndmask_b32_e32 v2, v2, v4, vcc
	v_lshrrev_b32_e32 v4, 23, v0
	v_add3_u32 v6, v6, v2, v4
	v_add_u32_e32 v5, 14, v6
	v_and_b32_e32 v1, 0x1fffff, v1
	v_add_u32_e32 v0, v1, v0
	v_mov_b32_e32 v1, v33
	v_cmp_ne_u32_e32 vcc, 0, v5
                                        ; implicit-def: $vgpr2
	s_and_saveexec_b64 s[26:27], vcc
	s_xor_b64 s[26:27], exec, s[26:27]
; %bb.2428:                             ;   in Loop: Header=BB6_138 Depth=3
	v_cmp_lt_u64_e32 vcc, s[88:89], v[0:1]
	v_add_u32_e32 v2, 15, v6
	v_cndmask_b32_e64 v4, 0, 1, vcc
	v_lshrrev_b64 v[0:1], v4, v[0:1]
	v_cndmask_b32_e32 v2, v5, v2, vcc
; %bb.2429:                             ;   in Loop: Header=BB6_138 Depth=3
	s_andn2_saveexec_b64 s[26:27], s[26:27]
; %bb.2430:                             ;   in Loop: Header=BB6_138 Depth=3
	v_bfe_u32 v2, v0, 23, 1
; %bb.2431:                             ;   in Loop: Header=BB6_138 Depth=3
	s_or_b64 exec, exec, s[26:27]
	v_lshrrev_b64 v[0:1], 21, v[0:1]
	v_cmp_gt_i32_e32 vcc, 32, v2
	v_cndmask_b32_e32 v1, 0, v1, vcc
	v_cndmask_b32_e32 v0, 3, v0, vcc
	v_cmp_eq_u64_e64 s[26:27], 0, v[0:1]
	v_min_i32_e32 v1, 31, v2
	v_lshlrev_b32_e32 v1, 2, v1
	v_cmp_eq_u32_e32 vcc, 0, v2
	v_and_b32_e32 v1, 0xfc, v1
	v_and_or_b32 v0, v0, 3, v1
	s_and_b64 s[26:27], vcc, s[26:27]
	v_cndmask_b32_e64 v0, v0, 0, s[26:27]
	v_or_b32_e32 v0, v0, v3
	buffer_store_dword v0, off, s[0:3], s33 offset:644 ; 4-byte Folded Spill
.LBB6_2432:                             ;   in Loop: Header=BB6_138 Depth=3
	s_or_b64 exec, exec, s[34:35]
                                        ; implicit-def: $vgpr3
.LBB6_2433:                             ;   in Loop: Header=BB6_138 Depth=3
	s_andn2_saveexec_b64 s[26:27], s[30:31]
	s_cbranch_execz .LBB6_2435
; %bb.2434:                             ;   in Loop: Header=BB6_138 Depth=3
	v_or_b32_e32 v0, 0x7b, v3
	buffer_store_dword v0, off, s[0:3], s33 offset:644 ; 4-byte Folded Spill
.LBB6_2435:                             ;   in Loop: Header=BB6_138 Depth=3
	s_or_b64 exec, exec, s[26:27]
                                        ; implicit-def: $vgpr2
                                        ; implicit-def: $vgpr0_vgpr1
.LBB6_2436:                             ;   in Loop: Header=BB6_138 Depth=3
	s_andn2_saveexec_b64 s[26:27], s[94:95]
	s_cbranch_execz .LBB6_2442
; %bb.2437:                             ;   in Loop: Header=BB6_138 Depth=3
	v_cmp_ne_u64_e32 vcc, 0, v[0:1]
                                        ; implicit-def: $vgpr0
                                        ; kill: killed $vgpr0
	s_and_saveexec_b64 s[62:63], vcc
	s_xor_b64 s[94:95], exec, s[62:63]
	s_cbranch_execz .LBB6_2439
; %bb.2438:                             ;   in Loop: Header=BB6_138 Depth=3
	v_or_b32_sdwa v0, v2, s44 dst_sel:DWORD dst_unused:UNUSED_PAD src0_sel:BYTE_3 src1_sel:DWORD
	buffer_store_dword v0, off, s[0:3], s33 offset:644 ; 4-byte Folded Spill
                                        ; implicit-def: $vgpr2
.LBB6_2439:                             ;   in Loop: Header=BB6_138 Depth=3
	s_andn2_saveexec_b64 s[94:95], s[94:95]
	s_cbranch_execz .LBB6_2441
; %bb.2440:                             ;   in Loop: Header=BB6_138 Depth=3
	v_cmp_lt_i32_e32 vcc, -1, v2
	v_bfrev_b32_e32 v0, 0.5
	v_mov_b32_e32 v1, 0x7c
	v_cndmask_b32_e32 v0, v0, v1, vcc
	buffer_store_dword v0, off, s[0:3], s33 offset:644 ; 4-byte Folded Spill
.LBB6_2441:                             ;   in Loop: Header=BB6_138 Depth=3
	s_or_b64 exec, exec, s[94:95]
.LBB6_2442:                             ;   in Loop: Header=BB6_138 Depth=3
	s_or_b64 exec, exec, s[26:27]
	v_lshrrev_b32_e32 v0, 16, v8
	v_cmp_ne_u16_sdwa s[62:63], v0, v33 src0_sel:BYTE_0 src1_sel:DWORD
	v_mov_b32_e32 v1, 0
	s_and_saveexec_b64 s[26:27], s[62:63]
	s_cbranch_execz .LBB6_2450
; %bb.2443:                             ;   in Loop: Header=BB6_138 Depth=3
	v_cmp_ne_u16_sdwa s[62:63], v0, s97 src0_sel:BYTE_0 src1_sel:DWORD
	v_bfrev_b32_e32 v1, 1
	s_and_saveexec_b64 s[94:95], s[62:63]
	s_cbranch_execz .LBB6_2449
; %bb.2444:                             ;   in Loop: Header=BB6_138 Depth=3
	v_and_b32_e32 v1, 0x7c0000, v8
	v_bfe_u32 v2, v8, 16, 2
	v_cmp_ne_u32_e32 vcc, s45, v1
                                        ; implicit-def: $vgpr1
	s_and_saveexec_b64 s[62:63], vcc
	s_xor_b64 s[30:31], exec, s[62:63]
	s_cbranch_execz .LBB6_2446
; %bb.2445:                             ;   in Loop: Header=BB6_138 Depth=3
	v_ffbh_u32_e32 v1, v2
	v_min_u32_e32 v4, 32, v1
	v_subrev_u32_e32 v1, 29, v4
	v_lshlrev_b64 v[0:1], v1, v[0:1]
	v_bfe_u32 v3, v8, 18, 5
	v_and_b32_e32 v0, 3, v0
	v_cmp_eq_u32_e32 vcc, 0, v3
	v_sub_u32_e32 v1, 30, v4
	v_cndmask_b32_e32 v0, v2, v0, vcc
	v_lshlrev_b32_e32 v2, 8, v8
	v_cndmask_b32_e32 v1, v3, v1, vcc
	v_and_b32_e32 v2, 0x80000000, v2
	v_lshl_add_u32 v1, v1, 23, v2
	v_lshl_or_b32 v0, v0, 21, v1
	v_add_u32_e32 v1, 0x38000000, v0
                                        ; implicit-def: $vgpr2
                                        ; implicit-def: $vgpr0
.LBB6_2446:                             ;   in Loop: Header=BB6_138 Depth=3
	s_andn2_saveexec_b64 s[30:31], s[30:31]
; %bb.2447:                             ;   in Loop: Header=BB6_138 Depth=3
	v_mov_b32_e32 v1, -1
	v_cmp_gt_i16_sdwa vcc, sext(v0), v1 src0_sel:BYTE_0 src1_sel:DWORD
	v_mov_b32_e32 v0, 0xff800000
	v_mov_b32_e32 v1, 0x7f800000
	v_cndmask_b32_e32 v0, v0, v1, vcc
	v_cmp_eq_u32_e32 vcc, 0, v2
	v_mov_b32_e32 v1, 0x7f800001
	v_cndmask_b32_e32 v1, v1, v0, vcc
; %bb.2448:                             ;   in Loop: Header=BB6_138 Depth=3
	s_or_b64 exec, exec, s[30:31]
.LBB6_2449:                             ;   in Loop: Header=BB6_138 Depth=3
	s_or_b64 exec, exec, s[94:95]
.LBB6_2450:                             ;   in Loop: Header=BB6_138 Depth=3
	s_or_b64 exec, exec, s[26:27]
	v_mul_f32_e32 v2, v14, v1
	v_and_b32_e32 v3, 0x7f800000, v2
	v_mov_b32_e32 v4, v33
	v_cmp_ne_u64_e32 vcc, s[76:77], v[3:4]
	v_and_b32_e32 v0, 0x7fffff, v2
	v_mov_b32_e32 v1, v33
                                        ; implicit-def: $vgpr3
                                        ; kill: killed $vgpr3
	s_and_saveexec_b64 s[26:27], vcc
	s_xor_b64 s[94:95], exec, s[26:27]
	s_cbranch_execz .LBB6_2464
; %bb.2451:                             ;   in Loop: Header=BB6_138 Depth=3
	v_and_b32_e32 v3, 0x7fffffff, v2
	v_mov_b32_e32 v4, v33
	v_cmp_gt_u64_e32 vcc, s[78:79], v[3:4]
	v_and_b32_sdwa v3, v2, s97 dst_sel:DWORD dst_unused:UNUSED_PAD src0_sel:BYTE_3 src1_sel:DWORD
                                        ; implicit-def: $vgpr4
                                        ; kill: killed $vgpr4
	s_and_saveexec_b64 s[26:27], vcc
	s_xor_b64 s[30:31], exec, s[26:27]
	s_cbranch_execz .LBB6_2461
; %bb.2452:                             ;   in Loop: Header=BB6_138 Depth=3
	v_mov_b32_e32 v4, 0
	v_cmp_ne_u32_e32 vcc, 0, v2
	buffer_store_dword v4, off, s[0:3], s33 offset:648 ; 4-byte Folded Spill
	s_and_saveexec_b64 s[34:35], vcc
	s_cbranch_execz .LBB6_2460
; %bb.2453:                             ;   in Loop: Header=BB6_138 Depth=3
	v_bfe_u32 v5, v2, 23, 8
	v_cmp_gt_u32_e64 s[26:27], s47, v5
	v_sub_u32_e32 v2, 0x71, v5
	v_cmp_eq_u32_e32 vcc, 0, v5
	v_cndmask_b32_e64 v2, 0, v2, s[26:27]
	v_mov_b32_e32 v6, 0x70
	v_cndmask_b32_e32 v6, v2, v6, vcc
	v_add_u32_e32 v2, 21, v6
	v_or_b32_e32 v4, 0x800000, v0
	v_lshlrev_b64 v[15:16], v2, -1
	v_cndmask_b32_e32 v0, v4, v0, vcc
	v_add_u32_e32 v2, 20, v6
	v_bfi_b32 v15, v15, 0, v0
	v_lshlrev_b64 v[17:18], v2, 1
	v_lshrrev_b64 v[0:1], v6, v[0:1]
	v_bfi_b32 v16, v16, 0, 0
	v_cmp_eq_u64_e64 s[26:27], v[15:16], v[17:18]
	v_mov_b32_e32 v2, v1
	v_mov_b32_e32 v1, v0
	s_and_saveexec_b64 s[36:37], s[26:27]
; %bb.2454:                             ;   in Loop: Header=BB6_138 Depth=3
	v_bfe_u32 v1, v0, 21, 1
	v_add_co_u32_e64 v1, s[26:27], v0, v1
	v_add_co_u32_e64 v1, s[26:27], -1, v1
; %bb.2455:                             ;   in Loop: Header=BB6_138 Depth=3
	s_or_b64 exec, exec, s[36:37]
	v_add_u32_e32 v2, 0xffffff81, v5
	v_mov_b32_e32 v4, 0xffffff82
	v_cndmask_b32_e32 v2, v2, v4, vcc
	v_lshrrev_b32_e32 v4, 23, v0
	v_add3_u32 v6, v6, v2, v4
	v_add_u32_e32 v5, 14, v6
	v_and_b32_e32 v1, 0x1fffff, v1
	v_add_u32_e32 v0, v1, v0
	v_mov_b32_e32 v1, v33
	v_cmp_ne_u32_e32 vcc, 0, v5
                                        ; implicit-def: $vgpr2
	s_and_saveexec_b64 s[26:27], vcc
	s_xor_b64 s[26:27], exec, s[26:27]
; %bb.2456:                             ;   in Loop: Header=BB6_138 Depth=3
	v_cmp_lt_u64_e32 vcc, s[88:89], v[0:1]
	v_add_u32_e32 v2, 15, v6
	v_cndmask_b32_e64 v4, 0, 1, vcc
	v_lshrrev_b64 v[0:1], v4, v[0:1]
	v_cndmask_b32_e32 v2, v5, v2, vcc
; %bb.2457:                             ;   in Loop: Header=BB6_138 Depth=3
	s_andn2_saveexec_b64 s[26:27], s[26:27]
; %bb.2458:                             ;   in Loop: Header=BB6_138 Depth=3
	v_bfe_u32 v2, v0, 23, 1
; %bb.2459:                             ;   in Loop: Header=BB6_138 Depth=3
	s_or_b64 exec, exec, s[26:27]
	v_lshrrev_b64 v[0:1], 21, v[0:1]
	v_cmp_gt_i32_e32 vcc, 32, v2
	v_cndmask_b32_e32 v1, 0, v1, vcc
	v_cndmask_b32_e32 v0, 3, v0, vcc
	v_cmp_eq_u64_e64 s[26:27], 0, v[0:1]
	v_min_i32_e32 v1, 31, v2
	v_lshlrev_b32_e32 v1, 2, v1
	v_cmp_eq_u32_e32 vcc, 0, v2
	v_and_b32_e32 v1, 0xfc, v1
	v_and_or_b32 v0, v0, 3, v1
	s_and_b64 s[26:27], vcc, s[26:27]
	v_cndmask_b32_e64 v0, v0, 0, s[26:27]
	v_or_b32_e32 v0, v0, v3
	buffer_store_dword v0, off, s[0:3], s33 offset:648 ; 4-byte Folded Spill
.LBB6_2460:                             ;   in Loop: Header=BB6_138 Depth=3
	s_or_b64 exec, exec, s[34:35]
                                        ; implicit-def: $vgpr3
.LBB6_2461:                             ;   in Loop: Header=BB6_138 Depth=3
	s_andn2_saveexec_b64 s[26:27], s[30:31]
	s_cbranch_execz .LBB6_2463
; %bb.2462:                             ;   in Loop: Header=BB6_138 Depth=3
	v_or_b32_e32 v0, 0x7b, v3
	buffer_store_dword v0, off, s[0:3], s33 offset:648 ; 4-byte Folded Spill
.LBB6_2463:                             ;   in Loop: Header=BB6_138 Depth=3
	s_or_b64 exec, exec, s[26:27]
                                        ; implicit-def: $vgpr2
                                        ; implicit-def: $vgpr0_vgpr1
.LBB6_2464:                             ;   in Loop: Header=BB6_138 Depth=3
	s_andn2_saveexec_b64 s[26:27], s[94:95]
	s_cbranch_execz .LBB6_2470
; %bb.2465:                             ;   in Loop: Header=BB6_138 Depth=3
	v_cmp_ne_u64_e32 vcc, 0, v[0:1]
                                        ; implicit-def: $vgpr0
                                        ; kill: killed $vgpr0
	s_and_saveexec_b64 s[62:63], vcc
	s_xor_b64 s[94:95], exec, s[62:63]
	s_cbranch_execz .LBB6_2467
; %bb.2466:                             ;   in Loop: Header=BB6_138 Depth=3
	v_or_b32_sdwa v0, v2, s44 dst_sel:DWORD dst_unused:UNUSED_PAD src0_sel:BYTE_3 src1_sel:DWORD
	buffer_store_dword v0, off, s[0:3], s33 offset:648 ; 4-byte Folded Spill
                                        ; implicit-def: $vgpr2
.LBB6_2467:                             ;   in Loop: Header=BB6_138 Depth=3
	s_andn2_saveexec_b64 s[94:95], s[94:95]
	s_cbranch_execz .LBB6_2469
; %bb.2468:                             ;   in Loop: Header=BB6_138 Depth=3
	v_cmp_lt_i32_e32 vcc, -1, v2
	v_bfrev_b32_e32 v0, 0.5
	v_mov_b32_e32 v1, 0x7c
	v_cndmask_b32_e32 v0, v0, v1, vcc
	buffer_store_dword v0, off, s[0:3], s33 offset:648 ; 4-byte Folded Spill
.LBB6_2469:                             ;   in Loop: Header=BB6_138 Depth=3
	s_or_b64 exec, exec, s[94:95]
.LBB6_2470:                             ;   in Loop: Header=BB6_138 Depth=3
	s_or_b64 exec, exec, s[26:27]
	v_cmp_lt_u32_e32 vcc, s57, v8
	v_mov_b32_e32 v1, 0
	s_and_saveexec_b64 s[26:27], vcc
	s_cbranch_execz .LBB6_2478
; %bb.2471:                             ;   in Loop: Header=BB6_138 Depth=3
	v_lshrrev_b32_e32 v0, 24, v8
	v_cmp_ne_u32_e32 vcc, s97, v0
	v_bfrev_b32_e32 v1, 1
	s_and_saveexec_b64 s[94:95], vcc
	s_cbranch_execz .LBB6_2477
; %bb.2472:                             ;   in Loop: Header=BB6_138 Depth=3
	v_and_b32_e32 v1, 0x7c000000, v8
	v_bfe_u32 v2, v8, 24, 2
	v_cmp_ne_u32_e32 vcc, s68, v1
                                        ; implicit-def: $vgpr1
	s_and_saveexec_b64 s[62:63], vcc
	s_xor_b64 s[30:31], exec, s[62:63]
	s_cbranch_execz .LBB6_2474
; %bb.2473:                             ;   in Loop: Header=BB6_138 Depth=3
	v_ffbh_u32_e32 v1, v2
	v_min_u32_e32 v4, 32, v1
	v_subrev_u32_e32 v1, 29, v4
	v_lshlrev_b64 v[0:1], v1, v[0:1]
	v_bfe_u32 v3, v8, 26, 5
	v_sub_u32_e32 v1, 30, v4
	v_and_b32_e32 v0, 3, v0
	v_cmp_eq_u32_e32 vcc, 0, v3
	v_cndmask_b32_e32 v1, v3, v1, vcc
	v_cndmask_b32_e32 v0, v2, v0, vcc
	v_and_b32_e32 v2, 0x80000000, v8
	v_lshl_add_u32 v1, v1, 23, v2
	v_lshl_or_b32 v0, v0, 21, v1
	v_add_u32_e32 v1, 0x38000000, v0
                                        ; implicit-def: $vgpr2
.LBB6_2474:                             ;   in Loop: Header=BB6_138 Depth=3
	s_andn2_saveexec_b64 s[30:31], s[30:31]
; %bb.2475:                             ;   in Loop: Header=BB6_138 Depth=3
	v_cmp_lt_i32_e32 vcc, -1, v8
	v_mov_b32_e32 v0, 0xff800000
	v_mov_b32_e32 v1, 0x7f800000
	v_cndmask_b32_e32 v0, v0, v1, vcc
	v_cmp_eq_u32_e32 vcc, 0, v2
	v_mov_b32_e32 v1, 0x7f800001
	v_cndmask_b32_e32 v1, v1, v0, vcc
; %bb.2476:                             ;   in Loop: Header=BB6_138 Depth=3
	s_or_b64 exec, exec, s[30:31]
.LBB6_2477:                             ;   in Loop: Header=BB6_138 Depth=3
	s_or_b64 exec, exec, s[94:95]
.LBB6_2478:                             ;   in Loop: Header=BB6_138 Depth=3
	s_or_b64 exec, exec, s[26:27]
	v_mul_f32_e32 v2, v14, v1
	v_and_b32_e32 v3, 0x7f800000, v2
	v_mov_b32_e32 v4, v33
	v_cmp_ne_u64_e32 vcc, s[76:77], v[3:4]
	v_and_b32_e32 v0, 0x7fffff, v2
	v_mov_b32_e32 v1, v33
                                        ; implicit-def: $vgpr3
                                        ; kill: killed $vgpr3
	s_and_saveexec_b64 s[26:27], vcc
	s_xor_b64 s[94:95], exec, s[26:27]
	s_cbranch_execz .LBB6_2492
; %bb.2479:                             ;   in Loop: Header=BB6_138 Depth=3
	v_and_b32_e32 v3, 0x7fffffff, v2
	v_mov_b32_e32 v4, v33
	v_cmp_gt_u64_e32 vcc, s[78:79], v[3:4]
	v_and_b32_sdwa v3, v2, s97 dst_sel:DWORD dst_unused:UNUSED_PAD src0_sel:BYTE_3 src1_sel:DWORD
                                        ; implicit-def: $vgpr4
                                        ; kill: killed $vgpr4
	s_and_saveexec_b64 s[26:27], vcc
	s_xor_b64 s[30:31], exec, s[26:27]
	s_cbranch_execz .LBB6_2489
; %bb.2480:                             ;   in Loop: Header=BB6_138 Depth=3
	v_mov_b32_e32 v4, 0
	v_cmp_ne_u32_e32 vcc, 0, v2
	buffer_store_dword v4, off, s[0:3], s33 offset:652 ; 4-byte Folded Spill
	s_and_saveexec_b64 s[34:35], vcc
	s_cbranch_execz .LBB6_2488
; %bb.2481:                             ;   in Loop: Header=BB6_138 Depth=3
	v_bfe_u32 v5, v2, 23, 8
	v_cmp_gt_u32_e64 s[26:27], s47, v5
	v_sub_u32_e32 v2, 0x71, v5
	v_cmp_eq_u32_e32 vcc, 0, v5
	v_cndmask_b32_e64 v2, 0, v2, s[26:27]
	v_mov_b32_e32 v6, 0x70
	v_cndmask_b32_e32 v6, v2, v6, vcc
	v_add_u32_e32 v2, 21, v6
	v_or_b32_e32 v4, 0x800000, v0
	v_lshlrev_b64 v[15:16], v2, -1
	v_cndmask_b32_e32 v0, v4, v0, vcc
	v_add_u32_e32 v2, 20, v6
	v_bfi_b32 v15, v15, 0, v0
	v_lshlrev_b64 v[17:18], v2, 1
	v_lshrrev_b64 v[0:1], v6, v[0:1]
	v_bfi_b32 v16, v16, 0, 0
	v_cmp_eq_u64_e64 s[26:27], v[15:16], v[17:18]
	v_mov_b32_e32 v2, v1
	v_mov_b32_e32 v1, v0
	s_and_saveexec_b64 s[36:37], s[26:27]
; %bb.2482:                             ;   in Loop: Header=BB6_138 Depth=3
	v_bfe_u32 v1, v0, 21, 1
	v_add_co_u32_e64 v1, s[26:27], v0, v1
	v_add_co_u32_e64 v1, s[26:27], -1, v1
; %bb.2483:                             ;   in Loop: Header=BB6_138 Depth=3
	s_or_b64 exec, exec, s[36:37]
	v_add_u32_e32 v2, 0xffffff81, v5
	v_mov_b32_e32 v4, 0xffffff82
	v_cndmask_b32_e32 v2, v2, v4, vcc
	v_lshrrev_b32_e32 v4, 23, v0
	v_add3_u32 v6, v6, v2, v4
	v_add_u32_e32 v5, 14, v6
	v_and_b32_e32 v1, 0x1fffff, v1
	v_add_u32_e32 v0, v1, v0
	v_mov_b32_e32 v1, v33
	v_cmp_ne_u32_e32 vcc, 0, v5
                                        ; implicit-def: $vgpr2
	s_and_saveexec_b64 s[26:27], vcc
	s_xor_b64 s[26:27], exec, s[26:27]
; %bb.2484:                             ;   in Loop: Header=BB6_138 Depth=3
	v_cmp_lt_u64_e32 vcc, s[88:89], v[0:1]
	v_add_u32_e32 v2, 15, v6
	v_cndmask_b32_e64 v4, 0, 1, vcc
	v_lshrrev_b64 v[0:1], v4, v[0:1]
	v_cndmask_b32_e32 v2, v5, v2, vcc
; %bb.2485:                             ;   in Loop: Header=BB6_138 Depth=3
	s_andn2_saveexec_b64 s[26:27], s[26:27]
; %bb.2486:                             ;   in Loop: Header=BB6_138 Depth=3
	v_bfe_u32 v2, v0, 23, 1
; %bb.2487:                             ;   in Loop: Header=BB6_138 Depth=3
	s_or_b64 exec, exec, s[26:27]
	v_lshrrev_b64 v[0:1], 21, v[0:1]
	v_cmp_gt_i32_e32 vcc, 32, v2
	v_cndmask_b32_e32 v1, 0, v1, vcc
	v_cndmask_b32_e32 v0, 3, v0, vcc
	v_cmp_eq_u64_e64 s[26:27], 0, v[0:1]
	v_min_i32_e32 v1, 31, v2
	v_lshlrev_b32_e32 v1, 2, v1
	v_cmp_eq_u32_e32 vcc, 0, v2
	v_and_b32_e32 v1, 0xfc, v1
	v_and_or_b32 v0, v0, 3, v1
	s_and_b64 s[26:27], vcc, s[26:27]
	v_cndmask_b32_e64 v0, v0, 0, s[26:27]
	v_or_b32_e32 v0, v0, v3
	buffer_store_dword v0, off, s[0:3], s33 offset:652 ; 4-byte Folded Spill
.LBB6_2488:                             ;   in Loop: Header=BB6_138 Depth=3
	s_or_b64 exec, exec, s[34:35]
                                        ; implicit-def: $vgpr3
.LBB6_2489:                             ;   in Loop: Header=BB6_138 Depth=3
	s_andn2_saveexec_b64 s[26:27], s[30:31]
	s_cbranch_execz .LBB6_2491
; %bb.2490:                             ;   in Loop: Header=BB6_138 Depth=3
	v_or_b32_e32 v0, 0x7b, v3
	buffer_store_dword v0, off, s[0:3], s33 offset:652 ; 4-byte Folded Spill
.LBB6_2491:                             ;   in Loop: Header=BB6_138 Depth=3
	s_or_b64 exec, exec, s[26:27]
                                        ; implicit-def: $vgpr2
                                        ; implicit-def: $vgpr0_vgpr1
.LBB6_2492:                             ;   in Loop: Header=BB6_138 Depth=3
	s_andn2_saveexec_b64 s[26:27], s[94:95]
	s_cbranch_execz .LBB6_2498
; %bb.2493:                             ;   in Loop: Header=BB6_138 Depth=3
	v_cmp_ne_u64_e32 vcc, 0, v[0:1]
                                        ; implicit-def: $vgpr0
                                        ; kill: killed $vgpr0
	s_and_saveexec_b64 s[62:63], vcc
	s_xor_b64 s[94:95], exec, s[62:63]
	s_cbranch_execz .LBB6_2495
; %bb.2494:                             ;   in Loop: Header=BB6_138 Depth=3
	v_or_b32_sdwa v0, v2, s44 dst_sel:DWORD dst_unused:UNUSED_PAD src0_sel:BYTE_3 src1_sel:DWORD
	buffer_store_dword v0, off, s[0:3], s33 offset:652 ; 4-byte Folded Spill
                                        ; implicit-def: $vgpr2
.LBB6_2495:                             ;   in Loop: Header=BB6_138 Depth=3
	s_andn2_saveexec_b64 s[94:95], s[94:95]
	s_cbranch_execz .LBB6_2497
; %bb.2496:                             ;   in Loop: Header=BB6_138 Depth=3
	v_cmp_lt_i32_e32 vcc, -1, v2
	v_bfrev_b32_e32 v0, 0.5
	v_mov_b32_e32 v1, 0x7c
	v_cndmask_b32_e32 v0, v0, v1, vcc
	buffer_store_dword v0, off, s[0:3], s33 offset:652 ; 4-byte Folded Spill
.LBB6_2497:                             ;   in Loop: Header=BB6_138 Depth=3
	s_or_b64 exec, exec, s[94:95]
.LBB6_2498:                             ;   in Loop: Header=BB6_138 Depth=3
	s_or_b64 exec, exec, s[26:27]
	v_mov_b32_e32 v0, v9
	v_mov_b32_e32 v1, v33
	v_cmp_ne_u16_sdwa s[62:63], v9, v33 src0_sel:BYTE_0 src1_sel:DWORD
	v_mov_b32_e32 v2, 0
	s_and_saveexec_b64 s[26:27], s[62:63]
	s_cbranch_execz .LBB6_2506
; %bb.2499:                             ;   in Loop: Header=BB6_138 Depth=3
	v_cmp_ne_u16_sdwa s[62:63], v9, s97 src0_sel:BYTE_0 src1_sel:DWORD
	v_bfrev_b32_e32 v2, 1
	s_and_saveexec_b64 s[94:95], s[62:63]
	s_cbranch_execz .LBB6_2505
; %bb.2500:                             ;   in Loop: Header=BB6_138 Depth=3
	v_and_b32_e32 v2, 0x7c, v9
	v_and_b32_e32 v3, 3, v9
	v_cmp_ne_u32_e32 vcc, s86, v2
                                        ; implicit-def: $vgpr2
	s_and_saveexec_b64 s[62:63], vcc
	s_xor_b64 s[30:31], exec, s[62:63]
	s_cbranch_execz .LBB6_2502
; %bb.2501:                             ;   in Loop: Header=BB6_138 Depth=3
	v_ffbh_u32_e32 v2, v3
	v_min_u32_e32 v5, 32, v2
	v_subrev_u32_e32 v2, 29, v5
	v_lshlrev_b64 v[1:2], v2, v[0:1]
	v_bfe_u32 v4, v9, 2, 5
	v_and_b32_e32 v1, 3, v1
	v_cmp_eq_u32_e32 vcc, 0, v4
	v_sub_u32_e32 v2, 30, v5
	v_cndmask_b32_e32 v1, v3, v1, vcc
	v_lshlrev_b32_e32 v3, 24, v9
	v_cndmask_b32_e32 v2, v4, v2, vcc
	v_and_b32_e32 v3, 0x80000000, v3
	v_lshl_add_u32 v2, v2, 23, v3
	v_lshl_or_b32 v1, v1, 21, v2
	v_add_u32_e32 v2, 0x38000000, v1
                                        ; implicit-def: $vgpr3
.LBB6_2502:                             ;   in Loop: Header=BB6_138 Depth=3
	s_andn2_saveexec_b64 s[30:31], s[30:31]
; %bb.2503:                             ;   in Loop: Header=BB6_138 Depth=3
	v_mov_b32_e32 v1, -1
	v_cmp_gt_i16_sdwa vcc, sext(v9), v1 src0_sel:BYTE_0 src1_sel:DWORD
	v_mov_b32_e32 v1, 0xff800000
	v_mov_b32_e32 v2, 0x7f800000
	v_cndmask_b32_e32 v1, v1, v2, vcc
	v_cmp_eq_u32_e32 vcc, 0, v3
	v_mov_b32_e32 v2, 0x7f800001
	v_cndmask_b32_e32 v2, v2, v1, vcc
; %bb.2504:                             ;   in Loop: Header=BB6_138 Depth=3
	s_or_b64 exec, exec, s[30:31]
.LBB6_2505:                             ;   in Loop: Header=BB6_138 Depth=3
	s_or_b64 exec, exec, s[94:95]
.LBB6_2506:                             ;   in Loop: Header=BB6_138 Depth=3
	s_or_b64 exec, exec, s[26:27]
	v_mul_f32_e32 v3, v14, v2
	v_and_b32_e32 v4, 0x7f800000, v3
	v_mov_b32_e32 v5, v33
	v_cmp_ne_u64_e32 vcc, s[76:77], v[4:5]
	v_and_b32_e32 v1, 0x7fffff, v3
	v_mov_b32_e32 v2, v33
                                        ; implicit-def: $vgpr4
                                        ; kill: killed $vgpr4
	s_and_saveexec_b64 s[26:27], vcc
	s_xor_b64 s[94:95], exec, s[26:27]
	s_cbranch_execz .LBB6_2520
; %bb.2507:                             ;   in Loop: Header=BB6_138 Depth=3
	v_and_b32_e32 v4, 0x7fffffff, v3
	v_mov_b32_e32 v5, v33
	v_cmp_gt_u64_e32 vcc, s[78:79], v[4:5]
	v_and_b32_sdwa v5, v3, s97 dst_sel:DWORD dst_unused:UNUSED_PAD src0_sel:BYTE_3 src1_sel:DWORD
                                        ; implicit-def: $vgpr4
                                        ; kill: killed $vgpr4
	s_and_saveexec_b64 s[26:27], vcc
	s_xor_b64 s[30:31], exec, s[26:27]
	s_cbranch_execz .LBB6_2517
; %bb.2508:                             ;   in Loop: Header=BB6_138 Depth=3
	v_mov_b32_e32 v4, 0
	v_cmp_ne_u32_e32 vcc, 0, v3
	buffer_store_dword v4, off, s[0:3], s33 offset:656 ; 4-byte Folded Spill
	s_and_saveexec_b64 s[34:35], vcc
	s_cbranch_execz .LBB6_2516
; %bb.2509:                             ;   in Loop: Header=BB6_138 Depth=3
	v_bfe_u32 v6, v3, 23, 8
	v_cmp_gt_u32_e64 s[26:27], s47, v6
	v_sub_u32_e32 v3, 0x71, v6
	v_cmp_eq_u32_e32 vcc, 0, v6
	v_cndmask_b32_e64 v3, 0, v3, s[26:27]
	v_mov_b32_e32 v7, 0x70
	v_cndmask_b32_e32 v7, v3, v7, vcc
	v_or_b32_e32 v4, 0x800000, v1
	v_add_u32_e32 v3, 21, v7
	v_cndmask_b32_e32 v1, v4, v1, vcc
	v_lshlrev_b64 v[3:4], v3, -1
	v_add_u32_e32 v15, 20, v7
	v_bfi_b32 v3, v3, 0, v1
	v_lshlrev_b64 v[15:16], v15, 1
	v_lshrrev_b64 v[1:2], v7, v[1:2]
	v_bfi_b32 v4, v4, 0, 0
	v_cmp_eq_u64_e64 s[26:27], v[3:4], v[15:16]
	v_mov_b32_e32 v3, v2
	v_mov_b32_e32 v2, v1
	s_and_saveexec_b64 s[36:37], s[26:27]
; %bb.2510:                             ;   in Loop: Header=BB6_138 Depth=3
	v_bfe_u32 v2, v1, 21, 1
	v_add_co_u32_e64 v2, s[26:27], v1, v2
	v_add_co_u32_e64 v2, s[26:27], -1, v2
; %bb.2511:                             ;   in Loop: Header=BB6_138 Depth=3
	s_or_b64 exec, exec, s[36:37]
	v_add_u32_e32 v3, 0xffffff81, v6
	v_mov_b32_e32 v4, 0xffffff82
	v_cndmask_b32_e32 v3, v3, v4, vcc
	v_lshrrev_b32_e32 v4, 23, v1
	v_add3_u32 v7, v7, v3, v4
	v_add_u32_e32 v6, 14, v7
	v_and_b32_e32 v2, 0x1fffff, v2
	v_add_u32_e32 v1, v2, v1
	v_mov_b32_e32 v2, v33
	v_cmp_ne_u32_e32 vcc, 0, v6
                                        ; implicit-def: $vgpr3
	s_and_saveexec_b64 s[26:27], vcc
	s_xor_b64 s[26:27], exec, s[26:27]
; %bb.2512:                             ;   in Loop: Header=BB6_138 Depth=3
	v_cmp_lt_u64_e32 vcc, s[88:89], v[1:2]
	v_add_u32_e32 v3, 15, v7
	v_cndmask_b32_e64 v4, 0, 1, vcc
	v_lshrrev_b64 v[1:2], v4, v[1:2]
	v_cndmask_b32_e32 v3, v6, v3, vcc
; %bb.2513:                             ;   in Loop: Header=BB6_138 Depth=3
	s_andn2_saveexec_b64 s[26:27], s[26:27]
; %bb.2514:                             ;   in Loop: Header=BB6_138 Depth=3
	v_bfe_u32 v3, v1, 23, 1
; %bb.2515:                             ;   in Loop: Header=BB6_138 Depth=3
	s_or_b64 exec, exec, s[26:27]
	v_lshrrev_b64 v[1:2], 21, v[1:2]
	v_cmp_gt_i32_e32 vcc, 32, v3
	v_cndmask_b32_e32 v2, 0, v2, vcc
	v_cndmask_b32_e32 v1, 3, v1, vcc
	v_cmp_eq_u64_e64 s[26:27], 0, v[1:2]
	v_min_i32_e32 v2, 31, v3
	v_lshlrev_b32_e32 v2, 2, v2
	v_cmp_eq_u32_e32 vcc, 0, v3
	v_and_b32_e32 v2, 0xfc, v2
	v_and_or_b32 v1, v1, 3, v2
	s_and_b64 s[26:27], vcc, s[26:27]
	v_cndmask_b32_e64 v1, v1, 0, s[26:27]
	v_or_b32_e32 v1, v1, v5
	buffer_store_dword v1, off, s[0:3], s33 offset:656 ; 4-byte Folded Spill
.LBB6_2516:                             ;   in Loop: Header=BB6_138 Depth=3
	s_or_b64 exec, exec, s[34:35]
                                        ; implicit-def: $vgpr5
.LBB6_2517:                             ;   in Loop: Header=BB6_138 Depth=3
	s_andn2_saveexec_b64 s[26:27], s[30:31]
	s_cbranch_execz .LBB6_2519
; %bb.2518:                             ;   in Loop: Header=BB6_138 Depth=3
	v_or_b32_e32 v1, 0x7b, v5
	buffer_store_dword v1, off, s[0:3], s33 offset:656 ; 4-byte Folded Spill
.LBB6_2519:                             ;   in Loop: Header=BB6_138 Depth=3
	s_or_b64 exec, exec, s[26:27]
                                        ; implicit-def: $vgpr3
                                        ; implicit-def: $vgpr1_vgpr2
.LBB6_2520:                             ;   in Loop: Header=BB6_138 Depth=3
	s_andn2_saveexec_b64 s[26:27], s[94:95]
	s_cbranch_execz .LBB6_2526
; %bb.2521:                             ;   in Loop: Header=BB6_138 Depth=3
	v_cmp_ne_u64_e32 vcc, 0, v[1:2]
                                        ; implicit-def: $vgpr1
                                        ; kill: killed $vgpr1
	s_and_saveexec_b64 s[62:63], vcc
	s_xor_b64 s[94:95], exec, s[62:63]
	s_cbranch_execz .LBB6_2523
; %bb.2522:                             ;   in Loop: Header=BB6_138 Depth=3
	v_or_b32_sdwa v1, v3, s44 dst_sel:DWORD dst_unused:UNUSED_PAD src0_sel:BYTE_3 src1_sel:DWORD
	buffer_store_dword v1, off, s[0:3], s33 offset:656 ; 4-byte Folded Spill
                                        ; implicit-def: $vgpr3
.LBB6_2523:                             ;   in Loop: Header=BB6_138 Depth=3
	s_andn2_saveexec_b64 s[94:95], s[94:95]
	s_cbranch_execz .LBB6_2525
; %bb.2524:                             ;   in Loop: Header=BB6_138 Depth=3
	v_cmp_lt_i32_e32 vcc, -1, v3
	v_bfrev_b32_e32 v1, 0.5
	v_mov_b32_e32 v2, 0x7c
	v_cndmask_b32_e32 v1, v1, v2, vcc
	buffer_store_dword v1, off, s[0:3], s33 offset:656 ; 4-byte Folded Spill
.LBB6_2525:                             ;   in Loop: Header=BB6_138 Depth=3
	s_or_b64 exec, exec, s[94:95]
.LBB6_2526:                             ;   in Loop: Header=BB6_138 Depth=3
	s_or_b64 exec, exec, s[26:27]
	v_lshrrev_b16_e32 v1, 8, v0
	v_cmp_ne_u16_e32 vcc, 0, v1
	v_mov_b32_e32 v2, 0
	s_and_saveexec_b64 s[26:27], vcc
	s_cbranch_execz .LBB6_2534
; %bb.2527:                             ;   in Loop: Header=BB6_138 Depth=3
	v_cmp_ne_u16_e32 vcc, s97, v1
	v_bfrev_b32_e32 v2, 1
	s_and_saveexec_b64 s[94:95], vcc
	s_cbranch_execz .LBB6_2533
; %bb.2528:                             ;   in Loop: Header=BB6_138 Depth=3
	v_and_b32_e32 v2, 0x7c, v1
	v_and_b32_e32 v3, 3, v1
	v_cmp_ne_u32_e32 vcc, s86, v2
                                        ; implicit-def: $vgpr2
	s_and_saveexec_b64 s[62:63], vcc
	s_xor_b64 s[30:31], exec, s[62:63]
	s_cbranch_execz .LBB6_2530
; %bb.2529:                             ;   in Loop: Header=BB6_138 Depth=3
	v_ffbh_u32_e32 v5, v3
	v_min_u32_e32 v5, 32, v5
	v_mov_b32_e32 v2, v33
	v_subrev_u32_e32 v6, 29, v5
	v_bfe_u32 v4, v1, 2, 5
	v_lshlrev_b64 v[1:2], v6, v[1:2]
	v_sub_u32_e32 v2, 30, v5
	v_cmp_eq_u32_e32 vcc, 0, v4
	v_lshlrev_b32_e32 v0, 16, v0
	v_and_b32_e32 v1, 3, v1
	v_cndmask_b32_e32 v2, v4, v2, vcc
	v_and_b32_e32 v0, 0x80000000, v0
	v_cndmask_b32_e32 v1, v3, v1, vcc
	v_lshl_add_u32 v0, v2, 23, v0
	v_lshl_or_b32 v0, v1, 21, v0
	v_add_u32_e32 v2, 0x38000000, v0
                                        ; implicit-def: $vgpr3
                                        ; implicit-def: $vgpr0_vgpr1
.LBB6_2530:                             ;   in Loop: Header=BB6_138 Depth=3
	s_andn2_saveexec_b64 s[30:31], s[30:31]
; %bb.2531:                             ;   in Loop: Header=BB6_138 Depth=3
	v_cmp_lt_i16_e32 vcc, -1, v0
	v_mov_b32_e32 v0, 0xff800000
	v_mov_b32_e32 v1, 0x7f800000
	v_cndmask_b32_e32 v0, v0, v1, vcc
	v_cmp_eq_u32_e32 vcc, 0, v3
	v_mov_b32_e32 v1, 0x7f800001
	v_cndmask_b32_e32 v2, v1, v0, vcc
; %bb.2532:                             ;   in Loop: Header=BB6_138 Depth=3
	s_or_b64 exec, exec, s[30:31]
.LBB6_2533:                             ;   in Loop: Header=BB6_138 Depth=3
	s_or_b64 exec, exec, s[94:95]
.LBB6_2534:                             ;   in Loop: Header=BB6_138 Depth=3
	s_or_b64 exec, exec, s[26:27]
	v_mul_f32_e32 v2, v14, v2
	v_and_b32_e32 v3, 0x7f800000, v2
	v_mov_b32_e32 v4, v33
	v_cmp_ne_u64_e32 vcc, s[76:77], v[3:4]
	v_and_b32_e32 v0, 0x7fffff, v2
	v_mov_b32_e32 v1, v33
                                        ; implicit-def: $vgpr3
                                        ; kill: killed $vgpr3
	s_and_saveexec_b64 s[26:27], vcc
	s_xor_b64 s[94:95], exec, s[26:27]
	s_cbranch_execz .LBB6_2548
; %bb.2535:                             ;   in Loop: Header=BB6_138 Depth=3
	v_and_b32_e32 v3, 0x7fffffff, v2
	v_mov_b32_e32 v4, v33
	v_cmp_gt_u64_e32 vcc, s[78:79], v[3:4]
	v_and_b32_sdwa v3, v2, s97 dst_sel:DWORD dst_unused:UNUSED_PAD src0_sel:BYTE_3 src1_sel:DWORD
                                        ; implicit-def: $vgpr4
                                        ; kill: killed $vgpr4
	s_and_saveexec_b64 s[26:27], vcc
	s_xor_b64 s[30:31], exec, s[26:27]
	s_cbranch_execz .LBB6_2545
; %bb.2536:                             ;   in Loop: Header=BB6_138 Depth=3
	v_mov_b32_e32 v4, 0
	v_cmp_ne_u32_e32 vcc, 0, v2
	buffer_store_dword v4, off, s[0:3], s33 offset:660 ; 4-byte Folded Spill
	s_and_saveexec_b64 s[34:35], vcc
	s_cbranch_execz .LBB6_2544
; %bb.2537:                             ;   in Loop: Header=BB6_138 Depth=3
	v_bfe_u32 v5, v2, 23, 8
	v_cmp_gt_u32_e64 s[26:27], s47, v5
	v_sub_u32_e32 v2, 0x71, v5
	v_cmp_eq_u32_e32 vcc, 0, v5
	v_cndmask_b32_e64 v2, 0, v2, s[26:27]
	v_mov_b32_e32 v6, 0x70
	v_cndmask_b32_e32 v6, v2, v6, vcc
	v_add_u32_e32 v2, 21, v6
	v_or_b32_e32 v4, 0x800000, v0
	v_lshlrev_b64 v[15:16], v2, -1
	v_cndmask_b32_e32 v0, v4, v0, vcc
	v_add_u32_e32 v2, 20, v6
	v_bfi_b32 v15, v15, 0, v0
	v_lshlrev_b64 v[17:18], v2, 1
	v_lshrrev_b64 v[0:1], v6, v[0:1]
	v_bfi_b32 v16, v16, 0, 0
	v_cmp_eq_u64_e64 s[26:27], v[15:16], v[17:18]
	v_mov_b32_e32 v2, v1
	v_mov_b32_e32 v1, v0
	s_and_saveexec_b64 s[36:37], s[26:27]
; %bb.2538:                             ;   in Loop: Header=BB6_138 Depth=3
	v_bfe_u32 v1, v0, 21, 1
	v_add_co_u32_e64 v1, s[26:27], v0, v1
	v_add_co_u32_e64 v1, s[26:27], -1, v1
; %bb.2539:                             ;   in Loop: Header=BB6_138 Depth=3
	s_or_b64 exec, exec, s[36:37]
	v_add_u32_e32 v2, 0xffffff81, v5
	v_mov_b32_e32 v4, 0xffffff82
	v_cndmask_b32_e32 v2, v2, v4, vcc
	v_lshrrev_b32_e32 v4, 23, v0
	v_add3_u32 v6, v6, v2, v4
	v_add_u32_e32 v5, 14, v6
	v_and_b32_e32 v1, 0x1fffff, v1
	v_add_u32_e32 v0, v1, v0
	v_mov_b32_e32 v1, v33
	v_cmp_ne_u32_e32 vcc, 0, v5
                                        ; implicit-def: $vgpr2
	s_and_saveexec_b64 s[26:27], vcc
	s_xor_b64 s[26:27], exec, s[26:27]
; %bb.2540:                             ;   in Loop: Header=BB6_138 Depth=3
	v_cmp_lt_u64_e32 vcc, s[88:89], v[0:1]
	v_add_u32_e32 v2, 15, v6
	v_cndmask_b32_e64 v4, 0, 1, vcc
	v_lshrrev_b64 v[0:1], v4, v[0:1]
	v_cndmask_b32_e32 v2, v5, v2, vcc
; %bb.2541:                             ;   in Loop: Header=BB6_138 Depth=3
	s_andn2_saveexec_b64 s[26:27], s[26:27]
; %bb.2542:                             ;   in Loop: Header=BB6_138 Depth=3
	v_bfe_u32 v2, v0, 23, 1
; %bb.2543:                             ;   in Loop: Header=BB6_138 Depth=3
	s_or_b64 exec, exec, s[26:27]
	v_lshrrev_b64 v[0:1], 21, v[0:1]
	v_cmp_gt_i32_e32 vcc, 32, v2
	v_cndmask_b32_e32 v1, 0, v1, vcc
	v_cndmask_b32_e32 v0, 3, v0, vcc
	v_cmp_eq_u64_e64 s[26:27], 0, v[0:1]
	v_min_i32_e32 v1, 31, v2
	v_lshlrev_b32_e32 v1, 2, v1
	v_cmp_eq_u32_e32 vcc, 0, v2
	v_and_b32_e32 v1, 0xfc, v1
	v_and_or_b32 v0, v0, 3, v1
	s_and_b64 s[26:27], vcc, s[26:27]
	v_cndmask_b32_e64 v0, v0, 0, s[26:27]
	v_or_b32_e32 v0, v0, v3
	buffer_store_dword v0, off, s[0:3], s33 offset:660 ; 4-byte Folded Spill
.LBB6_2544:                             ;   in Loop: Header=BB6_138 Depth=3
	s_or_b64 exec, exec, s[34:35]
                                        ; implicit-def: $vgpr3
.LBB6_2545:                             ;   in Loop: Header=BB6_138 Depth=3
	s_andn2_saveexec_b64 s[26:27], s[30:31]
	s_cbranch_execz .LBB6_2547
; %bb.2546:                             ;   in Loop: Header=BB6_138 Depth=3
	v_or_b32_e32 v0, 0x7b, v3
	buffer_store_dword v0, off, s[0:3], s33 offset:660 ; 4-byte Folded Spill
.LBB6_2547:                             ;   in Loop: Header=BB6_138 Depth=3
	s_or_b64 exec, exec, s[26:27]
                                        ; implicit-def: $vgpr2
                                        ; implicit-def: $vgpr0_vgpr1
.LBB6_2548:                             ;   in Loop: Header=BB6_138 Depth=3
	s_andn2_saveexec_b64 s[26:27], s[94:95]
	s_cbranch_execz .LBB6_2554
; %bb.2549:                             ;   in Loop: Header=BB6_138 Depth=3
	v_cmp_ne_u64_e32 vcc, 0, v[0:1]
                                        ; implicit-def: $vgpr0
                                        ; kill: killed $vgpr0
	s_and_saveexec_b64 s[62:63], vcc
	s_xor_b64 s[94:95], exec, s[62:63]
	s_cbranch_execz .LBB6_2551
; %bb.2550:                             ;   in Loop: Header=BB6_138 Depth=3
	v_or_b32_sdwa v0, v2, s44 dst_sel:DWORD dst_unused:UNUSED_PAD src0_sel:BYTE_3 src1_sel:DWORD
	buffer_store_dword v0, off, s[0:3], s33 offset:660 ; 4-byte Folded Spill
                                        ; implicit-def: $vgpr2
.LBB6_2551:                             ;   in Loop: Header=BB6_138 Depth=3
	s_andn2_saveexec_b64 s[94:95], s[94:95]
	s_cbranch_execz .LBB6_2553
; %bb.2552:                             ;   in Loop: Header=BB6_138 Depth=3
	v_cmp_lt_i32_e32 vcc, -1, v2
	v_bfrev_b32_e32 v0, 0.5
	v_mov_b32_e32 v1, 0x7c
	v_cndmask_b32_e32 v0, v0, v1, vcc
	buffer_store_dword v0, off, s[0:3], s33 offset:660 ; 4-byte Folded Spill
.LBB6_2553:                             ;   in Loop: Header=BB6_138 Depth=3
	s_or_b64 exec, exec, s[94:95]
.LBB6_2554:                             ;   in Loop: Header=BB6_138 Depth=3
	s_or_b64 exec, exec, s[26:27]
	v_lshrrev_b32_e32 v0, 16, v9
	v_cmp_ne_u16_sdwa s[62:63], v0, v33 src0_sel:BYTE_0 src1_sel:DWORD
	v_mov_b32_e32 v1, 0
	s_and_saveexec_b64 s[26:27], s[62:63]
	s_cbranch_execz .LBB6_2562
; %bb.2555:                             ;   in Loop: Header=BB6_138 Depth=3
	v_cmp_ne_u16_sdwa s[62:63], v0, s97 src0_sel:BYTE_0 src1_sel:DWORD
	v_bfrev_b32_e32 v1, 1
	s_and_saveexec_b64 s[94:95], s[62:63]
	s_cbranch_execz .LBB6_2561
; %bb.2556:                             ;   in Loop: Header=BB6_138 Depth=3
	v_and_b32_e32 v1, 0x7c0000, v9
	v_bfe_u32 v2, v9, 16, 2
	v_cmp_ne_u32_e32 vcc, s45, v1
                                        ; implicit-def: $vgpr1
	s_and_saveexec_b64 s[62:63], vcc
	s_xor_b64 s[30:31], exec, s[62:63]
	s_cbranch_execz .LBB6_2558
; %bb.2557:                             ;   in Loop: Header=BB6_138 Depth=3
	v_ffbh_u32_e32 v1, v2
	v_min_u32_e32 v4, 32, v1
	v_subrev_u32_e32 v1, 29, v4
	v_lshlrev_b64 v[0:1], v1, v[0:1]
	v_bfe_u32 v3, v9, 18, 5
	v_and_b32_e32 v0, 3, v0
	v_cmp_eq_u32_e32 vcc, 0, v3
	v_sub_u32_e32 v1, 30, v4
	v_cndmask_b32_e32 v0, v2, v0, vcc
	v_lshlrev_b32_e32 v2, 8, v9
	v_cndmask_b32_e32 v1, v3, v1, vcc
	v_and_b32_e32 v2, 0x80000000, v2
	v_lshl_add_u32 v1, v1, 23, v2
	v_lshl_or_b32 v0, v0, 21, v1
	v_add_u32_e32 v1, 0x38000000, v0
                                        ; implicit-def: $vgpr2
                                        ; implicit-def: $vgpr0
.LBB6_2558:                             ;   in Loop: Header=BB6_138 Depth=3
	s_andn2_saveexec_b64 s[30:31], s[30:31]
; %bb.2559:                             ;   in Loop: Header=BB6_138 Depth=3
	v_mov_b32_e32 v1, -1
	v_cmp_gt_i16_sdwa vcc, sext(v0), v1 src0_sel:BYTE_0 src1_sel:DWORD
	v_mov_b32_e32 v0, 0xff800000
	v_mov_b32_e32 v1, 0x7f800000
	v_cndmask_b32_e32 v0, v0, v1, vcc
	v_cmp_eq_u32_e32 vcc, 0, v2
	v_mov_b32_e32 v1, 0x7f800001
	v_cndmask_b32_e32 v1, v1, v0, vcc
; %bb.2560:                             ;   in Loop: Header=BB6_138 Depth=3
	s_or_b64 exec, exec, s[30:31]
.LBB6_2561:                             ;   in Loop: Header=BB6_138 Depth=3
	s_or_b64 exec, exec, s[94:95]
.LBB6_2562:                             ;   in Loop: Header=BB6_138 Depth=3
	s_or_b64 exec, exec, s[26:27]
	v_mul_f32_e32 v2, v14, v1
	v_and_b32_e32 v3, 0x7f800000, v2
	v_mov_b32_e32 v4, v33
	v_cmp_ne_u64_e32 vcc, s[76:77], v[3:4]
	v_and_b32_e32 v0, 0x7fffff, v2
	v_mov_b32_e32 v1, v33
                                        ; implicit-def: $vgpr3
                                        ; kill: killed $vgpr3
	s_and_saveexec_b64 s[26:27], vcc
	s_xor_b64 s[94:95], exec, s[26:27]
	s_cbranch_execz .LBB6_2576
; %bb.2563:                             ;   in Loop: Header=BB6_138 Depth=3
	v_and_b32_e32 v3, 0x7fffffff, v2
	v_mov_b32_e32 v4, v33
	v_cmp_gt_u64_e32 vcc, s[78:79], v[3:4]
	v_and_b32_sdwa v3, v2, s97 dst_sel:DWORD dst_unused:UNUSED_PAD src0_sel:BYTE_3 src1_sel:DWORD
                                        ; implicit-def: $vgpr4
                                        ; kill: killed $vgpr4
	s_and_saveexec_b64 s[26:27], vcc
	s_xor_b64 s[30:31], exec, s[26:27]
	s_cbranch_execz .LBB6_2573
; %bb.2564:                             ;   in Loop: Header=BB6_138 Depth=3
	v_mov_b32_e32 v4, 0
	v_cmp_ne_u32_e32 vcc, 0, v2
	buffer_store_dword v4, off, s[0:3], s33 offset:664 ; 4-byte Folded Spill
	s_and_saveexec_b64 s[34:35], vcc
	s_cbranch_execz .LBB6_2572
; %bb.2565:                             ;   in Loop: Header=BB6_138 Depth=3
	v_bfe_u32 v5, v2, 23, 8
	v_cmp_gt_u32_e64 s[26:27], s47, v5
	v_sub_u32_e32 v2, 0x71, v5
	v_cmp_eq_u32_e32 vcc, 0, v5
	v_cndmask_b32_e64 v2, 0, v2, s[26:27]
	v_mov_b32_e32 v6, 0x70
	v_cndmask_b32_e32 v6, v2, v6, vcc
	v_add_u32_e32 v2, 21, v6
	v_or_b32_e32 v4, 0x800000, v0
	v_lshlrev_b64 v[16:17], v2, -1
	v_cndmask_b32_e32 v0, v4, v0, vcc
	v_add_u32_e32 v2, 20, v6
	v_bfi_b32 v16, v16, 0, v0
	v_lshlrev_b64 v[18:19], v2, 1
	v_lshrrev_b64 v[0:1], v6, v[0:1]
	v_bfi_b32 v17, v17, 0, 0
	v_cmp_eq_u64_e64 s[26:27], v[16:17], v[18:19]
	v_mov_b32_e32 v2, v1
	v_mov_b32_e32 v1, v0
	s_and_saveexec_b64 s[36:37], s[26:27]
; %bb.2566:                             ;   in Loop: Header=BB6_138 Depth=3
	v_bfe_u32 v1, v0, 21, 1
	v_add_co_u32_e64 v1, s[26:27], v0, v1
	v_add_co_u32_e64 v1, s[26:27], -1, v1
; %bb.2567:                             ;   in Loop: Header=BB6_138 Depth=3
	s_or_b64 exec, exec, s[36:37]
	v_add_u32_e32 v2, 0xffffff81, v5
	v_mov_b32_e32 v4, 0xffffff82
	v_cndmask_b32_e32 v2, v2, v4, vcc
	v_lshrrev_b32_e32 v4, 23, v0
	v_add3_u32 v6, v6, v2, v4
	v_add_u32_e32 v5, 14, v6
	v_and_b32_e32 v1, 0x1fffff, v1
	v_add_u32_e32 v0, v1, v0
	v_mov_b32_e32 v1, v33
	v_cmp_ne_u32_e32 vcc, 0, v5
                                        ; implicit-def: $vgpr2
	s_and_saveexec_b64 s[26:27], vcc
	s_xor_b64 s[26:27], exec, s[26:27]
; %bb.2568:                             ;   in Loop: Header=BB6_138 Depth=3
	v_cmp_lt_u64_e32 vcc, s[88:89], v[0:1]
	v_add_u32_e32 v2, 15, v6
	v_cndmask_b32_e64 v4, 0, 1, vcc
	v_lshrrev_b64 v[0:1], v4, v[0:1]
	v_cndmask_b32_e32 v2, v5, v2, vcc
; %bb.2569:                             ;   in Loop: Header=BB6_138 Depth=3
	s_andn2_saveexec_b64 s[26:27], s[26:27]
; %bb.2570:                             ;   in Loop: Header=BB6_138 Depth=3
	v_bfe_u32 v2, v0, 23, 1
; %bb.2571:                             ;   in Loop: Header=BB6_138 Depth=3
	s_or_b64 exec, exec, s[26:27]
	v_lshrrev_b64 v[0:1], 21, v[0:1]
	v_cmp_gt_i32_e32 vcc, 32, v2
	v_cndmask_b32_e32 v1, 0, v1, vcc
	v_cndmask_b32_e32 v0, 3, v0, vcc
	v_cmp_eq_u64_e64 s[26:27], 0, v[0:1]
	v_min_i32_e32 v1, 31, v2
	v_lshlrev_b32_e32 v1, 2, v1
	v_cmp_eq_u32_e32 vcc, 0, v2
	v_and_b32_e32 v1, 0xfc, v1
	v_and_or_b32 v0, v0, 3, v1
	s_and_b64 s[26:27], vcc, s[26:27]
	v_cndmask_b32_e64 v0, v0, 0, s[26:27]
	v_or_b32_e32 v0, v0, v3
	buffer_store_dword v0, off, s[0:3], s33 offset:664 ; 4-byte Folded Spill
.LBB6_2572:                             ;   in Loop: Header=BB6_138 Depth=3
	s_or_b64 exec, exec, s[34:35]
                                        ; implicit-def: $vgpr3
.LBB6_2573:                             ;   in Loop: Header=BB6_138 Depth=3
	s_andn2_saveexec_b64 s[26:27], s[30:31]
	s_cbranch_execz .LBB6_2575
; %bb.2574:                             ;   in Loop: Header=BB6_138 Depth=3
	v_or_b32_e32 v0, 0x7b, v3
	buffer_store_dword v0, off, s[0:3], s33 offset:664 ; 4-byte Folded Spill
.LBB6_2575:                             ;   in Loop: Header=BB6_138 Depth=3
	s_or_b64 exec, exec, s[26:27]
                                        ; implicit-def: $vgpr2
                                        ; implicit-def: $vgpr0_vgpr1
.LBB6_2576:                             ;   in Loop: Header=BB6_138 Depth=3
	s_andn2_saveexec_b64 s[26:27], s[94:95]
	s_cbranch_execz .LBB6_2582
; %bb.2577:                             ;   in Loop: Header=BB6_138 Depth=3
	v_cmp_ne_u64_e32 vcc, 0, v[0:1]
                                        ; implicit-def: $vgpr0
                                        ; kill: killed $vgpr0
	s_and_saveexec_b64 s[62:63], vcc
	s_xor_b64 s[94:95], exec, s[62:63]
	s_cbranch_execz .LBB6_2579
; %bb.2578:                             ;   in Loop: Header=BB6_138 Depth=3
	v_or_b32_sdwa v0, v2, s44 dst_sel:DWORD dst_unused:UNUSED_PAD src0_sel:BYTE_3 src1_sel:DWORD
	buffer_store_dword v0, off, s[0:3], s33 offset:664 ; 4-byte Folded Spill
                                        ; implicit-def: $vgpr2
.LBB6_2579:                             ;   in Loop: Header=BB6_138 Depth=3
	s_andn2_saveexec_b64 s[94:95], s[94:95]
	s_cbranch_execz .LBB6_2581
; %bb.2580:                             ;   in Loop: Header=BB6_138 Depth=3
	v_cmp_lt_i32_e32 vcc, -1, v2
	v_bfrev_b32_e32 v0, 0.5
	v_mov_b32_e32 v1, 0x7c
	v_cndmask_b32_e32 v0, v0, v1, vcc
	buffer_store_dword v0, off, s[0:3], s33 offset:664 ; 4-byte Folded Spill
.LBB6_2581:                             ;   in Loop: Header=BB6_138 Depth=3
	s_or_b64 exec, exec, s[94:95]
.LBB6_2582:                             ;   in Loop: Header=BB6_138 Depth=3
	s_or_b64 exec, exec, s[26:27]
	v_cmp_lt_u64_e32 vcc, s[56:57], v[8:9]
	v_mov_b32_e32 v1, 0
	s_and_saveexec_b64 s[26:27], vcc
	s_cbranch_execz .LBB6_2590
; %bb.2583:                             ;   in Loop: Header=BB6_138 Depth=3
	v_lshrrev_b32_e32 v0, 24, v9
	v_cmp_ne_u32_e32 vcc, s97, v0
	v_bfrev_b32_e32 v1, 1
	s_and_saveexec_b64 s[94:95], vcc
	s_cbranch_execz .LBB6_2589
; %bb.2584:                             ;   in Loop: Header=BB6_138 Depth=3
	v_and_b32_e32 v1, 0x7c000000, v9
	v_bfe_u32 v2, v9, 24, 2
	v_cmp_ne_u32_e32 vcc, s68, v1
                                        ; implicit-def: $vgpr1
	s_and_saveexec_b64 s[62:63], vcc
	s_xor_b64 s[30:31], exec, s[62:63]
	s_cbranch_execz .LBB6_2586
; %bb.2585:                             ;   in Loop: Header=BB6_138 Depth=3
	v_ffbh_u32_e32 v1, v2
	v_min_u32_e32 v4, 32, v1
	v_subrev_u32_e32 v1, 29, v4
	v_lshlrev_b64 v[0:1], v1, v[0:1]
	v_bfe_u32 v3, v9, 26, 5
	v_sub_u32_e32 v1, 30, v4
	v_and_b32_e32 v0, 3, v0
	v_cmp_eq_u32_e32 vcc, 0, v3
	v_cndmask_b32_e32 v1, v3, v1, vcc
	v_cndmask_b32_e32 v0, v2, v0, vcc
	v_and_b32_e32 v2, 0x80000000, v9
	v_lshl_add_u32 v1, v1, 23, v2
	v_lshl_or_b32 v0, v0, 21, v1
	v_add_u32_e32 v1, 0x38000000, v0
                                        ; implicit-def: $vgpr2
.LBB6_2586:                             ;   in Loop: Header=BB6_138 Depth=3
	s_andn2_saveexec_b64 s[30:31], s[30:31]
; %bb.2587:                             ;   in Loop: Header=BB6_138 Depth=3
	v_cmp_lt_i64_e32 vcc, -1, v[8:9]
	v_mov_b32_e32 v0, 0xff800000
	v_mov_b32_e32 v1, 0x7f800000
	v_cndmask_b32_e32 v0, v0, v1, vcc
	v_cmp_eq_u32_e32 vcc, 0, v2
	v_mov_b32_e32 v1, 0x7f800001
	v_cndmask_b32_e32 v1, v1, v0, vcc
; %bb.2588:                             ;   in Loop: Header=BB6_138 Depth=3
	s_or_b64 exec, exec, s[30:31]
.LBB6_2589:                             ;   in Loop: Header=BB6_138 Depth=3
	s_or_b64 exec, exec, s[94:95]
.LBB6_2590:                             ;   in Loop: Header=BB6_138 Depth=3
	s_or_b64 exec, exec, s[26:27]
	v_mul_f32_e32 v2, v14, v1
	v_and_b32_e32 v5, 0x7f800000, v2
	v_mov_b32_e32 v6, v33
	v_cmp_ne_u64_e32 vcc, s[76:77], v[5:6]
	v_and_b32_e32 v0, 0x7fffff, v2
	v_mov_b32_e32 v1, v33
                                        ; implicit-def: $vgpr3
                                        ; kill: killed $vgpr3
	s_and_saveexec_b64 s[26:27], vcc
	s_xor_b64 s[94:95], exec, s[26:27]
	s_cbranch_execz .LBB6_2604
; %bb.2591:                             ;   in Loop: Header=BB6_138 Depth=3
	v_and_b32_e32 v5, 0x7fffffff, v2
	v_mov_b32_e32 v6, v33
	v_cmp_gt_u64_e32 vcc, s[78:79], v[5:6]
	v_and_b32_sdwa v3, v2, s97 dst_sel:DWORD dst_unused:UNUSED_PAD src0_sel:BYTE_3 src1_sel:DWORD
                                        ; implicit-def: $vgpr4
                                        ; kill: killed $vgpr4
	s_and_saveexec_b64 s[26:27], vcc
	s_xor_b64 s[30:31], exec, s[26:27]
	s_cbranch_execz .LBB6_2601
; %bb.2592:                             ;   in Loop: Header=BB6_138 Depth=3
	v_mov_b32_e32 v4, 0
	v_cmp_ne_u32_e32 vcc, 0, v2
	buffer_store_dword v4, off, s[0:3], s33 offset:668 ; 4-byte Folded Spill
	s_and_saveexec_b64 s[34:35], vcc
	s_cbranch_execz .LBB6_2600
; %bb.2593:                             ;   in Loop: Header=BB6_138 Depth=3
	v_bfe_u32 v5, v2, 23, 8
	v_cmp_gt_u32_e64 s[26:27], s47, v5
	v_sub_u32_e32 v2, 0x71, v5
	v_cmp_eq_u32_e32 vcc, 0, v5
	v_cndmask_b32_e64 v2, 0, v2, s[26:27]
	v_mov_b32_e32 v6, 0x70
	v_cndmask_b32_e32 v6, v2, v6, vcc
	v_add_u32_e32 v2, 21, v6
	v_or_b32_e32 v4, 0x800000, v0
	v_lshlrev_b64 v[7:8], v2, -1
	v_cndmask_b32_e32 v0, v4, v0, vcc
	v_add_u32_e32 v2, 20, v6
	v_bfi_b32 v7, v7, 0, v0
	v_lshlrev_b64 v[16:17], v2, 1
	v_lshrrev_b64 v[0:1], v6, v[0:1]
	v_bfi_b32 v8, v8, 0, 0
	v_cmp_eq_u64_e64 s[26:27], v[7:8], v[16:17]
	v_mov_b32_e32 v2, v1
	v_mov_b32_e32 v1, v0
	s_and_saveexec_b64 s[36:37], s[26:27]
; %bb.2594:                             ;   in Loop: Header=BB6_138 Depth=3
	v_bfe_u32 v1, v0, 21, 1
	v_add_co_u32_e64 v1, s[26:27], v0, v1
	v_add_co_u32_e64 v1, s[26:27], -1, v1
; %bb.2595:                             ;   in Loop: Header=BB6_138 Depth=3
	s_or_b64 exec, exec, s[36:37]
	v_add_u32_e32 v2, 0xffffff81, v5
	v_mov_b32_e32 v4, 0xffffff82
	v_cndmask_b32_e32 v2, v2, v4, vcc
	v_lshrrev_b32_e32 v4, 23, v0
	v_add3_u32 v6, v6, v2, v4
	v_add_u32_e32 v5, 14, v6
	v_and_b32_e32 v1, 0x1fffff, v1
	v_add_u32_e32 v0, v1, v0
	v_mov_b32_e32 v1, v33
	v_cmp_ne_u32_e32 vcc, 0, v5
                                        ; implicit-def: $vgpr2
	s_and_saveexec_b64 s[26:27], vcc
	s_xor_b64 s[26:27], exec, s[26:27]
; %bb.2596:                             ;   in Loop: Header=BB6_138 Depth=3
	v_cmp_lt_u64_e32 vcc, s[88:89], v[0:1]
	v_add_u32_e32 v2, 15, v6
	v_cndmask_b32_e64 v4, 0, 1, vcc
	v_lshrrev_b64 v[0:1], v4, v[0:1]
	v_cndmask_b32_e32 v2, v5, v2, vcc
; %bb.2597:                             ;   in Loop: Header=BB6_138 Depth=3
	s_andn2_saveexec_b64 s[26:27], s[26:27]
; %bb.2598:                             ;   in Loop: Header=BB6_138 Depth=3
	v_bfe_u32 v2, v0, 23, 1
; %bb.2599:                             ;   in Loop: Header=BB6_138 Depth=3
	s_or_b64 exec, exec, s[26:27]
	v_lshrrev_b64 v[0:1], 21, v[0:1]
	v_cmp_gt_i32_e32 vcc, 32, v2
	v_cndmask_b32_e32 v1, 0, v1, vcc
	v_cndmask_b32_e32 v0, 3, v0, vcc
	v_cmp_eq_u64_e64 s[26:27], 0, v[0:1]
	v_min_i32_e32 v1, 31, v2
	v_lshlrev_b32_e32 v1, 2, v1
	v_cmp_eq_u32_e32 vcc, 0, v2
	v_and_b32_e32 v1, 0xfc, v1
	v_and_or_b32 v0, v0, 3, v1
	s_and_b64 s[26:27], vcc, s[26:27]
	v_cndmask_b32_e64 v0, v0, 0, s[26:27]
	v_or_b32_e32 v0, v0, v3
	buffer_store_dword v0, off, s[0:3], s33 offset:668 ; 4-byte Folded Spill
.LBB6_2600:                             ;   in Loop: Header=BB6_138 Depth=3
	s_or_b64 exec, exec, s[34:35]
                                        ; implicit-def: $vgpr3
.LBB6_2601:                             ;   in Loop: Header=BB6_138 Depth=3
	s_andn2_saveexec_b64 s[26:27], s[30:31]
	s_cbranch_execz .LBB6_2603
; %bb.2602:                             ;   in Loop: Header=BB6_138 Depth=3
	v_or_b32_e32 v0, 0x7b, v3
	buffer_store_dword v0, off, s[0:3], s33 offset:668 ; 4-byte Folded Spill
.LBB6_2603:                             ;   in Loop: Header=BB6_138 Depth=3
	s_or_b64 exec, exec, s[26:27]
                                        ; implicit-def: $vgpr2
                                        ; implicit-def: $vgpr0_vgpr1
.LBB6_2604:                             ;   in Loop: Header=BB6_138 Depth=3
	s_andn2_saveexec_b64 s[26:27], s[94:95]
	s_cbranch_execz .LBB6_2610
; %bb.2605:                             ;   in Loop: Header=BB6_138 Depth=3
	v_cmp_ne_u64_e32 vcc, 0, v[0:1]
                                        ; implicit-def: $vgpr0
                                        ; kill: killed $vgpr0
	s_and_saveexec_b64 s[62:63], vcc
	s_xor_b64 s[94:95], exec, s[62:63]
	s_cbranch_execz .LBB6_2607
; %bb.2606:                             ;   in Loop: Header=BB6_138 Depth=3
	v_or_b32_sdwa v0, v2, s44 dst_sel:DWORD dst_unused:UNUSED_PAD src0_sel:BYTE_3 src1_sel:DWORD
	buffer_store_dword v0, off, s[0:3], s33 offset:668 ; 4-byte Folded Spill
                                        ; implicit-def: $vgpr2
.LBB6_2607:                             ;   in Loop: Header=BB6_138 Depth=3
	s_andn2_saveexec_b64 s[94:95], s[94:95]
	s_cbranch_execz .LBB6_2609
; %bb.2608:                             ;   in Loop: Header=BB6_138 Depth=3
	v_cmp_lt_i32_e32 vcc, -1, v2
	v_bfrev_b32_e32 v0, 0.5
	v_mov_b32_e32 v1, 0x7c
	v_cndmask_b32_e32 v0, v0, v1, vcc
	buffer_store_dword v0, off, s[0:3], s33 offset:668 ; 4-byte Folded Spill
.LBB6_2609:                             ;   in Loop: Header=BB6_138 Depth=3
	s_or_b64 exec, exec, s[94:95]
.LBB6_2610:                             ;   in Loop: Header=BB6_138 Depth=3
	s_or_b64 exec, exec, s[26:27]
	v_cmp_ne_u16_sdwa s[62:63], v10, v33 src0_sel:BYTE_0 src1_sel:DWORD
	v_mov_b32_e32 v0, 0
	s_and_saveexec_b64 s[26:27], s[62:63]
	s_cbranch_execz .LBB6_2618
; %bb.2611:                             ;   in Loop: Header=BB6_138 Depth=3
	v_cmp_ne_u16_sdwa s[62:63], sext(v10), s46 src0_sel:BYTE_0 src1_sel:DWORD
	v_bfrev_b32_e32 v0, 1
	s_and_saveexec_b64 s[94:95], s[62:63]
	s_cbranch_execz .LBB6_2617
; %bb.2612:                             ;   in Loop: Header=BB6_138 Depth=3
	v_and_b32_e32 v0, 0x7c, v10
	v_and_b32_e32 v1, 3, v10
	v_cmp_ne_u32_e32 vcc, s86, v0
                                        ; implicit-def: $vgpr0
	s_and_saveexec_b64 s[62:63], vcc
	s_xor_b64 s[30:31], exec, s[62:63]
	s_cbranch_execz .LBB6_2614
; %bb.2613:                             ;   in Loop: Header=BB6_138 Depth=3
	v_ffbh_u32_e32 v2, v1
	v_min_u32_e32 v4, 32, v2
	v_subrev_u32_e32 v2, 29, v4
	v_lshlrev_b64 v[2:3], v2, v[10:11]
	v_bfe_u32 v0, v10, 2, 5
	v_and_b32_e32 v2, 3, v2
	v_cmp_eq_u32_e32 vcc, 0, v0
	v_sub_u32_e32 v3, 30, v4
	v_cndmask_b32_e32 v1, v1, v2, vcc
	v_lshlrev_b32_e32 v2, 24, v10
	v_cndmask_b32_e32 v0, v0, v3, vcc
	v_and_b32_e32 v2, 0x80000000, v2
	v_lshl_add_u32 v0, v0, 23, v2
	v_lshl_or_b32 v0, v1, 21, v0
	v_add_u32_e32 v0, 0x38000000, v0
                                        ; implicit-def: $vgpr1
.LBB6_2614:                             ;   in Loop: Header=BB6_138 Depth=3
	s_andn2_saveexec_b64 s[30:31], s[30:31]
; %bb.2615:                             ;   in Loop: Header=BB6_138 Depth=3
	v_mov_b32_e32 v0, -1
	v_cmp_gt_i16_sdwa vcc, sext(v10), v0 src0_sel:BYTE_0 src1_sel:DWORD
	v_mov_b32_e32 v0, 0xff800000
	v_mov_b32_e32 v2, 0x7f800000
	v_cndmask_b32_e32 v0, v0, v2, vcc
	v_cmp_eq_u32_e32 vcc, 0, v1
	v_mov_b32_e32 v1, 0x7f800001
	v_cndmask_b32_e32 v0, v1, v0, vcc
; %bb.2616:                             ;   in Loop: Header=BB6_138 Depth=3
	s_or_b64 exec, exec, s[30:31]
.LBB6_2617:                             ;   in Loop: Header=BB6_138 Depth=3
	s_or_b64 exec, exec, s[94:95]
.LBB6_2618:                             ;   in Loop: Header=BB6_138 Depth=3
	s_or_b64 exec, exec, s[26:27]
	v_mul_f32_e32 v2, v14, v0
	v_and_b32_e32 v5, 0x7f800000, v2
	v_mov_b32_e32 v6, v33
	v_cmp_ne_u64_e32 vcc, s[76:77], v[5:6]
	v_and_b32_e32 v0, 0x7fffff, v2
	v_mov_b32_e32 v1, v33
                                        ; implicit-def: $vgpr3
                                        ; kill: killed $vgpr3
	s_and_saveexec_b64 s[26:27], vcc
	s_xor_b64 s[94:95], exec, s[26:27]
	s_cbranch_execz .LBB6_2632
; %bb.2619:                             ;   in Loop: Header=BB6_138 Depth=3
	v_and_b32_e32 v5, 0x7fffffff, v2
	v_mov_b32_e32 v6, v33
	v_cmp_gt_u64_e32 vcc, s[78:79], v[5:6]
	v_and_b32_sdwa v3, v2, s97 dst_sel:DWORD dst_unused:UNUSED_PAD src0_sel:BYTE_3 src1_sel:DWORD
                                        ; implicit-def: $vgpr4
                                        ; kill: killed $vgpr4
	s_and_saveexec_b64 s[26:27], vcc
	s_xor_b64 s[30:31], exec, s[26:27]
	s_cbranch_execz .LBB6_2629
; %bb.2620:                             ;   in Loop: Header=BB6_138 Depth=3
	v_mov_b32_e32 v4, 0
	v_cmp_ne_u32_e32 vcc, 0, v2
	buffer_store_dword v4, off, s[0:3], s33 offset:672 ; 4-byte Folded Spill
	s_and_saveexec_b64 s[34:35], vcc
	s_cbranch_execz .LBB6_2628
; %bb.2621:                             ;   in Loop: Header=BB6_138 Depth=3
	v_bfe_u32 v5, v2, 23, 8
	v_cmp_gt_u32_e64 s[26:27], s47, v5
	v_sub_u32_e32 v2, 0x71, v5
	v_cmp_eq_u32_e32 vcc, 0, v5
	v_cndmask_b32_e64 v2, 0, v2, s[26:27]
	v_mov_b32_e32 v6, 0x70
	v_cndmask_b32_e32 v6, v2, v6, vcc
	v_add_u32_e32 v2, 21, v6
	v_or_b32_e32 v4, 0x800000, v0
	v_lshlrev_b64 v[7:8], v2, -1
	v_cndmask_b32_e32 v0, v4, v0, vcc
	v_add_u32_e32 v2, 20, v6
	v_bfi_b32 v7, v7, 0, v0
	v_lshlrev_b64 v[16:17], v2, 1
	v_lshrrev_b64 v[0:1], v6, v[0:1]
	v_bfi_b32 v8, v8, 0, 0
	v_cmp_eq_u64_e64 s[26:27], v[7:8], v[16:17]
	v_mov_b32_e32 v2, v1
	v_mov_b32_e32 v1, v0
	s_and_saveexec_b64 s[36:37], s[26:27]
; %bb.2622:                             ;   in Loop: Header=BB6_138 Depth=3
	v_bfe_u32 v1, v0, 21, 1
	v_add_co_u32_e64 v1, s[26:27], v0, v1
	v_add_co_u32_e64 v1, s[26:27], -1, v1
; %bb.2623:                             ;   in Loop: Header=BB6_138 Depth=3
	s_or_b64 exec, exec, s[36:37]
	v_add_u32_e32 v2, 0xffffff81, v5
	v_mov_b32_e32 v4, 0xffffff82
	v_cndmask_b32_e32 v2, v2, v4, vcc
	v_lshrrev_b32_e32 v4, 23, v0
	v_add3_u32 v6, v6, v2, v4
	v_add_u32_e32 v5, 14, v6
	v_and_b32_e32 v1, 0x1fffff, v1
	v_add_u32_e32 v0, v1, v0
	v_mov_b32_e32 v1, v33
	v_cmp_ne_u32_e32 vcc, 0, v5
                                        ; implicit-def: $vgpr2
	s_and_saveexec_b64 s[26:27], vcc
	s_xor_b64 s[26:27], exec, s[26:27]
; %bb.2624:                             ;   in Loop: Header=BB6_138 Depth=3
	v_cmp_lt_u64_e32 vcc, s[88:89], v[0:1]
	v_add_u32_e32 v2, 15, v6
	v_cndmask_b32_e64 v4, 0, 1, vcc
	v_lshrrev_b64 v[0:1], v4, v[0:1]
	v_cndmask_b32_e32 v2, v5, v2, vcc
; %bb.2625:                             ;   in Loop: Header=BB6_138 Depth=3
	s_andn2_saveexec_b64 s[26:27], s[26:27]
; %bb.2626:                             ;   in Loop: Header=BB6_138 Depth=3
	v_bfe_u32 v2, v0, 23, 1
; %bb.2627:                             ;   in Loop: Header=BB6_138 Depth=3
	s_or_b64 exec, exec, s[26:27]
	v_lshrrev_b64 v[0:1], 21, v[0:1]
	v_cmp_gt_i32_e32 vcc, 32, v2
	v_cndmask_b32_e32 v1, 0, v1, vcc
	v_cndmask_b32_e32 v0, 3, v0, vcc
	v_cmp_eq_u64_e64 s[26:27], 0, v[0:1]
	v_min_i32_e32 v1, 31, v2
	v_lshlrev_b32_e32 v1, 2, v1
	v_cmp_eq_u32_e32 vcc, 0, v2
	v_and_b32_e32 v1, 0xfc, v1
	v_and_or_b32 v0, v0, 3, v1
	s_and_b64 s[26:27], vcc, s[26:27]
	v_cndmask_b32_e64 v0, v0, 0, s[26:27]
	v_or_b32_e32 v0, v0, v3
	buffer_store_dword v0, off, s[0:3], s33 offset:672 ; 4-byte Folded Spill
.LBB6_2628:                             ;   in Loop: Header=BB6_138 Depth=3
	s_or_b64 exec, exec, s[34:35]
                                        ; implicit-def: $vgpr3
.LBB6_2629:                             ;   in Loop: Header=BB6_138 Depth=3
	s_andn2_saveexec_b64 s[26:27], s[30:31]
	s_cbranch_execz .LBB6_2631
; %bb.2630:                             ;   in Loop: Header=BB6_138 Depth=3
	v_or_b32_e32 v0, 0x7b, v3
	buffer_store_dword v0, off, s[0:3], s33 offset:672 ; 4-byte Folded Spill
.LBB6_2631:                             ;   in Loop: Header=BB6_138 Depth=3
	s_or_b64 exec, exec, s[26:27]
                                        ; implicit-def: $vgpr2
                                        ; implicit-def: $vgpr0_vgpr1
.LBB6_2632:                             ;   in Loop: Header=BB6_138 Depth=3
	s_andn2_saveexec_b64 s[26:27], s[94:95]
	s_cbranch_execz .LBB6_2638
; %bb.2633:                             ;   in Loop: Header=BB6_138 Depth=3
	v_cmp_ne_u64_e32 vcc, 0, v[0:1]
                                        ; implicit-def: $vgpr0
                                        ; kill: killed $vgpr0
	s_and_saveexec_b64 s[62:63], vcc
	s_xor_b64 s[94:95], exec, s[62:63]
	s_cbranch_execz .LBB6_2635
; %bb.2634:                             ;   in Loop: Header=BB6_138 Depth=3
	v_or_b32_sdwa v0, v2, s44 dst_sel:DWORD dst_unused:UNUSED_PAD src0_sel:BYTE_3 src1_sel:DWORD
	buffer_store_dword v0, off, s[0:3], s33 offset:672 ; 4-byte Folded Spill
                                        ; implicit-def: $vgpr2
.LBB6_2635:                             ;   in Loop: Header=BB6_138 Depth=3
	s_andn2_saveexec_b64 s[94:95], s[94:95]
	s_cbranch_execz .LBB6_2637
; %bb.2636:                             ;   in Loop: Header=BB6_138 Depth=3
	v_cmp_lt_i32_e32 vcc, -1, v2
	v_bfrev_b32_e32 v0, 0.5
	v_mov_b32_e32 v1, 0x7c
	v_cndmask_b32_e32 v0, v0, v1, vcc
	buffer_store_dword v0, off, s[0:3], s33 offset:672 ; 4-byte Folded Spill
.LBB6_2637:                             ;   in Loop: Header=BB6_138 Depth=3
	s_or_b64 exec, exec, s[94:95]
.LBB6_2638:                             ;   in Loop: Header=BB6_138 Depth=3
	s_or_b64 exec, exec, s[26:27]
	v_lshrrev_b16_e32 v0, 8, v10
	v_cmp_ne_u16_e32 vcc, 0, v0
	v_mov_b32_e32 v1, 0
	s_and_saveexec_b64 s[26:27], vcc
	s_cbranch_execz .LBB6_2646
; %bb.2639:                             ;   in Loop: Header=BB6_138 Depth=3
	v_cmp_ne_u16_e32 vcc, s97, v0
	v_bfrev_b32_e32 v1, 1
	s_and_saveexec_b64 s[94:95], vcc
	s_cbranch_execz .LBB6_2645
; %bb.2640:                             ;   in Loop: Header=BB6_138 Depth=3
	v_and_b32_e32 v1, 0x7c, v0
	v_and_b32_e32 v2, 3, v0
	v_cmp_ne_u32_e32 vcc, s86, v1
                                        ; implicit-def: $vgpr1
	s_and_saveexec_b64 s[62:63], vcc
	s_xor_b64 s[30:31], exec, s[62:63]
	s_cbranch_execz .LBB6_2642
; %bb.2641:                             ;   in Loop: Header=BB6_138 Depth=3
	v_ffbh_u32_e32 v4, v2
	v_min_u32_e32 v4, 32, v4
	v_mov_b32_e32 v1, v33
	v_subrev_u32_e32 v5, 29, v4
	v_bfe_u32 v3, v0, 2, 5
	v_lshlrev_b64 v[0:1], v5, v[0:1]
	v_cmp_eq_u32_e32 vcc, 0, v3
	v_and_b32_e32 v0, 3, v0
	v_sub_u32_e32 v1, 30, v4
	v_cndmask_b32_e32 v0, v2, v0, vcc
	v_lshlrev_b32_e32 v2, 16, v10
	v_cndmask_b32_e32 v1, v3, v1, vcc
	v_and_b32_e32 v2, 0x80000000, v2
	v_lshl_add_u32 v1, v1, 23, v2
	v_lshl_or_b32 v0, v0, 21, v1
	v_add_u32_e32 v1, 0x38000000, v0
                                        ; implicit-def: $vgpr2
.LBB6_2642:                             ;   in Loop: Header=BB6_138 Depth=3
	s_andn2_saveexec_b64 s[30:31], s[30:31]
; %bb.2643:                             ;   in Loop: Header=BB6_138 Depth=3
	v_cmp_lt_i16_e32 vcc, -1, v10
	v_mov_b32_e32 v0, 0xff800000
	v_mov_b32_e32 v1, 0x7f800000
	v_cndmask_b32_e32 v0, v0, v1, vcc
	v_cmp_eq_u32_e32 vcc, 0, v2
	v_mov_b32_e32 v1, 0x7f800001
	v_cndmask_b32_e32 v1, v1, v0, vcc
; %bb.2644:                             ;   in Loop: Header=BB6_138 Depth=3
	s_or_b64 exec, exec, s[30:31]
.LBB6_2645:                             ;   in Loop: Header=BB6_138 Depth=3
	s_or_b64 exec, exec, s[94:95]
.LBB6_2646:                             ;   in Loop: Header=BB6_138 Depth=3
	s_or_b64 exec, exec, s[26:27]
	v_mul_f32_e32 v2, v14, v1
	v_and_b32_e32 v5, 0x7f800000, v2
	v_mov_b32_e32 v6, v33
	v_cmp_ne_u64_e32 vcc, s[76:77], v[5:6]
	v_and_b32_e32 v0, 0x7fffff, v2
	v_mov_b32_e32 v1, v33
                                        ; implicit-def: $vgpr3
                                        ; kill: killed $vgpr3
	s_and_saveexec_b64 s[26:27], vcc
	s_xor_b64 s[94:95], exec, s[26:27]
	s_cbranch_execz .LBB6_2660
; %bb.2647:                             ;   in Loop: Header=BB6_138 Depth=3
	v_and_b32_e32 v5, 0x7fffffff, v2
	v_mov_b32_e32 v6, v33
	v_cmp_gt_u64_e32 vcc, s[78:79], v[5:6]
	v_and_b32_sdwa v3, v2, s97 dst_sel:DWORD dst_unused:UNUSED_PAD src0_sel:BYTE_3 src1_sel:DWORD
                                        ; implicit-def: $vgpr4
                                        ; kill: killed $vgpr4
	s_and_saveexec_b64 s[26:27], vcc
	s_xor_b64 s[30:31], exec, s[26:27]
	s_cbranch_execz .LBB6_2657
; %bb.2648:                             ;   in Loop: Header=BB6_138 Depth=3
	v_mov_b32_e32 v4, 0
	v_cmp_ne_u32_e32 vcc, 0, v2
	buffer_store_dword v4, off, s[0:3], s33 offset:676 ; 4-byte Folded Spill
	s_and_saveexec_b64 s[34:35], vcc
	s_cbranch_execz .LBB6_2656
; %bb.2649:                             ;   in Loop: Header=BB6_138 Depth=3
	v_bfe_u32 v5, v2, 23, 8
	v_cmp_gt_u32_e64 s[26:27], s47, v5
	v_sub_u32_e32 v2, 0x71, v5
	v_cmp_eq_u32_e32 vcc, 0, v5
	v_cndmask_b32_e64 v2, 0, v2, s[26:27]
	v_mov_b32_e32 v6, 0x70
	v_cndmask_b32_e32 v6, v2, v6, vcc
	v_add_u32_e32 v2, 21, v6
	v_or_b32_e32 v4, 0x800000, v0
	v_lshlrev_b64 v[7:8], v2, -1
	v_cndmask_b32_e32 v0, v4, v0, vcc
	v_add_u32_e32 v2, 20, v6
	v_bfi_b32 v7, v7, 0, v0
	v_lshlrev_b64 v[16:17], v2, 1
	v_lshrrev_b64 v[0:1], v6, v[0:1]
	v_bfi_b32 v8, v8, 0, 0
	v_cmp_eq_u64_e64 s[26:27], v[7:8], v[16:17]
	v_mov_b32_e32 v2, v1
	v_mov_b32_e32 v1, v0
	s_and_saveexec_b64 s[36:37], s[26:27]
; %bb.2650:                             ;   in Loop: Header=BB6_138 Depth=3
	v_bfe_u32 v1, v0, 21, 1
	v_add_co_u32_e64 v1, s[26:27], v0, v1
	v_add_co_u32_e64 v1, s[26:27], -1, v1
; %bb.2651:                             ;   in Loop: Header=BB6_138 Depth=3
	s_or_b64 exec, exec, s[36:37]
	v_add_u32_e32 v2, 0xffffff81, v5
	v_mov_b32_e32 v4, 0xffffff82
	v_cndmask_b32_e32 v2, v2, v4, vcc
	v_lshrrev_b32_e32 v4, 23, v0
	v_add3_u32 v6, v6, v2, v4
	v_add_u32_e32 v5, 14, v6
	v_and_b32_e32 v1, 0x1fffff, v1
	v_add_u32_e32 v0, v1, v0
	v_mov_b32_e32 v1, v33
	v_cmp_ne_u32_e32 vcc, 0, v5
                                        ; implicit-def: $vgpr2
	s_and_saveexec_b64 s[26:27], vcc
	s_xor_b64 s[26:27], exec, s[26:27]
; %bb.2652:                             ;   in Loop: Header=BB6_138 Depth=3
	v_cmp_lt_u64_e32 vcc, s[88:89], v[0:1]
	v_add_u32_e32 v2, 15, v6
	v_cndmask_b32_e64 v4, 0, 1, vcc
	v_lshrrev_b64 v[0:1], v4, v[0:1]
	v_cndmask_b32_e32 v2, v5, v2, vcc
; %bb.2653:                             ;   in Loop: Header=BB6_138 Depth=3
	s_andn2_saveexec_b64 s[26:27], s[26:27]
; %bb.2654:                             ;   in Loop: Header=BB6_138 Depth=3
	v_bfe_u32 v2, v0, 23, 1
; %bb.2655:                             ;   in Loop: Header=BB6_138 Depth=3
	s_or_b64 exec, exec, s[26:27]
	v_lshrrev_b64 v[0:1], 21, v[0:1]
	v_cmp_gt_i32_e32 vcc, 32, v2
	v_cndmask_b32_e32 v1, 0, v1, vcc
	v_cndmask_b32_e32 v0, 3, v0, vcc
	v_cmp_eq_u64_e64 s[26:27], 0, v[0:1]
	v_min_i32_e32 v1, 31, v2
	v_lshlrev_b32_e32 v1, 2, v1
	v_cmp_eq_u32_e32 vcc, 0, v2
	v_and_b32_e32 v1, 0xfc, v1
	v_and_or_b32 v0, v0, 3, v1
	s_and_b64 s[26:27], vcc, s[26:27]
	v_cndmask_b32_e64 v0, v0, 0, s[26:27]
	v_or_b32_e32 v0, v0, v3
	buffer_store_dword v0, off, s[0:3], s33 offset:676 ; 4-byte Folded Spill
.LBB6_2656:                             ;   in Loop: Header=BB6_138 Depth=3
	s_or_b64 exec, exec, s[34:35]
                                        ; implicit-def: $vgpr3
.LBB6_2657:                             ;   in Loop: Header=BB6_138 Depth=3
	s_andn2_saveexec_b64 s[26:27], s[30:31]
	s_cbranch_execz .LBB6_2659
; %bb.2658:                             ;   in Loop: Header=BB6_138 Depth=3
	v_or_b32_e32 v0, 0x7b, v3
	buffer_store_dword v0, off, s[0:3], s33 offset:676 ; 4-byte Folded Spill
.LBB6_2659:                             ;   in Loop: Header=BB6_138 Depth=3
	s_or_b64 exec, exec, s[26:27]
                                        ; implicit-def: $vgpr2
                                        ; implicit-def: $vgpr0_vgpr1
.LBB6_2660:                             ;   in Loop: Header=BB6_138 Depth=3
	s_andn2_saveexec_b64 s[26:27], s[94:95]
	s_cbranch_execz .LBB6_2666
; %bb.2661:                             ;   in Loop: Header=BB6_138 Depth=3
	v_cmp_ne_u64_e32 vcc, 0, v[0:1]
                                        ; implicit-def: $vgpr0
                                        ; kill: killed $vgpr0
	s_and_saveexec_b64 s[62:63], vcc
	s_xor_b64 s[94:95], exec, s[62:63]
	s_cbranch_execz .LBB6_2663
; %bb.2662:                             ;   in Loop: Header=BB6_138 Depth=3
	v_or_b32_sdwa v0, v2, s44 dst_sel:DWORD dst_unused:UNUSED_PAD src0_sel:BYTE_3 src1_sel:DWORD
	buffer_store_dword v0, off, s[0:3], s33 offset:676 ; 4-byte Folded Spill
                                        ; implicit-def: $vgpr2
.LBB6_2663:                             ;   in Loop: Header=BB6_138 Depth=3
	s_andn2_saveexec_b64 s[94:95], s[94:95]
	s_cbranch_execz .LBB6_2665
; %bb.2664:                             ;   in Loop: Header=BB6_138 Depth=3
	v_cmp_lt_i32_e32 vcc, -1, v2
	v_bfrev_b32_e32 v0, 0.5
	v_mov_b32_e32 v1, 0x7c
	v_cndmask_b32_e32 v0, v0, v1, vcc
	buffer_store_dword v0, off, s[0:3], s33 offset:676 ; 4-byte Folded Spill
.LBB6_2665:                             ;   in Loop: Header=BB6_138 Depth=3
	s_or_b64 exec, exec, s[94:95]
.LBB6_2666:                             ;   in Loop: Header=BB6_138 Depth=3
	s_or_b64 exec, exec, s[26:27]
	v_lshrrev_b32_e32 v0, 16, v10
	v_cmp_ne_u16_sdwa s[62:63], v0, v33 src0_sel:BYTE_0 src1_sel:DWORD
	v_mov_b32_e32 v1, 0
	s_and_saveexec_b64 s[26:27], s[62:63]
	s_cbranch_execz .LBB6_2674
; %bb.2667:                             ;   in Loop: Header=BB6_138 Depth=3
	v_cmp_ne_u16_sdwa s[62:63], v0, s97 src0_sel:BYTE_0 src1_sel:DWORD
	v_bfrev_b32_e32 v1, 1
	s_and_saveexec_b64 s[94:95], s[62:63]
	s_cbranch_execz .LBB6_2673
; %bb.2668:                             ;   in Loop: Header=BB6_138 Depth=3
	v_and_b32_e32 v1, 0x7c0000, v10
	v_bfe_u32 v2, v10, 16, 2
	v_cmp_ne_u32_e32 vcc, s45, v1
                                        ; implicit-def: $vgpr1
	s_and_saveexec_b64 s[62:63], vcc
	s_xor_b64 s[30:31], exec, s[62:63]
	s_cbranch_execz .LBB6_2670
; %bb.2669:                             ;   in Loop: Header=BB6_138 Depth=3
	v_ffbh_u32_e32 v1, v2
	v_min_u32_e32 v4, 32, v1
	v_subrev_u32_e32 v1, 29, v4
	v_lshlrev_b64 v[0:1], v1, v[0:1]
	v_bfe_u32 v3, v10, 18, 5
	v_and_b32_e32 v0, 3, v0
	v_cmp_eq_u32_e32 vcc, 0, v3
	v_sub_u32_e32 v1, 30, v4
	v_cndmask_b32_e32 v0, v2, v0, vcc
	v_lshlrev_b32_e32 v2, 8, v10
	v_cndmask_b32_e32 v1, v3, v1, vcc
	v_and_b32_e32 v2, 0x80000000, v2
	v_lshl_add_u32 v1, v1, 23, v2
	v_lshl_or_b32 v0, v0, 21, v1
	v_add_u32_e32 v1, 0x38000000, v0
                                        ; implicit-def: $vgpr2
                                        ; implicit-def: $vgpr0
.LBB6_2670:                             ;   in Loop: Header=BB6_138 Depth=3
	s_andn2_saveexec_b64 s[30:31], s[30:31]
; %bb.2671:                             ;   in Loop: Header=BB6_138 Depth=3
	v_mov_b32_e32 v1, -1
	v_cmp_gt_i16_sdwa vcc, sext(v0), v1 src0_sel:BYTE_0 src1_sel:DWORD
	v_mov_b32_e32 v0, 0xff800000
	v_mov_b32_e32 v1, 0x7f800000
	v_cndmask_b32_e32 v0, v0, v1, vcc
	v_cmp_eq_u32_e32 vcc, 0, v2
	v_mov_b32_e32 v1, 0x7f800001
	v_cndmask_b32_e32 v1, v1, v0, vcc
; %bb.2672:                             ;   in Loop: Header=BB6_138 Depth=3
	s_or_b64 exec, exec, s[30:31]
.LBB6_2673:                             ;   in Loop: Header=BB6_138 Depth=3
	s_or_b64 exec, exec, s[94:95]
.LBB6_2674:                             ;   in Loop: Header=BB6_138 Depth=3
	s_or_b64 exec, exec, s[26:27]
	v_mul_f32_e32 v2, v14, v1
	v_and_b32_e32 v5, 0x7f800000, v2
	v_mov_b32_e32 v6, v33
	v_cmp_ne_u64_e32 vcc, s[76:77], v[5:6]
	v_and_b32_e32 v0, 0x7fffff, v2
	v_mov_b32_e32 v1, v33
                                        ; implicit-def: $vgpr22
	s_and_saveexec_b64 s[26:27], vcc
	s_xor_b64 s[94:95], exec, s[26:27]
	s_cbranch_execz .LBB6_2688
; %bb.2675:                             ;   in Loop: Header=BB6_138 Depth=3
	v_and_b32_e32 v5, 0x7fffffff, v2
	v_mov_b32_e32 v6, v33
	v_cmp_gt_u64_e32 vcc, s[78:79], v[5:6]
	v_and_b32_sdwa v3, v2, s97 dst_sel:DWORD dst_unused:UNUSED_PAD src0_sel:BYTE_3 src1_sel:DWORD
                                        ; implicit-def: $vgpr22
	s_and_saveexec_b64 s[26:27], vcc
	s_xor_b64 s[30:31], exec, s[26:27]
	s_cbranch_execz .LBB6_2685
; %bb.2676:                             ;   in Loop: Header=BB6_138 Depth=3
	v_mov_b32_e32 v22, 0
	v_cmp_ne_u32_e32 vcc, 0, v2
	s_and_saveexec_b64 s[34:35], vcc
	s_cbranch_execz .LBB6_2684
; %bb.2677:                             ;   in Loop: Header=BB6_138 Depth=3
	v_bfe_u32 v5, v2, 23, 8
	v_cmp_gt_u32_e64 s[26:27], s47, v5
	v_sub_u32_e32 v2, 0x71, v5
	v_cmp_eq_u32_e32 vcc, 0, v5
	v_cndmask_b32_e64 v2, 0, v2, s[26:27]
	v_mov_b32_e32 v6, 0x70
	v_cndmask_b32_e32 v6, v2, v6, vcc
	v_add_u32_e32 v2, 21, v6
	v_or_b32_e32 v4, 0x800000, v0
	v_lshlrev_b64 v[7:8], v2, -1
	v_cndmask_b32_e32 v0, v4, v0, vcc
	v_add_u32_e32 v2, 20, v6
	v_bfi_b32 v7, v7, 0, v0
	v_lshlrev_b64 v[16:17], v2, 1
	v_lshrrev_b64 v[0:1], v6, v[0:1]
	v_bfi_b32 v8, v8, 0, 0
	v_cmp_eq_u64_e64 s[26:27], v[7:8], v[16:17]
	v_mov_b32_e32 v2, v1
	v_mov_b32_e32 v1, v0
	s_and_saveexec_b64 s[36:37], s[26:27]
; %bb.2678:                             ;   in Loop: Header=BB6_138 Depth=3
	v_bfe_u32 v1, v0, 21, 1
	v_add_co_u32_e64 v1, s[26:27], v0, v1
	v_add_co_u32_e64 v1, s[26:27], -1, v1
; %bb.2679:                             ;   in Loop: Header=BB6_138 Depth=3
	s_or_b64 exec, exec, s[36:37]
	v_add_u32_e32 v2, 0xffffff81, v5
	v_mov_b32_e32 v4, 0xffffff82
	v_cndmask_b32_e32 v2, v2, v4, vcc
	v_lshrrev_b32_e32 v4, 23, v0
	v_add3_u32 v6, v6, v2, v4
	v_add_u32_e32 v5, 14, v6
	v_and_b32_e32 v1, 0x1fffff, v1
	v_add_u32_e32 v0, v1, v0
	v_mov_b32_e32 v1, v33
	v_cmp_ne_u32_e32 vcc, 0, v5
                                        ; implicit-def: $vgpr2
	s_and_saveexec_b64 s[26:27], vcc
	s_xor_b64 s[26:27], exec, s[26:27]
; %bb.2680:                             ;   in Loop: Header=BB6_138 Depth=3
	v_cmp_lt_u64_e32 vcc, s[88:89], v[0:1]
	v_add_u32_e32 v2, 15, v6
	v_cndmask_b32_e64 v4, 0, 1, vcc
	v_lshrrev_b64 v[0:1], v4, v[0:1]
	v_cndmask_b32_e32 v2, v5, v2, vcc
; %bb.2681:                             ;   in Loop: Header=BB6_138 Depth=3
	s_andn2_saveexec_b64 s[26:27], s[26:27]
; %bb.2682:                             ;   in Loop: Header=BB6_138 Depth=3
	v_bfe_u32 v2, v0, 23, 1
; %bb.2683:                             ;   in Loop: Header=BB6_138 Depth=3
	s_or_b64 exec, exec, s[26:27]
	v_lshrrev_b64 v[0:1], 21, v[0:1]
	v_cmp_gt_i32_e32 vcc, 32, v2
	v_cndmask_b32_e32 v1, 0, v1, vcc
	v_cndmask_b32_e32 v0, 3, v0, vcc
	v_cmp_eq_u64_e64 s[26:27], 0, v[0:1]
	v_min_i32_e32 v1, 31, v2
	v_lshlrev_b32_e32 v1, 2, v1
	v_cmp_eq_u32_e32 vcc, 0, v2
	v_and_b32_e32 v1, 0xfc, v1
	v_and_or_b32 v0, v0, 3, v1
	s_and_b64 s[26:27], vcc, s[26:27]
	v_cndmask_b32_e64 v0, v0, 0, s[26:27]
	v_or_b32_e32 v22, v0, v3
.LBB6_2684:                             ;   in Loop: Header=BB6_138 Depth=3
	s_or_b64 exec, exec, s[34:35]
                                        ; implicit-def: $vgpr3
.LBB6_2685:                             ;   in Loop: Header=BB6_138 Depth=3
	s_andn2_saveexec_b64 s[26:27], s[30:31]
; %bb.2686:                             ;   in Loop: Header=BB6_138 Depth=3
	v_or_b32_e32 v22, 0x7b, v3
; %bb.2687:                             ;   in Loop: Header=BB6_138 Depth=3
	s_or_b64 exec, exec, s[26:27]
                                        ; implicit-def: $vgpr2
                                        ; implicit-def: $vgpr0_vgpr1
.LBB6_2688:                             ;   in Loop: Header=BB6_138 Depth=3
	s_andn2_saveexec_b64 s[26:27], s[94:95]
	s_cbranch_execz .LBB6_2694
; %bb.2689:                             ;   in Loop: Header=BB6_138 Depth=3
	v_cmp_ne_u64_e32 vcc, 0, v[0:1]
                                        ; implicit-def: $vgpr22
	s_and_saveexec_b64 s[62:63], vcc
	s_xor_b64 s[94:95], exec, s[62:63]
; %bb.2690:                             ;   in Loop: Header=BB6_138 Depth=3
	v_or_b32_sdwa v22, v2, s44 dst_sel:DWORD dst_unused:UNUSED_PAD src0_sel:BYTE_3 src1_sel:DWORD
                                        ; implicit-def: $vgpr2
; %bb.2691:                             ;   in Loop: Header=BB6_138 Depth=3
	s_andn2_saveexec_b64 s[94:95], s[94:95]
; %bb.2692:                             ;   in Loop: Header=BB6_138 Depth=3
	v_cmp_lt_i32_e32 vcc, -1, v2
	v_bfrev_b32_e32 v0, 0.5
	v_mov_b32_e32 v1, 0x7c
	v_cndmask_b32_e32 v22, v0, v1, vcc
; %bb.2693:                             ;   in Loop: Header=BB6_138 Depth=3
	s_or_b64 exec, exec, s[94:95]
.LBB6_2694:                             ;   in Loop: Header=BB6_138 Depth=3
	s_or_b64 exec, exec, s[26:27]
	v_cmp_lt_u32_e32 vcc, s57, v10
	v_mov_b32_e32 v1, 0
	s_and_saveexec_b64 s[26:27], vcc
	s_cbranch_execz .LBB6_2702
; %bb.2695:                             ;   in Loop: Header=BB6_138 Depth=3
	v_lshrrev_b32_e32 v0, 24, v10
	v_cmp_ne_u32_e32 vcc, s97, v0
	v_bfrev_b32_e32 v1, 1
	s_and_saveexec_b64 s[94:95], vcc
	s_cbranch_execz .LBB6_2701
; %bb.2696:                             ;   in Loop: Header=BB6_138 Depth=3
	v_and_b32_e32 v1, 0x7c000000, v10
	v_bfe_u32 v2, v10, 24, 2
	v_cmp_ne_u32_e32 vcc, s68, v1
                                        ; implicit-def: $vgpr1
	s_and_saveexec_b64 s[62:63], vcc
	s_xor_b64 s[30:31], exec, s[62:63]
	s_cbranch_execz .LBB6_2698
; %bb.2697:                             ;   in Loop: Header=BB6_138 Depth=3
	v_ffbh_u32_e32 v1, v2
	v_min_u32_e32 v4, 32, v1
	v_subrev_u32_e32 v1, 29, v4
	v_lshlrev_b64 v[0:1], v1, v[0:1]
	v_bfe_u32 v3, v10, 26, 5
	v_sub_u32_e32 v1, 30, v4
	v_and_b32_e32 v0, 3, v0
	v_cmp_eq_u32_e32 vcc, 0, v3
	v_cndmask_b32_e32 v1, v3, v1, vcc
	v_cndmask_b32_e32 v0, v2, v0, vcc
	v_and_b32_e32 v2, 0x80000000, v10
	v_lshl_add_u32 v1, v1, 23, v2
	v_lshl_or_b32 v0, v0, 21, v1
	v_add_u32_e32 v1, 0x38000000, v0
                                        ; implicit-def: $vgpr2
.LBB6_2698:                             ;   in Loop: Header=BB6_138 Depth=3
	s_andn2_saveexec_b64 s[30:31], s[30:31]
; %bb.2699:                             ;   in Loop: Header=BB6_138 Depth=3
	v_cmp_lt_i32_e32 vcc, -1, v10
	v_mov_b32_e32 v0, 0xff800000
	v_mov_b32_e32 v1, 0x7f800000
	v_cndmask_b32_e32 v0, v0, v1, vcc
	v_cmp_eq_u32_e32 vcc, 0, v2
	v_mov_b32_e32 v1, 0x7f800001
	v_cndmask_b32_e32 v1, v1, v0, vcc
; %bb.2700:                             ;   in Loop: Header=BB6_138 Depth=3
	s_or_b64 exec, exec, s[30:31]
.LBB6_2701:                             ;   in Loop: Header=BB6_138 Depth=3
	s_or_b64 exec, exec, s[94:95]
.LBB6_2702:                             ;   in Loop: Header=BB6_138 Depth=3
	s_or_b64 exec, exec, s[26:27]
	v_mul_f32_e32 v2, v14, v1
	v_and_b32_e32 v5, 0x7f800000, v2
	v_mov_b32_e32 v6, v33
	v_cmp_ne_u64_e32 vcc, s[76:77], v[5:6]
	v_and_b32_e32 v0, 0x7fffff, v2
	v_mov_b32_e32 v1, v33
                                        ; implicit-def: $vgpr23
	s_and_saveexec_b64 s[26:27], vcc
	s_xor_b64 s[94:95], exec, s[26:27]
	s_cbranch_execz .LBB6_2716
; %bb.2703:                             ;   in Loop: Header=BB6_138 Depth=3
	v_and_b32_e32 v5, 0x7fffffff, v2
	v_mov_b32_e32 v6, v33
	v_cmp_gt_u64_e32 vcc, s[78:79], v[5:6]
	v_and_b32_sdwa v3, v2, s97 dst_sel:DWORD dst_unused:UNUSED_PAD src0_sel:BYTE_3 src1_sel:DWORD
                                        ; implicit-def: $vgpr23
	s_and_saveexec_b64 s[26:27], vcc
	s_xor_b64 s[30:31], exec, s[26:27]
	s_cbranch_execz .LBB6_2713
; %bb.2704:                             ;   in Loop: Header=BB6_138 Depth=3
	v_mov_b32_e32 v23, 0
	v_cmp_ne_u32_e32 vcc, 0, v2
	s_and_saveexec_b64 s[34:35], vcc
	s_cbranch_execz .LBB6_2712
; %bb.2705:                             ;   in Loop: Header=BB6_138 Depth=3
	v_bfe_u32 v5, v2, 23, 8
	v_cmp_gt_u32_e64 s[26:27], s47, v5
	v_sub_u32_e32 v2, 0x71, v5
	v_cmp_eq_u32_e32 vcc, 0, v5
	v_cndmask_b32_e64 v2, 0, v2, s[26:27]
	v_mov_b32_e32 v6, 0x70
	v_cndmask_b32_e32 v6, v2, v6, vcc
	v_add_u32_e32 v2, 21, v6
	v_or_b32_e32 v4, 0x800000, v0
	v_lshlrev_b64 v[7:8], v2, -1
	v_cndmask_b32_e32 v0, v4, v0, vcc
	v_add_u32_e32 v2, 20, v6
	v_bfi_b32 v7, v7, 0, v0
	v_lshlrev_b64 v[16:17], v2, 1
	v_lshrrev_b64 v[0:1], v6, v[0:1]
	v_bfi_b32 v8, v8, 0, 0
	v_cmp_eq_u64_e64 s[26:27], v[7:8], v[16:17]
	v_mov_b32_e32 v2, v1
	v_mov_b32_e32 v1, v0
	s_and_saveexec_b64 s[36:37], s[26:27]
; %bb.2706:                             ;   in Loop: Header=BB6_138 Depth=3
	v_bfe_u32 v1, v0, 21, 1
	v_add_co_u32_e64 v1, s[26:27], v0, v1
	v_add_co_u32_e64 v1, s[26:27], -1, v1
; %bb.2707:                             ;   in Loop: Header=BB6_138 Depth=3
	s_or_b64 exec, exec, s[36:37]
	v_add_u32_e32 v2, 0xffffff81, v5
	v_mov_b32_e32 v4, 0xffffff82
	v_cndmask_b32_e32 v2, v2, v4, vcc
	v_lshrrev_b32_e32 v4, 23, v0
	v_add3_u32 v6, v6, v2, v4
	v_add_u32_e32 v5, 14, v6
	v_and_b32_e32 v1, 0x1fffff, v1
	v_add_u32_e32 v0, v1, v0
	v_mov_b32_e32 v1, v33
	v_cmp_ne_u32_e32 vcc, 0, v5
                                        ; implicit-def: $vgpr2
	s_and_saveexec_b64 s[26:27], vcc
	s_xor_b64 s[26:27], exec, s[26:27]
; %bb.2708:                             ;   in Loop: Header=BB6_138 Depth=3
	v_cmp_lt_u64_e32 vcc, s[88:89], v[0:1]
	v_add_u32_e32 v2, 15, v6
	v_cndmask_b32_e64 v4, 0, 1, vcc
	v_lshrrev_b64 v[0:1], v4, v[0:1]
	v_cndmask_b32_e32 v2, v5, v2, vcc
; %bb.2709:                             ;   in Loop: Header=BB6_138 Depth=3
	s_andn2_saveexec_b64 s[26:27], s[26:27]
; %bb.2710:                             ;   in Loop: Header=BB6_138 Depth=3
	v_bfe_u32 v2, v0, 23, 1
; %bb.2711:                             ;   in Loop: Header=BB6_138 Depth=3
	s_or_b64 exec, exec, s[26:27]
	v_lshrrev_b64 v[0:1], 21, v[0:1]
	v_cmp_gt_i32_e32 vcc, 32, v2
	v_cndmask_b32_e32 v1, 0, v1, vcc
	v_cndmask_b32_e32 v0, 3, v0, vcc
	v_cmp_eq_u64_e64 s[26:27], 0, v[0:1]
	v_min_i32_e32 v1, 31, v2
	v_lshlrev_b32_e32 v1, 2, v1
	v_cmp_eq_u32_e32 vcc, 0, v2
	v_and_b32_e32 v1, 0xfc, v1
	v_and_or_b32 v0, v0, 3, v1
	s_and_b64 s[26:27], vcc, s[26:27]
	v_cndmask_b32_e64 v0, v0, 0, s[26:27]
	v_or_b32_e32 v23, v0, v3
.LBB6_2712:                             ;   in Loop: Header=BB6_138 Depth=3
	s_or_b64 exec, exec, s[34:35]
                                        ; implicit-def: $vgpr3
.LBB6_2713:                             ;   in Loop: Header=BB6_138 Depth=3
	s_andn2_saveexec_b64 s[26:27], s[30:31]
; %bb.2714:                             ;   in Loop: Header=BB6_138 Depth=3
	v_or_b32_e32 v23, 0x7b, v3
; %bb.2715:                             ;   in Loop: Header=BB6_138 Depth=3
	s_or_b64 exec, exec, s[26:27]
                                        ; implicit-def: $vgpr2
                                        ; implicit-def: $vgpr0_vgpr1
.LBB6_2716:                             ;   in Loop: Header=BB6_138 Depth=3
	s_andn2_saveexec_b64 s[26:27], s[94:95]
	s_cbranch_execz .LBB6_2722
; %bb.2717:                             ;   in Loop: Header=BB6_138 Depth=3
	v_cmp_ne_u64_e32 vcc, 0, v[0:1]
                                        ; implicit-def: $vgpr23
	s_and_saveexec_b64 s[62:63], vcc
	s_xor_b64 s[94:95], exec, s[62:63]
; %bb.2718:                             ;   in Loop: Header=BB6_138 Depth=3
	v_or_b32_sdwa v23, v2, s44 dst_sel:DWORD dst_unused:UNUSED_PAD src0_sel:BYTE_3 src1_sel:DWORD
                                        ; implicit-def: $vgpr2
; %bb.2719:                             ;   in Loop: Header=BB6_138 Depth=3
	s_andn2_saveexec_b64 s[94:95], s[94:95]
; %bb.2720:                             ;   in Loop: Header=BB6_138 Depth=3
	v_cmp_lt_i32_e32 vcc, -1, v2
	v_bfrev_b32_e32 v0, 0.5
	v_mov_b32_e32 v1, 0x7c
	v_cndmask_b32_e32 v23, v0, v1, vcc
; %bb.2721:                             ;   in Loop: Header=BB6_138 Depth=3
	s_or_b64 exec, exec, s[94:95]
.LBB6_2722:                             ;   in Loop: Header=BB6_138 Depth=3
	s_or_b64 exec, exec, s[26:27]
	v_mov_b32_e32 v0, v11
	v_mov_b32_e32 v1, v33
	v_cmp_ne_u16_sdwa s[62:63], v11, v33 src0_sel:BYTE_0 src1_sel:DWORD
	v_mov_b32_e32 v2, 0
	s_and_saveexec_b64 s[26:27], s[62:63]
	s_cbranch_execz .LBB6_2730
; %bb.2723:                             ;   in Loop: Header=BB6_138 Depth=3
	v_cmp_ne_u16_sdwa s[62:63], v11, s97 src0_sel:BYTE_0 src1_sel:DWORD
	v_bfrev_b32_e32 v2, 1
	s_and_saveexec_b64 s[94:95], s[62:63]
	s_cbranch_execz .LBB6_2729
; %bb.2724:                             ;   in Loop: Header=BB6_138 Depth=3
	v_and_b32_e32 v2, 0x7c, v11
	v_and_b32_e32 v3, 3, v11
	v_cmp_ne_u32_e32 vcc, s86, v2
                                        ; implicit-def: $vgpr2
	s_and_saveexec_b64 s[62:63], vcc
	s_xor_b64 s[30:31], exec, s[62:63]
	s_cbranch_execz .LBB6_2726
; %bb.2725:                             ;   in Loop: Header=BB6_138 Depth=3
	v_ffbh_u32_e32 v2, v3
	v_min_u32_e32 v5, 32, v2
	v_subrev_u32_e32 v2, 29, v5
	v_lshlrev_b64 v[1:2], v2, v[0:1]
	v_bfe_u32 v4, v11, 2, 5
	v_and_b32_e32 v1, 3, v1
	v_cmp_eq_u32_e32 vcc, 0, v4
	v_sub_u32_e32 v2, 30, v5
	v_cndmask_b32_e32 v1, v3, v1, vcc
	v_lshlrev_b32_e32 v3, 24, v11
	v_cndmask_b32_e32 v2, v4, v2, vcc
	v_and_b32_e32 v3, 0x80000000, v3
	v_lshl_add_u32 v2, v2, 23, v3
	v_lshl_or_b32 v1, v1, 21, v2
	v_add_u32_e32 v2, 0x38000000, v1
                                        ; implicit-def: $vgpr3
.LBB6_2726:                             ;   in Loop: Header=BB6_138 Depth=3
	s_andn2_saveexec_b64 s[30:31], s[30:31]
; %bb.2727:                             ;   in Loop: Header=BB6_138 Depth=3
	v_mov_b32_e32 v1, -1
	v_cmp_gt_i16_sdwa vcc, sext(v11), v1 src0_sel:BYTE_0 src1_sel:DWORD
	v_mov_b32_e32 v1, 0xff800000
	v_mov_b32_e32 v2, 0x7f800000
	v_cndmask_b32_e32 v1, v1, v2, vcc
	v_cmp_eq_u32_e32 vcc, 0, v3
	v_mov_b32_e32 v2, 0x7f800001
	v_cndmask_b32_e32 v2, v2, v1, vcc
; %bb.2728:                             ;   in Loop: Header=BB6_138 Depth=3
	s_or_b64 exec, exec, s[30:31]
.LBB6_2729:                             ;   in Loop: Header=BB6_138 Depth=3
	s_or_b64 exec, exec, s[94:95]
.LBB6_2730:                             ;   in Loop: Header=BB6_138 Depth=3
	s_or_b64 exec, exec, s[26:27]
	v_mul_f32_e32 v3, v14, v2
	v_and_b32_e32 v5, 0x7f800000, v3
	v_mov_b32_e32 v6, v33
	v_cmp_ne_u64_e32 vcc, s[76:77], v[5:6]
	v_and_b32_e32 v1, 0x7fffff, v3
	v_mov_b32_e32 v2, v33
                                        ; implicit-def: $vgpr40
	s_and_saveexec_b64 s[26:27], vcc
	s_xor_b64 s[94:95], exec, s[26:27]
	s_cbranch_execz .LBB6_2744
; %bb.2731:                             ;   in Loop: Header=BB6_138 Depth=3
	v_and_b32_e32 v5, 0x7fffffff, v3
	v_mov_b32_e32 v6, v33
	v_cmp_gt_u64_e32 vcc, s[78:79], v[5:6]
	v_and_b32_sdwa v5, v3, s97 dst_sel:DWORD dst_unused:UNUSED_PAD src0_sel:BYTE_3 src1_sel:DWORD
                                        ; implicit-def: $vgpr40
	s_and_saveexec_b64 s[26:27], vcc
	s_xor_b64 s[30:31], exec, s[26:27]
	s_cbranch_execz .LBB6_2741
; %bb.2732:                             ;   in Loop: Header=BB6_138 Depth=3
	v_mov_b32_e32 v40, 0
	v_cmp_ne_u32_e32 vcc, 0, v3
	s_and_saveexec_b64 s[34:35], vcc
	s_cbranch_execz .LBB6_2740
; %bb.2733:                             ;   in Loop: Header=BB6_138 Depth=3
	v_bfe_u32 v6, v3, 23, 8
	v_cmp_gt_u32_e64 s[26:27], s47, v6
	v_sub_u32_e32 v3, 0x71, v6
	v_cmp_eq_u32_e32 vcc, 0, v6
	v_cndmask_b32_e64 v3, 0, v3, s[26:27]
	v_mov_b32_e32 v7, 0x70
	v_cndmask_b32_e32 v7, v3, v7, vcc
	v_add_u32_e32 v3, 21, v7
	v_or_b32_e32 v4, 0x800000, v1
	v_lshlrev_b64 v[8:9], v3, -1
	v_cndmask_b32_e32 v1, v4, v1, vcc
	v_add_u32_e32 v3, 20, v7
	v_bfi_b32 v8, v8, 0, v1
	v_lshlrev_b64 v[16:17], v3, 1
	v_lshrrev_b64 v[1:2], v7, v[1:2]
	v_bfi_b32 v9, v9, 0, 0
	v_cmp_eq_u64_e64 s[26:27], v[8:9], v[16:17]
	v_mov_b32_e32 v3, v2
	v_mov_b32_e32 v2, v1
	s_and_saveexec_b64 s[36:37], s[26:27]
; %bb.2734:                             ;   in Loop: Header=BB6_138 Depth=3
	v_bfe_u32 v2, v1, 21, 1
	v_add_co_u32_e64 v2, s[26:27], v1, v2
	v_add_co_u32_e64 v2, s[26:27], -1, v2
; %bb.2735:                             ;   in Loop: Header=BB6_138 Depth=3
	s_or_b64 exec, exec, s[36:37]
	v_add_u32_e32 v3, 0xffffff81, v6
	v_mov_b32_e32 v4, 0xffffff82
	v_cndmask_b32_e32 v3, v3, v4, vcc
	v_lshrrev_b32_e32 v4, 23, v1
	v_add3_u32 v7, v7, v3, v4
	v_add_u32_e32 v6, 14, v7
	v_and_b32_e32 v2, 0x1fffff, v2
	v_add_u32_e32 v1, v2, v1
	v_mov_b32_e32 v2, v33
	v_cmp_ne_u32_e32 vcc, 0, v6
                                        ; implicit-def: $vgpr3
	s_and_saveexec_b64 s[26:27], vcc
	s_xor_b64 s[26:27], exec, s[26:27]
; %bb.2736:                             ;   in Loop: Header=BB6_138 Depth=3
	v_cmp_lt_u64_e32 vcc, s[88:89], v[1:2]
	v_add_u32_e32 v3, 15, v7
	v_cndmask_b32_e64 v4, 0, 1, vcc
	v_lshrrev_b64 v[1:2], v4, v[1:2]
	v_cndmask_b32_e32 v3, v6, v3, vcc
; %bb.2737:                             ;   in Loop: Header=BB6_138 Depth=3
	s_andn2_saveexec_b64 s[26:27], s[26:27]
; %bb.2738:                             ;   in Loop: Header=BB6_138 Depth=3
	v_bfe_u32 v3, v1, 23, 1
; %bb.2739:                             ;   in Loop: Header=BB6_138 Depth=3
	s_or_b64 exec, exec, s[26:27]
	v_lshrrev_b64 v[1:2], 21, v[1:2]
	v_cmp_gt_i32_e32 vcc, 32, v3
	v_cndmask_b32_e32 v2, 0, v2, vcc
	v_cndmask_b32_e32 v1, 3, v1, vcc
	v_cmp_eq_u64_e64 s[26:27], 0, v[1:2]
	v_min_i32_e32 v2, 31, v3
	v_lshlrev_b32_e32 v2, 2, v2
	v_cmp_eq_u32_e32 vcc, 0, v3
	v_and_b32_e32 v2, 0xfc, v2
	v_and_or_b32 v1, v1, 3, v2
	s_and_b64 s[26:27], vcc, s[26:27]
	v_cndmask_b32_e64 v1, v1, 0, s[26:27]
	v_or_b32_e32 v40, v1, v5
.LBB6_2740:                             ;   in Loop: Header=BB6_138 Depth=3
	s_or_b64 exec, exec, s[34:35]
                                        ; implicit-def: $vgpr5
.LBB6_2741:                             ;   in Loop: Header=BB6_138 Depth=3
	s_andn2_saveexec_b64 s[26:27], s[30:31]
; %bb.2742:                             ;   in Loop: Header=BB6_138 Depth=3
	v_or_b32_e32 v40, 0x7b, v5
; %bb.2743:                             ;   in Loop: Header=BB6_138 Depth=3
	s_or_b64 exec, exec, s[26:27]
                                        ; implicit-def: $vgpr3
                                        ; implicit-def: $vgpr1_vgpr2
.LBB6_2744:                             ;   in Loop: Header=BB6_138 Depth=3
	s_andn2_saveexec_b64 s[26:27], s[94:95]
	s_cbranch_execz .LBB6_2750
; %bb.2745:                             ;   in Loop: Header=BB6_138 Depth=3
	v_cmp_ne_u64_e32 vcc, 0, v[1:2]
                                        ; implicit-def: $vgpr40
	s_and_saveexec_b64 s[62:63], vcc
	s_xor_b64 s[94:95], exec, s[62:63]
; %bb.2746:                             ;   in Loop: Header=BB6_138 Depth=3
	v_or_b32_sdwa v40, v3, s44 dst_sel:DWORD dst_unused:UNUSED_PAD src0_sel:BYTE_3 src1_sel:DWORD
                                        ; implicit-def: $vgpr3
; %bb.2747:                             ;   in Loop: Header=BB6_138 Depth=3
	s_andn2_saveexec_b64 s[94:95], s[94:95]
; %bb.2748:                             ;   in Loop: Header=BB6_138 Depth=3
	v_cmp_lt_i32_e32 vcc, -1, v3
	v_bfrev_b32_e32 v1, 0.5
	v_mov_b32_e32 v2, 0x7c
	v_cndmask_b32_e32 v40, v1, v2, vcc
; %bb.2749:                             ;   in Loop: Header=BB6_138 Depth=3
	s_or_b64 exec, exec, s[94:95]
.LBB6_2750:                             ;   in Loop: Header=BB6_138 Depth=3
	s_or_b64 exec, exec, s[26:27]
	v_lshrrev_b16_e32 v1, 8, v0
	v_cmp_ne_u16_e32 vcc, 0, v1
	v_mov_b32_e32 v2, 0
	s_and_saveexec_b64 s[26:27], vcc
	s_cbranch_execz .LBB6_2758
; %bb.2751:                             ;   in Loop: Header=BB6_138 Depth=3
	v_cmp_ne_u16_e32 vcc, s97, v1
	v_bfrev_b32_e32 v2, 1
	s_and_saveexec_b64 s[94:95], vcc
	s_cbranch_execz .LBB6_2757
; %bb.2752:                             ;   in Loop: Header=BB6_138 Depth=3
	v_and_b32_e32 v2, 0x7c, v1
	v_and_b32_e32 v3, 3, v1
	v_cmp_ne_u32_e32 vcc, s86, v2
                                        ; implicit-def: $vgpr2
	s_and_saveexec_b64 s[62:63], vcc
	s_xor_b64 s[30:31], exec, s[62:63]
	s_cbranch_execz .LBB6_2754
; %bb.2753:                             ;   in Loop: Header=BB6_138 Depth=3
	v_ffbh_u32_e32 v5, v3
	v_min_u32_e32 v5, 32, v5
	v_mov_b32_e32 v2, v33
	v_subrev_u32_e32 v6, 29, v5
	v_bfe_u32 v4, v1, 2, 5
	v_lshlrev_b64 v[1:2], v6, v[1:2]
	v_sub_u32_e32 v2, 30, v5
	v_cmp_eq_u32_e32 vcc, 0, v4
	v_lshlrev_b32_e32 v0, 16, v0
	v_and_b32_e32 v1, 3, v1
	v_cndmask_b32_e32 v2, v4, v2, vcc
	v_and_b32_e32 v0, 0x80000000, v0
	v_cndmask_b32_e32 v1, v3, v1, vcc
	v_lshl_add_u32 v0, v2, 23, v0
	v_lshl_or_b32 v0, v1, 21, v0
	v_add_u32_e32 v2, 0x38000000, v0
                                        ; implicit-def: $vgpr3
                                        ; implicit-def: $vgpr0_vgpr1
.LBB6_2754:                             ;   in Loop: Header=BB6_138 Depth=3
	s_andn2_saveexec_b64 s[30:31], s[30:31]
; %bb.2755:                             ;   in Loop: Header=BB6_138 Depth=3
	v_cmp_lt_i16_e32 vcc, -1, v0
	v_mov_b32_e32 v0, 0xff800000
	v_mov_b32_e32 v1, 0x7f800000
	v_cndmask_b32_e32 v0, v0, v1, vcc
	v_cmp_eq_u32_e32 vcc, 0, v3
	v_mov_b32_e32 v1, 0x7f800001
	v_cndmask_b32_e32 v2, v1, v0, vcc
; %bb.2756:                             ;   in Loop: Header=BB6_138 Depth=3
	s_or_b64 exec, exec, s[30:31]
.LBB6_2757:                             ;   in Loop: Header=BB6_138 Depth=3
	s_or_b64 exec, exec, s[94:95]
.LBB6_2758:                             ;   in Loop: Header=BB6_138 Depth=3
	s_or_b64 exec, exec, s[26:27]
	v_mul_f32_e32 v2, v14, v2
	v_and_b32_e32 v5, 0x7f800000, v2
	v_mov_b32_e32 v6, v33
	v_cmp_ne_u64_e32 vcc, s[76:77], v[5:6]
	v_and_b32_e32 v0, 0x7fffff, v2
	v_mov_b32_e32 v1, v33
                                        ; implicit-def: $vgpr41
	s_and_saveexec_b64 s[26:27], vcc
	s_xor_b64 s[94:95], exec, s[26:27]
	s_cbranch_execz .LBB6_2772
; %bb.2759:                             ;   in Loop: Header=BB6_138 Depth=3
	v_and_b32_e32 v5, 0x7fffffff, v2
	v_mov_b32_e32 v6, v33
	v_cmp_gt_u64_e32 vcc, s[78:79], v[5:6]
	v_and_b32_sdwa v3, v2, s97 dst_sel:DWORD dst_unused:UNUSED_PAD src0_sel:BYTE_3 src1_sel:DWORD
                                        ; implicit-def: $vgpr41
	s_and_saveexec_b64 s[26:27], vcc
	s_xor_b64 s[30:31], exec, s[26:27]
	s_cbranch_execz .LBB6_2769
; %bb.2760:                             ;   in Loop: Header=BB6_138 Depth=3
	v_mov_b32_e32 v41, 0
	v_cmp_ne_u32_e32 vcc, 0, v2
	s_and_saveexec_b64 s[34:35], vcc
	s_cbranch_execz .LBB6_2768
; %bb.2761:                             ;   in Loop: Header=BB6_138 Depth=3
	v_bfe_u32 v5, v2, 23, 8
	v_cmp_gt_u32_e64 s[26:27], s47, v5
	v_sub_u32_e32 v2, 0x71, v5
	v_cmp_eq_u32_e32 vcc, 0, v5
	v_cndmask_b32_e64 v2, 0, v2, s[26:27]
	v_mov_b32_e32 v6, 0x70
	v_cndmask_b32_e32 v6, v2, v6, vcc
	v_add_u32_e32 v2, 21, v6
	v_or_b32_e32 v4, 0x800000, v0
	v_lshlrev_b64 v[7:8], v2, -1
	v_cndmask_b32_e32 v0, v4, v0, vcc
	v_add_u32_e32 v2, 20, v6
	v_bfi_b32 v7, v7, 0, v0
	v_lshlrev_b64 v[16:17], v2, 1
	v_lshrrev_b64 v[0:1], v6, v[0:1]
	v_bfi_b32 v8, v8, 0, 0
	v_cmp_eq_u64_e64 s[26:27], v[7:8], v[16:17]
	v_mov_b32_e32 v2, v1
	v_mov_b32_e32 v1, v0
	s_and_saveexec_b64 s[36:37], s[26:27]
; %bb.2762:                             ;   in Loop: Header=BB6_138 Depth=3
	v_bfe_u32 v1, v0, 21, 1
	v_add_co_u32_e64 v1, s[26:27], v0, v1
	v_add_co_u32_e64 v1, s[26:27], -1, v1
; %bb.2763:                             ;   in Loop: Header=BB6_138 Depth=3
	s_or_b64 exec, exec, s[36:37]
	v_add_u32_e32 v2, 0xffffff81, v5
	v_mov_b32_e32 v4, 0xffffff82
	v_cndmask_b32_e32 v2, v2, v4, vcc
	v_lshrrev_b32_e32 v4, 23, v0
	v_add3_u32 v6, v6, v2, v4
	v_add_u32_e32 v5, 14, v6
	v_and_b32_e32 v1, 0x1fffff, v1
	v_add_u32_e32 v0, v1, v0
	v_mov_b32_e32 v1, v33
	v_cmp_ne_u32_e32 vcc, 0, v5
                                        ; implicit-def: $vgpr2
	s_and_saveexec_b64 s[26:27], vcc
	s_xor_b64 s[26:27], exec, s[26:27]
; %bb.2764:                             ;   in Loop: Header=BB6_138 Depth=3
	v_cmp_lt_u64_e32 vcc, s[88:89], v[0:1]
	v_add_u32_e32 v2, 15, v6
	v_cndmask_b32_e64 v4, 0, 1, vcc
	v_lshrrev_b64 v[0:1], v4, v[0:1]
	v_cndmask_b32_e32 v2, v5, v2, vcc
; %bb.2765:                             ;   in Loop: Header=BB6_138 Depth=3
	s_andn2_saveexec_b64 s[26:27], s[26:27]
; %bb.2766:                             ;   in Loop: Header=BB6_138 Depth=3
	v_bfe_u32 v2, v0, 23, 1
; %bb.2767:                             ;   in Loop: Header=BB6_138 Depth=3
	s_or_b64 exec, exec, s[26:27]
	v_lshrrev_b64 v[0:1], 21, v[0:1]
	v_cmp_gt_i32_e32 vcc, 32, v2
	v_cndmask_b32_e32 v1, 0, v1, vcc
	v_cndmask_b32_e32 v0, 3, v0, vcc
	v_cmp_eq_u64_e64 s[26:27], 0, v[0:1]
	v_min_i32_e32 v1, 31, v2
	v_lshlrev_b32_e32 v1, 2, v1
	v_cmp_eq_u32_e32 vcc, 0, v2
	v_and_b32_e32 v1, 0xfc, v1
	v_and_or_b32 v0, v0, 3, v1
	s_and_b64 s[26:27], vcc, s[26:27]
	v_cndmask_b32_e64 v0, v0, 0, s[26:27]
	v_or_b32_e32 v41, v0, v3
.LBB6_2768:                             ;   in Loop: Header=BB6_138 Depth=3
	s_or_b64 exec, exec, s[34:35]
                                        ; implicit-def: $vgpr3
.LBB6_2769:                             ;   in Loop: Header=BB6_138 Depth=3
	s_andn2_saveexec_b64 s[26:27], s[30:31]
; %bb.2770:                             ;   in Loop: Header=BB6_138 Depth=3
	v_or_b32_e32 v41, 0x7b, v3
; %bb.2771:                             ;   in Loop: Header=BB6_138 Depth=3
	s_or_b64 exec, exec, s[26:27]
                                        ; implicit-def: $vgpr2
                                        ; implicit-def: $vgpr0_vgpr1
.LBB6_2772:                             ;   in Loop: Header=BB6_138 Depth=3
	s_andn2_saveexec_b64 s[26:27], s[94:95]
	s_cbranch_execz .LBB6_2778
; %bb.2773:                             ;   in Loop: Header=BB6_138 Depth=3
	v_cmp_ne_u64_e32 vcc, 0, v[0:1]
                                        ; implicit-def: $vgpr41
	s_and_saveexec_b64 s[62:63], vcc
	s_xor_b64 s[94:95], exec, s[62:63]
; %bb.2774:                             ;   in Loop: Header=BB6_138 Depth=3
	v_or_b32_sdwa v41, v2, s44 dst_sel:DWORD dst_unused:UNUSED_PAD src0_sel:BYTE_3 src1_sel:DWORD
                                        ; implicit-def: $vgpr2
; %bb.2775:                             ;   in Loop: Header=BB6_138 Depth=3
	s_andn2_saveexec_b64 s[94:95], s[94:95]
; %bb.2776:                             ;   in Loop: Header=BB6_138 Depth=3
	v_cmp_lt_i32_e32 vcc, -1, v2
	v_bfrev_b32_e32 v0, 0.5
	v_mov_b32_e32 v1, 0x7c
	v_cndmask_b32_e32 v41, v0, v1, vcc
; %bb.2777:                             ;   in Loop: Header=BB6_138 Depth=3
	s_or_b64 exec, exec, s[94:95]
.LBB6_2778:                             ;   in Loop: Header=BB6_138 Depth=3
	s_or_b64 exec, exec, s[26:27]
	v_lshrrev_b32_e32 v0, 16, v11
	v_cmp_ne_u16_sdwa s[62:63], v0, v33 src0_sel:BYTE_0 src1_sel:DWORD
	v_mov_b32_e32 v1, 0
	s_and_saveexec_b64 s[26:27], s[62:63]
	s_cbranch_execz .LBB6_2786
; %bb.2779:                             ;   in Loop: Header=BB6_138 Depth=3
	v_cmp_ne_u16_sdwa s[62:63], v0, s97 src0_sel:BYTE_0 src1_sel:DWORD
	v_bfrev_b32_e32 v1, 1
	s_and_saveexec_b64 s[94:95], s[62:63]
	s_cbranch_execz .LBB6_2785
; %bb.2780:                             ;   in Loop: Header=BB6_138 Depth=3
	v_and_b32_e32 v1, 0x7c0000, v11
	v_bfe_u32 v2, v11, 16, 2
	v_cmp_ne_u32_e32 vcc, s45, v1
                                        ; implicit-def: $vgpr1
	s_and_saveexec_b64 s[62:63], vcc
	s_xor_b64 s[30:31], exec, s[62:63]
	s_cbranch_execz .LBB6_2782
; %bb.2781:                             ;   in Loop: Header=BB6_138 Depth=3
	v_ffbh_u32_e32 v1, v2
	v_min_u32_e32 v4, 32, v1
	v_subrev_u32_e32 v1, 29, v4
	v_lshlrev_b64 v[0:1], v1, v[0:1]
	v_bfe_u32 v3, v11, 18, 5
	v_and_b32_e32 v0, 3, v0
	v_cmp_eq_u32_e32 vcc, 0, v3
	v_sub_u32_e32 v1, 30, v4
	v_cndmask_b32_e32 v0, v2, v0, vcc
	v_lshlrev_b32_e32 v2, 8, v11
	v_cndmask_b32_e32 v1, v3, v1, vcc
	v_and_b32_e32 v2, 0x80000000, v2
	v_lshl_add_u32 v1, v1, 23, v2
	v_lshl_or_b32 v0, v0, 21, v1
	v_add_u32_e32 v1, 0x38000000, v0
                                        ; implicit-def: $vgpr2
                                        ; implicit-def: $vgpr0
.LBB6_2782:                             ;   in Loop: Header=BB6_138 Depth=3
	s_andn2_saveexec_b64 s[30:31], s[30:31]
; %bb.2783:                             ;   in Loop: Header=BB6_138 Depth=3
	v_mov_b32_e32 v1, -1
	v_cmp_gt_i16_sdwa vcc, sext(v0), v1 src0_sel:BYTE_0 src1_sel:DWORD
	v_mov_b32_e32 v0, 0xff800000
	v_mov_b32_e32 v1, 0x7f800000
	v_cndmask_b32_e32 v0, v0, v1, vcc
	v_cmp_eq_u32_e32 vcc, 0, v2
	v_mov_b32_e32 v1, 0x7f800001
	v_cndmask_b32_e32 v1, v1, v0, vcc
; %bb.2784:                             ;   in Loop: Header=BB6_138 Depth=3
	s_or_b64 exec, exec, s[30:31]
.LBB6_2785:                             ;   in Loop: Header=BB6_138 Depth=3
	s_or_b64 exec, exec, s[94:95]
.LBB6_2786:                             ;   in Loop: Header=BB6_138 Depth=3
	s_or_b64 exec, exec, s[26:27]
	v_mul_f32_e32 v2, v14, v1
	v_and_b32_e32 v5, 0x7f800000, v2
	v_mov_b32_e32 v6, v33
	v_cmp_ne_u64_e32 vcc, s[76:77], v[5:6]
	v_and_b32_e32 v0, 0x7fffff, v2
	v_mov_b32_e32 v1, v33
                                        ; implicit-def: $vgpr42
	s_and_saveexec_b64 s[26:27], vcc
	s_xor_b64 s[94:95], exec, s[26:27]
	s_cbranch_execz .LBB6_2800
; %bb.2787:                             ;   in Loop: Header=BB6_138 Depth=3
	v_and_b32_e32 v5, 0x7fffffff, v2
	v_mov_b32_e32 v6, v33
	v_cmp_gt_u64_e32 vcc, s[78:79], v[5:6]
	v_and_b32_sdwa v3, v2, s97 dst_sel:DWORD dst_unused:UNUSED_PAD src0_sel:BYTE_3 src1_sel:DWORD
                                        ; implicit-def: $vgpr42
	s_and_saveexec_b64 s[26:27], vcc
	s_xor_b64 s[30:31], exec, s[26:27]
	s_cbranch_execz .LBB6_2797
; %bb.2788:                             ;   in Loop: Header=BB6_138 Depth=3
	v_mov_b32_e32 v42, 0
	v_cmp_ne_u32_e32 vcc, 0, v2
	s_and_saveexec_b64 s[34:35], vcc
	s_cbranch_execz .LBB6_2796
; %bb.2789:                             ;   in Loop: Header=BB6_138 Depth=3
	v_bfe_u32 v5, v2, 23, 8
	v_cmp_gt_u32_e64 s[26:27], s47, v5
	v_sub_u32_e32 v2, 0x71, v5
	v_cmp_eq_u32_e32 vcc, 0, v5
	v_cndmask_b32_e64 v2, 0, v2, s[26:27]
	v_mov_b32_e32 v6, 0x70
	v_cndmask_b32_e32 v6, v2, v6, vcc
	v_add_u32_e32 v2, 21, v6
	v_or_b32_e32 v4, 0x800000, v0
	v_lshlrev_b64 v[7:8], v2, -1
	v_cndmask_b32_e32 v0, v4, v0, vcc
	v_add_u32_e32 v2, 20, v6
	v_bfi_b32 v7, v7, 0, v0
	v_lshlrev_b64 v[16:17], v2, 1
	v_lshrrev_b64 v[0:1], v6, v[0:1]
	v_bfi_b32 v8, v8, 0, 0
	v_cmp_eq_u64_e64 s[26:27], v[7:8], v[16:17]
	v_mov_b32_e32 v2, v1
	v_mov_b32_e32 v1, v0
	s_and_saveexec_b64 s[36:37], s[26:27]
; %bb.2790:                             ;   in Loop: Header=BB6_138 Depth=3
	v_bfe_u32 v1, v0, 21, 1
	v_add_co_u32_e64 v1, s[26:27], v0, v1
	v_add_co_u32_e64 v1, s[26:27], -1, v1
; %bb.2791:                             ;   in Loop: Header=BB6_138 Depth=3
	s_or_b64 exec, exec, s[36:37]
	v_add_u32_e32 v2, 0xffffff81, v5
	v_mov_b32_e32 v4, 0xffffff82
	v_cndmask_b32_e32 v2, v2, v4, vcc
	v_lshrrev_b32_e32 v4, 23, v0
	v_add3_u32 v6, v6, v2, v4
	v_add_u32_e32 v5, 14, v6
	v_and_b32_e32 v1, 0x1fffff, v1
	v_add_u32_e32 v0, v1, v0
	v_mov_b32_e32 v1, v33
	v_cmp_ne_u32_e32 vcc, 0, v5
                                        ; implicit-def: $vgpr2
	s_and_saveexec_b64 s[26:27], vcc
	s_xor_b64 s[26:27], exec, s[26:27]
; %bb.2792:                             ;   in Loop: Header=BB6_138 Depth=3
	v_cmp_lt_u64_e32 vcc, s[88:89], v[0:1]
	v_add_u32_e32 v2, 15, v6
	v_cndmask_b32_e64 v4, 0, 1, vcc
	v_lshrrev_b64 v[0:1], v4, v[0:1]
	v_cndmask_b32_e32 v2, v5, v2, vcc
; %bb.2793:                             ;   in Loop: Header=BB6_138 Depth=3
	s_andn2_saveexec_b64 s[26:27], s[26:27]
; %bb.2794:                             ;   in Loop: Header=BB6_138 Depth=3
	v_bfe_u32 v2, v0, 23, 1
; %bb.2795:                             ;   in Loop: Header=BB6_138 Depth=3
	s_or_b64 exec, exec, s[26:27]
	v_lshrrev_b64 v[0:1], 21, v[0:1]
	v_cmp_gt_i32_e32 vcc, 32, v2
	v_cndmask_b32_e32 v1, 0, v1, vcc
	v_cndmask_b32_e32 v0, 3, v0, vcc
	v_cmp_eq_u64_e64 s[26:27], 0, v[0:1]
	v_min_i32_e32 v1, 31, v2
	v_lshlrev_b32_e32 v1, 2, v1
	v_cmp_eq_u32_e32 vcc, 0, v2
	v_and_b32_e32 v1, 0xfc, v1
	v_and_or_b32 v0, v0, 3, v1
	s_and_b64 s[26:27], vcc, s[26:27]
	v_cndmask_b32_e64 v0, v0, 0, s[26:27]
	v_or_b32_e32 v42, v0, v3
.LBB6_2796:                             ;   in Loop: Header=BB6_138 Depth=3
	s_or_b64 exec, exec, s[34:35]
                                        ; implicit-def: $vgpr3
.LBB6_2797:                             ;   in Loop: Header=BB6_138 Depth=3
	s_andn2_saveexec_b64 s[26:27], s[30:31]
; %bb.2798:                             ;   in Loop: Header=BB6_138 Depth=3
	v_or_b32_e32 v42, 0x7b, v3
; %bb.2799:                             ;   in Loop: Header=BB6_138 Depth=3
	s_or_b64 exec, exec, s[26:27]
                                        ; implicit-def: $vgpr2
                                        ; implicit-def: $vgpr0_vgpr1
.LBB6_2800:                             ;   in Loop: Header=BB6_138 Depth=3
	s_andn2_saveexec_b64 s[26:27], s[94:95]
	s_cbranch_execz .LBB6_2806
; %bb.2801:                             ;   in Loop: Header=BB6_138 Depth=3
	v_cmp_ne_u64_e32 vcc, 0, v[0:1]
                                        ; implicit-def: $vgpr42
	s_and_saveexec_b64 s[62:63], vcc
	s_xor_b64 s[94:95], exec, s[62:63]
; %bb.2802:                             ;   in Loop: Header=BB6_138 Depth=3
	v_or_b32_sdwa v42, v2, s44 dst_sel:DWORD dst_unused:UNUSED_PAD src0_sel:BYTE_3 src1_sel:DWORD
                                        ; implicit-def: $vgpr2
; %bb.2803:                             ;   in Loop: Header=BB6_138 Depth=3
	s_andn2_saveexec_b64 s[94:95], s[94:95]
; %bb.2804:                             ;   in Loop: Header=BB6_138 Depth=3
	v_cmp_lt_i32_e32 vcc, -1, v2
	v_bfrev_b32_e32 v0, 0.5
	v_mov_b32_e32 v1, 0x7c
	v_cndmask_b32_e32 v42, v0, v1, vcc
; %bb.2805:                             ;   in Loop: Header=BB6_138 Depth=3
	s_or_b64 exec, exec, s[94:95]
.LBB6_2806:                             ;   in Loop: Header=BB6_138 Depth=3
	s_or_b64 exec, exec, s[26:27]
	v_cmp_lt_u64_e32 vcc, s[56:57], v[10:11]
	v_mov_b32_e32 v1, 0
	s_and_saveexec_b64 s[26:27], vcc
	s_cbranch_execz .LBB6_2814
; %bb.2807:                             ;   in Loop: Header=BB6_138 Depth=3
	v_lshrrev_b32_e32 v0, 24, v11
	v_cmp_ne_u32_e32 vcc, s97, v0
	v_bfrev_b32_e32 v1, 1
	s_and_saveexec_b64 s[94:95], vcc
	s_cbranch_execz .LBB6_2813
; %bb.2808:                             ;   in Loop: Header=BB6_138 Depth=3
	v_and_b32_e32 v1, 0x7c000000, v11
	v_bfe_u32 v2, v11, 24, 2
	v_cmp_ne_u32_e32 vcc, s68, v1
                                        ; implicit-def: $vgpr1
	s_and_saveexec_b64 s[62:63], vcc
	s_xor_b64 s[30:31], exec, s[62:63]
	s_cbranch_execz .LBB6_2810
; %bb.2809:                             ;   in Loop: Header=BB6_138 Depth=3
	v_ffbh_u32_e32 v1, v2
	v_min_u32_e32 v4, 32, v1
	v_subrev_u32_e32 v1, 29, v4
	v_lshlrev_b64 v[0:1], v1, v[0:1]
	v_bfe_u32 v3, v11, 26, 5
	v_sub_u32_e32 v1, 30, v4
	v_and_b32_e32 v0, 3, v0
	v_cmp_eq_u32_e32 vcc, 0, v3
	v_cndmask_b32_e32 v1, v3, v1, vcc
	v_cndmask_b32_e32 v0, v2, v0, vcc
	v_and_b32_e32 v2, 0x80000000, v11
	v_lshl_add_u32 v1, v1, 23, v2
	v_lshl_or_b32 v0, v0, 21, v1
	v_add_u32_e32 v1, 0x38000000, v0
                                        ; implicit-def: $vgpr2
                                        ; implicit-def: $vgpr10_vgpr11
.LBB6_2810:                             ;   in Loop: Header=BB6_138 Depth=3
	s_andn2_saveexec_b64 s[30:31], s[30:31]
; %bb.2811:                             ;   in Loop: Header=BB6_138 Depth=3
	v_cmp_lt_i64_e32 vcc, -1, v[10:11]
	v_mov_b32_e32 v0, 0xff800000
	v_mov_b32_e32 v1, 0x7f800000
	v_cndmask_b32_e32 v0, v0, v1, vcc
	v_cmp_eq_u32_e32 vcc, 0, v2
	v_mov_b32_e32 v1, 0x7f800001
	v_cndmask_b32_e32 v1, v1, v0, vcc
; %bb.2812:                             ;   in Loop: Header=BB6_138 Depth=3
	s_or_b64 exec, exec, s[30:31]
.LBB6_2813:                             ;   in Loop: Header=BB6_138 Depth=3
	s_or_b64 exec, exec, s[94:95]
.LBB6_2814:                             ;   in Loop: Header=BB6_138 Depth=3
	s_or_b64 exec, exec, s[26:27]
	v_mul_f32_e32 v2, v14, v1
	v_and_b32_e32 v5, 0x7f800000, v2
	v_mov_b32_e32 v6, v33
	v_cmp_ne_u64_e32 vcc, s[76:77], v[5:6]
	v_and_b32_e32 v0, 0x7fffff, v2
	v_mov_b32_e32 v1, v33
                                        ; implicit-def: $vgpr43
	s_and_saveexec_b64 s[26:27], vcc
	s_xor_b64 s[94:95], exec, s[26:27]
	s_cbranch_execz .LBB6_2828
; %bb.2815:                             ;   in Loop: Header=BB6_138 Depth=3
	v_and_b32_e32 v5, 0x7fffffff, v2
	v_mov_b32_e32 v6, v33
	v_cmp_gt_u64_e32 vcc, s[78:79], v[5:6]
	v_and_b32_sdwa v3, v2, s97 dst_sel:DWORD dst_unused:UNUSED_PAD src0_sel:BYTE_3 src1_sel:DWORD
                                        ; implicit-def: $vgpr43
	s_and_saveexec_b64 s[26:27], vcc
	s_xor_b64 s[30:31], exec, s[26:27]
	s_cbranch_execz .LBB6_2825
; %bb.2816:                             ;   in Loop: Header=BB6_138 Depth=3
	v_mov_b32_e32 v43, 0
	v_cmp_ne_u32_e32 vcc, 0, v2
	s_and_saveexec_b64 s[34:35], vcc
	s_cbranch_execz .LBB6_2824
; %bb.2817:                             ;   in Loop: Header=BB6_138 Depth=3
	v_bfe_u32 v5, v2, 23, 8
	v_cmp_gt_u32_e64 s[26:27], s47, v5
	v_sub_u32_e32 v2, 0x71, v5
	v_cmp_eq_u32_e32 vcc, 0, v5
	v_cndmask_b32_e64 v2, 0, v2, s[26:27]
	v_mov_b32_e32 v6, 0x70
	v_cndmask_b32_e32 v6, v2, v6, vcc
	v_add_u32_e32 v2, 21, v6
	v_or_b32_e32 v4, 0x800000, v0
	v_lshlrev_b64 v[7:8], v2, -1
	v_cndmask_b32_e32 v0, v4, v0, vcc
	v_add_u32_e32 v2, 20, v6
	v_bfi_b32 v7, v7, 0, v0
	v_lshlrev_b64 v[9:10], v2, 1
	v_lshrrev_b64 v[0:1], v6, v[0:1]
	v_bfi_b32 v8, v8, 0, 0
	v_cmp_eq_u64_e64 s[26:27], v[7:8], v[9:10]
	v_mov_b32_e32 v2, v1
	v_mov_b32_e32 v1, v0
	s_and_saveexec_b64 s[36:37], s[26:27]
; %bb.2818:                             ;   in Loop: Header=BB6_138 Depth=3
	v_bfe_u32 v1, v0, 21, 1
	v_add_co_u32_e64 v1, s[26:27], v0, v1
	v_add_co_u32_e64 v1, s[26:27], -1, v1
; %bb.2819:                             ;   in Loop: Header=BB6_138 Depth=3
	s_or_b64 exec, exec, s[36:37]
	v_add_u32_e32 v2, 0xffffff81, v5
	v_mov_b32_e32 v4, 0xffffff82
	v_cndmask_b32_e32 v2, v2, v4, vcc
	v_lshrrev_b32_e32 v4, 23, v0
	v_add3_u32 v6, v6, v2, v4
	v_add_u32_e32 v5, 14, v6
	v_and_b32_e32 v1, 0x1fffff, v1
	v_add_u32_e32 v0, v1, v0
	v_mov_b32_e32 v1, v33
	v_cmp_ne_u32_e32 vcc, 0, v5
                                        ; implicit-def: $vgpr2
	s_and_saveexec_b64 s[26:27], vcc
	s_xor_b64 s[26:27], exec, s[26:27]
; %bb.2820:                             ;   in Loop: Header=BB6_138 Depth=3
	v_cmp_lt_u64_e32 vcc, s[88:89], v[0:1]
	v_add_u32_e32 v2, 15, v6
	v_cndmask_b32_e64 v4, 0, 1, vcc
	v_lshrrev_b64 v[0:1], v4, v[0:1]
	v_cndmask_b32_e32 v2, v5, v2, vcc
; %bb.2821:                             ;   in Loop: Header=BB6_138 Depth=3
	s_andn2_saveexec_b64 s[26:27], s[26:27]
; %bb.2822:                             ;   in Loop: Header=BB6_138 Depth=3
	v_bfe_u32 v2, v0, 23, 1
; %bb.2823:                             ;   in Loop: Header=BB6_138 Depth=3
	s_or_b64 exec, exec, s[26:27]
	v_lshrrev_b64 v[0:1], 21, v[0:1]
	v_cmp_gt_i32_e32 vcc, 32, v2
	v_cndmask_b32_e32 v1, 0, v1, vcc
	v_cndmask_b32_e32 v0, 3, v0, vcc
	v_cmp_eq_u64_e64 s[26:27], 0, v[0:1]
	v_min_i32_e32 v1, 31, v2
	v_lshlrev_b32_e32 v1, 2, v1
	v_cmp_eq_u32_e32 vcc, 0, v2
	v_and_b32_e32 v1, 0xfc, v1
	v_and_or_b32 v0, v0, 3, v1
	s_and_b64 s[26:27], vcc, s[26:27]
	v_cndmask_b32_e64 v0, v0, 0, s[26:27]
	v_or_b32_e32 v43, v0, v3
.LBB6_2824:                             ;   in Loop: Header=BB6_138 Depth=3
	s_or_b64 exec, exec, s[34:35]
                                        ; implicit-def: $vgpr3
.LBB6_2825:                             ;   in Loop: Header=BB6_138 Depth=3
	s_andn2_saveexec_b64 s[26:27], s[30:31]
; %bb.2826:                             ;   in Loop: Header=BB6_138 Depth=3
	v_or_b32_e32 v43, 0x7b, v3
; %bb.2827:                             ;   in Loop: Header=BB6_138 Depth=3
	s_or_b64 exec, exec, s[26:27]
                                        ; implicit-def: $vgpr2
                                        ; implicit-def: $vgpr0_vgpr1
.LBB6_2828:                             ;   in Loop: Header=BB6_138 Depth=3
	s_andn2_saveexec_b64 s[26:27], s[94:95]
	s_cbranch_execz .LBB6_2834
; %bb.2829:                             ;   in Loop: Header=BB6_138 Depth=3
	v_cmp_ne_u64_e32 vcc, 0, v[0:1]
                                        ; implicit-def: $vgpr43
	s_and_saveexec_b64 s[62:63], vcc
	s_xor_b64 s[94:95], exec, s[62:63]
; %bb.2830:                             ;   in Loop: Header=BB6_138 Depth=3
	v_or_b32_sdwa v43, v2, s44 dst_sel:DWORD dst_unused:UNUSED_PAD src0_sel:BYTE_3 src1_sel:DWORD
                                        ; implicit-def: $vgpr2
; %bb.2831:                             ;   in Loop: Header=BB6_138 Depth=3
	s_andn2_saveexec_b64 s[94:95], s[94:95]
; %bb.2832:                             ;   in Loop: Header=BB6_138 Depth=3
	v_cmp_lt_i32_e32 vcc, -1, v2
	v_bfrev_b32_e32 v0, 0.5
	v_mov_b32_e32 v1, 0x7c
	v_cndmask_b32_e32 v43, v0, v1, vcc
; %bb.2833:                             ;   in Loop: Header=BB6_138 Depth=3
	s_or_b64 exec, exec, s[94:95]
.LBB6_2834:                             ;   in Loop: Header=BB6_138 Depth=3
	s_or_b64 exec, exec, s[26:27]
	v_add_co_u32_e32 v0, vcc, 0x1000, v12
	v_addc_co_u32_e32 v1, vcc, 0, v13, vcc
	global_load_dwordx4 v[8:11], v[0:1], off offset:2048 glc slc
	v_mov_b32_e32 v0, 0
	s_waitcnt vmcnt(0)
	v_cmp_ne_u16_sdwa s[62:63], v8, v33 src0_sel:BYTE_0 src1_sel:DWORD
	s_and_saveexec_b64 s[26:27], s[62:63]
	s_cbranch_execz .LBB6_2842
; %bb.2835:                             ;   in Loop: Header=BB6_138 Depth=3
	v_cmp_ne_u16_sdwa s[62:63], sext(v8), s46 src0_sel:BYTE_0 src1_sel:DWORD
	v_bfrev_b32_e32 v0, 1
	s_and_saveexec_b64 s[94:95], s[62:63]
	s_cbranch_execz .LBB6_2841
; %bb.2836:                             ;   in Loop: Header=BB6_138 Depth=3
	v_and_b32_e32 v0, 0x7c, v8
	v_and_b32_e32 v1, 3, v8
	v_cmp_ne_u32_e32 vcc, s86, v0
                                        ; implicit-def: $vgpr0
	s_and_saveexec_b64 s[62:63], vcc
	s_xor_b64 s[30:31], exec, s[62:63]
	s_cbranch_execz .LBB6_2838
; %bb.2837:                             ;   in Loop: Header=BB6_138 Depth=3
	v_ffbh_u32_e32 v2, v1
	v_min_u32_e32 v4, 32, v2
	v_subrev_u32_e32 v2, 29, v4
	v_lshlrev_b64 v[2:3], v2, v[8:9]
	v_bfe_u32 v0, v8, 2, 5
	v_and_b32_e32 v2, 3, v2
	v_cmp_eq_u32_e32 vcc, 0, v0
	v_sub_u32_e32 v3, 30, v4
	v_cndmask_b32_e32 v1, v1, v2, vcc
	v_lshlrev_b32_e32 v2, 24, v8
	v_cndmask_b32_e32 v0, v0, v3, vcc
	v_and_b32_e32 v2, 0x80000000, v2
	v_lshl_add_u32 v0, v0, 23, v2
	v_lshl_or_b32 v0, v1, 21, v0
	v_add_u32_e32 v0, 0x38000000, v0
                                        ; implicit-def: $vgpr1
.LBB6_2838:                             ;   in Loop: Header=BB6_138 Depth=3
	s_andn2_saveexec_b64 s[30:31], s[30:31]
; %bb.2839:                             ;   in Loop: Header=BB6_138 Depth=3
	v_mov_b32_e32 v0, -1
	v_cmp_gt_i16_sdwa vcc, sext(v8), v0 src0_sel:BYTE_0 src1_sel:DWORD
	v_mov_b32_e32 v0, 0xff800000
	v_mov_b32_e32 v2, 0x7f800000
	v_cndmask_b32_e32 v0, v0, v2, vcc
	v_cmp_eq_u32_e32 vcc, 0, v1
	v_mov_b32_e32 v1, 0x7f800001
	v_cndmask_b32_e32 v0, v1, v0, vcc
; %bb.2840:                             ;   in Loop: Header=BB6_138 Depth=3
	s_or_b64 exec, exec, s[30:31]
.LBB6_2841:                             ;   in Loop: Header=BB6_138 Depth=3
	s_or_b64 exec, exec, s[94:95]
.LBB6_2842:                             ;   in Loop: Header=BB6_138 Depth=3
	s_or_b64 exec, exec, s[26:27]
	v_mul_f32_e32 v2, v14, v0
	v_and_b32_e32 v5, 0x7f800000, v2
	v_mov_b32_e32 v6, v33
	v_cmp_ne_u64_e32 vcc, s[76:77], v[5:6]
	v_and_b32_e32 v0, 0x7fffff, v2
	v_mov_b32_e32 v1, v33
                                        ; implicit-def: $vgpr45
	s_and_saveexec_b64 s[26:27], vcc
	s_xor_b64 s[94:95], exec, s[26:27]
	s_cbranch_execz .LBB6_2856
; %bb.2843:                             ;   in Loop: Header=BB6_138 Depth=3
	v_and_b32_e32 v5, 0x7fffffff, v2
	v_mov_b32_e32 v6, v33
	v_cmp_gt_u64_e32 vcc, s[78:79], v[5:6]
	v_and_b32_sdwa v3, v2, s97 dst_sel:DWORD dst_unused:UNUSED_PAD src0_sel:BYTE_3 src1_sel:DWORD
                                        ; implicit-def: $vgpr45
	s_and_saveexec_b64 s[26:27], vcc
	s_xor_b64 s[30:31], exec, s[26:27]
	s_cbranch_execz .LBB6_2853
; %bb.2844:                             ;   in Loop: Header=BB6_138 Depth=3
	v_mov_b32_e32 v45, 0
	v_cmp_ne_u32_e32 vcc, 0, v2
	s_and_saveexec_b64 s[34:35], vcc
	s_cbranch_execz .LBB6_2852
; %bb.2845:                             ;   in Loop: Header=BB6_138 Depth=3
	v_bfe_u32 v5, v2, 23, 8
	v_cmp_gt_u32_e64 s[26:27], s47, v5
	v_sub_u32_e32 v2, 0x71, v5
	v_cmp_eq_u32_e32 vcc, 0, v5
	v_cndmask_b32_e64 v2, 0, v2, s[26:27]
	v_mov_b32_e32 v6, 0x70
	v_cndmask_b32_e32 v6, v2, v6, vcc
	v_add_u32_e32 v2, 21, v6
	v_or_b32_e32 v4, 0x800000, v0
	v_lshlrev_b64 v[16:17], v2, -1
	v_cndmask_b32_e32 v0, v4, v0, vcc
	v_add_u32_e32 v2, 20, v6
	v_bfi_b32 v16, v16, 0, v0
	v_lshlrev_b64 v[18:19], v2, 1
	v_lshrrev_b64 v[0:1], v6, v[0:1]
	v_bfi_b32 v17, v17, 0, 0
	v_cmp_eq_u64_e64 s[26:27], v[16:17], v[18:19]
	v_mov_b32_e32 v2, v1
	v_mov_b32_e32 v1, v0
	s_and_saveexec_b64 s[36:37], s[26:27]
; %bb.2846:                             ;   in Loop: Header=BB6_138 Depth=3
	v_bfe_u32 v1, v0, 21, 1
	v_add_co_u32_e64 v1, s[26:27], v0, v1
	v_add_co_u32_e64 v1, s[26:27], -1, v1
; %bb.2847:                             ;   in Loop: Header=BB6_138 Depth=3
	s_or_b64 exec, exec, s[36:37]
	v_add_u32_e32 v2, 0xffffff81, v5
	v_mov_b32_e32 v4, 0xffffff82
	v_cndmask_b32_e32 v2, v2, v4, vcc
	v_lshrrev_b32_e32 v4, 23, v0
	v_add3_u32 v6, v6, v2, v4
	v_add_u32_e32 v5, 14, v6
	v_and_b32_e32 v1, 0x1fffff, v1
	v_add_u32_e32 v0, v1, v0
	v_mov_b32_e32 v1, v33
	v_cmp_ne_u32_e32 vcc, 0, v5
                                        ; implicit-def: $vgpr2
	s_and_saveexec_b64 s[26:27], vcc
	s_xor_b64 s[26:27], exec, s[26:27]
; %bb.2848:                             ;   in Loop: Header=BB6_138 Depth=3
	v_cmp_lt_u64_e32 vcc, s[88:89], v[0:1]
	v_add_u32_e32 v2, 15, v6
	v_cndmask_b32_e64 v4, 0, 1, vcc
	v_lshrrev_b64 v[0:1], v4, v[0:1]
	v_cndmask_b32_e32 v2, v5, v2, vcc
; %bb.2849:                             ;   in Loop: Header=BB6_138 Depth=3
	s_andn2_saveexec_b64 s[26:27], s[26:27]
; %bb.2850:                             ;   in Loop: Header=BB6_138 Depth=3
	v_bfe_u32 v2, v0, 23, 1
; %bb.2851:                             ;   in Loop: Header=BB6_138 Depth=3
	s_or_b64 exec, exec, s[26:27]
	v_lshrrev_b64 v[0:1], 21, v[0:1]
	v_cmp_gt_i32_e32 vcc, 32, v2
	v_cndmask_b32_e32 v1, 0, v1, vcc
	v_cndmask_b32_e32 v0, 3, v0, vcc
	v_cmp_eq_u64_e64 s[26:27], 0, v[0:1]
	v_min_i32_e32 v1, 31, v2
	v_lshlrev_b32_e32 v1, 2, v1
	v_cmp_eq_u32_e32 vcc, 0, v2
	v_and_b32_e32 v1, 0xfc, v1
	v_and_or_b32 v0, v0, 3, v1
	s_and_b64 s[26:27], vcc, s[26:27]
	v_cndmask_b32_e64 v0, v0, 0, s[26:27]
	v_or_b32_e32 v45, v0, v3
.LBB6_2852:                             ;   in Loop: Header=BB6_138 Depth=3
	s_or_b64 exec, exec, s[34:35]
                                        ; implicit-def: $vgpr3
.LBB6_2853:                             ;   in Loop: Header=BB6_138 Depth=3
	s_andn2_saveexec_b64 s[26:27], s[30:31]
; %bb.2854:                             ;   in Loop: Header=BB6_138 Depth=3
	v_or_b32_e32 v45, 0x7b, v3
; %bb.2855:                             ;   in Loop: Header=BB6_138 Depth=3
	s_or_b64 exec, exec, s[26:27]
                                        ; implicit-def: $vgpr2
                                        ; implicit-def: $vgpr0_vgpr1
.LBB6_2856:                             ;   in Loop: Header=BB6_138 Depth=3
	s_andn2_saveexec_b64 s[26:27], s[94:95]
	s_cbranch_execz .LBB6_2862
; %bb.2857:                             ;   in Loop: Header=BB6_138 Depth=3
	v_cmp_ne_u64_e32 vcc, 0, v[0:1]
                                        ; implicit-def: $vgpr45
	s_and_saveexec_b64 s[62:63], vcc
	s_xor_b64 s[94:95], exec, s[62:63]
; %bb.2858:                             ;   in Loop: Header=BB6_138 Depth=3
	v_or_b32_sdwa v45, v2, s44 dst_sel:DWORD dst_unused:UNUSED_PAD src0_sel:BYTE_3 src1_sel:DWORD
                                        ; implicit-def: $vgpr2
; %bb.2859:                             ;   in Loop: Header=BB6_138 Depth=3
	s_andn2_saveexec_b64 s[94:95], s[94:95]
; %bb.2860:                             ;   in Loop: Header=BB6_138 Depth=3
	v_cmp_lt_i32_e32 vcc, -1, v2
	v_bfrev_b32_e32 v0, 0.5
	v_mov_b32_e32 v1, 0x7c
	v_cndmask_b32_e32 v45, v0, v1, vcc
; %bb.2861:                             ;   in Loop: Header=BB6_138 Depth=3
	s_or_b64 exec, exec, s[94:95]
.LBB6_2862:                             ;   in Loop: Header=BB6_138 Depth=3
	s_or_b64 exec, exec, s[26:27]
	v_lshrrev_b16_e32 v0, 8, v8
	v_cmp_ne_u16_e32 vcc, 0, v0
	v_mov_b32_e32 v1, 0
	s_and_saveexec_b64 s[26:27], vcc
	s_cbranch_execz .LBB6_2870
; %bb.2863:                             ;   in Loop: Header=BB6_138 Depth=3
	v_cmp_ne_u16_e32 vcc, s97, v0
	v_bfrev_b32_e32 v1, 1
	s_and_saveexec_b64 s[94:95], vcc
	s_cbranch_execz .LBB6_2869
; %bb.2864:                             ;   in Loop: Header=BB6_138 Depth=3
	v_and_b32_e32 v1, 0x7c, v0
	v_and_b32_e32 v2, 3, v0
	v_cmp_ne_u32_e32 vcc, s86, v1
                                        ; implicit-def: $vgpr1
	s_and_saveexec_b64 s[62:63], vcc
	s_xor_b64 s[30:31], exec, s[62:63]
	s_cbranch_execz .LBB6_2866
; %bb.2865:                             ;   in Loop: Header=BB6_138 Depth=3
	v_ffbh_u32_e32 v4, v2
	v_min_u32_e32 v4, 32, v4
	v_mov_b32_e32 v1, v33
	v_subrev_u32_e32 v5, 29, v4
	v_bfe_u32 v3, v0, 2, 5
	v_lshlrev_b64 v[0:1], v5, v[0:1]
	v_cmp_eq_u32_e32 vcc, 0, v3
	v_and_b32_e32 v0, 3, v0
	v_sub_u32_e32 v1, 30, v4
	v_cndmask_b32_e32 v0, v2, v0, vcc
	v_lshlrev_b32_e32 v2, 16, v8
	v_cndmask_b32_e32 v1, v3, v1, vcc
	v_and_b32_e32 v2, 0x80000000, v2
	v_lshl_add_u32 v1, v1, 23, v2
	v_lshl_or_b32 v0, v0, 21, v1
	v_add_u32_e32 v1, 0x38000000, v0
                                        ; implicit-def: $vgpr2
.LBB6_2866:                             ;   in Loop: Header=BB6_138 Depth=3
	s_andn2_saveexec_b64 s[30:31], s[30:31]
; %bb.2867:                             ;   in Loop: Header=BB6_138 Depth=3
	v_cmp_lt_i16_e32 vcc, -1, v8
	v_mov_b32_e32 v0, 0xff800000
	v_mov_b32_e32 v1, 0x7f800000
	v_cndmask_b32_e32 v0, v0, v1, vcc
	v_cmp_eq_u32_e32 vcc, 0, v2
	v_mov_b32_e32 v1, 0x7f800001
	v_cndmask_b32_e32 v1, v1, v0, vcc
; %bb.2868:                             ;   in Loop: Header=BB6_138 Depth=3
	s_or_b64 exec, exec, s[30:31]
.LBB6_2869:                             ;   in Loop: Header=BB6_138 Depth=3
	s_or_b64 exec, exec, s[94:95]
.LBB6_2870:                             ;   in Loop: Header=BB6_138 Depth=3
	s_or_b64 exec, exec, s[26:27]
	v_mul_f32_e32 v2, v14, v1
	v_and_b32_e32 v5, 0x7f800000, v2
	v_mov_b32_e32 v6, v33
	v_cmp_ne_u64_e32 vcc, s[76:77], v[5:6]
	v_and_b32_e32 v0, 0x7fffff, v2
	v_mov_b32_e32 v1, v33
                                        ; implicit-def: $vgpr60
	s_and_saveexec_b64 s[26:27], vcc
	s_xor_b64 s[94:95], exec, s[26:27]
	s_cbranch_execz .LBB6_2884
; %bb.2871:                             ;   in Loop: Header=BB6_138 Depth=3
	v_and_b32_e32 v5, 0x7fffffff, v2
	v_mov_b32_e32 v6, v33
	v_cmp_gt_u64_e32 vcc, s[78:79], v[5:6]
	v_and_b32_sdwa v3, v2, s97 dst_sel:DWORD dst_unused:UNUSED_PAD src0_sel:BYTE_3 src1_sel:DWORD
                                        ; implicit-def: $vgpr60
	s_and_saveexec_b64 s[26:27], vcc
	s_xor_b64 s[30:31], exec, s[26:27]
	s_cbranch_execz .LBB6_2881
; %bb.2872:                             ;   in Loop: Header=BB6_138 Depth=3
	v_mov_b32_e32 v60, 0
	v_cmp_ne_u32_e32 vcc, 0, v2
	s_and_saveexec_b64 s[34:35], vcc
	s_cbranch_execz .LBB6_2880
; %bb.2873:                             ;   in Loop: Header=BB6_138 Depth=3
	v_bfe_u32 v5, v2, 23, 8
	v_cmp_gt_u32_e64 s[26:27], s47, v5
	v_sub_u32_e32 v2, 0x71, v5
	v_cmp_eq_u32_e32 vcc, 0, v5
	v_cndmask_b32_e64 v2, 0, v2, s[26:27]
	v_mov_b32_e32 v6, 0x70
	v_cndmask_b32_e32 v6, v2, v6, vcc
	v_add_u32_e32 v2, 21, v6
	v_or_b32_e32 v4, 0x800000, v0
	v_lshlrev_b64 v[16:17], v2, -1
	v_cndmask_b32_e32 v0, v4, v0, vcc
	v_add_u32_e32 v2, 20, v6
	v_bfi_b32 v16, v16, 0, v0
	v_lshlrev_b64 v[18:19], v2, 1
	v_lshrrev_b64 v[0:1], v6, v[0:1]
	v_bfi_b32 v17, v17, 0, 0
	v_cmp_eq_u64_e64 s[26:27], v[16:17], v[18:19]
	v_mov_b32_e32 v2, v1
	v_mov_b32_e32 v1, v0
	s_and_saveexec_b64 s[36:37], s[26:27]
; %bb.2874:                             ;   in Loop: Header=BB6_138 Depth=3
	v_bfe_u32 v1, v0, 21, 1
	v_add_co_u32_e64 v1, s[26:27], v0, v1
	v_add_co_u32_e64 v1, s[26:27], -1, v1
; %bb.2875:                             ;   in Loop: Header=BB6_138 Depth=3
	s_or_b64 exec, exec, s[36:37]
	v_add_u32_e32 v2, 0xffffff81, v5
	v_mov_b32_e32 v4, 0xffffff82
	v_cndmask_b32_e32 v2, v2, v4, vcc
	v_lshrrev_b32_e32 v4, 23, v0
	v_add3_u32 v6, v6, v2, v4
	v_add_u32_e32 v5, 14, v6
	v_and_b32_e32 v1, 0x1fffff, v1
	v_add_u32_e32 v0, v1, v0
	v_mov_b32_e32 v1, v33
	v_cmp_ne_u32_e32 vcc, 0, v5
                                        ; implicit-def: $vgpr2
	s_and_saveexec_b64 s[26:27], vcc
	s_xor_b64 s[26:27], exec, s[26:27]
; %bb.2876:                             ;   in Loop: Header=BB6_138 Depth=3
	v_cmp_lt_u64_e32 vcc, s[88:89], v[0:1]
	v_add_u32_e32 v2, 15, v6
	v_cndmask_b32_e64 v4, 0, 1, vcc
	v_lshrrev_b64 v[0:1], v4, v[0:1]
	v_cndmask_b32_e32 v2, v5, v2, vcc
; %bb.2877:                             ;   in Loop: Header=BB6_138 Depth=3
	s_andn2_saveexec_b64 s[26:27], s[26:27]
; %bb.2878:                             ;   in Loop: Header=BB6_138 Depth=3
	v_bfe_u32 v2, v0, 23, 1
; %bb.2879:                             ;   in Loop: Header=BB6_138 Depth=3
	s_or_b64 exec, exec, s[26:27]
	v_lshrrev_b64 v[0:1], 21, v[0:1]
	v_cmp_gt_i32_e32 vcc, 32, v2
	v_cndmask_b32_e32 v1, 0, v1, vcc
	v_cndmask_b32_e32 v0, 3, v0, vcc
	v_cmp_eq_u64_e64 s[26:27], 0, v[0:1]
	v_min_i32_e32 v1, 31, v2
	v_lshlrev_b32_e32 v1, 2, v1
	v_cmp_eq_u32_e32 vcc, 0, v2
	v_and_b32_e32 v1, 0xfc, v1
	v_and_or_b32 v0, v0, 3, v1
	s_and_b64 s[26:27], vcc, s[26:27]
	v_cndmask_b32_e64 v0, v0, 0, s[26:27]
	v_or_b32_e32 v60, v0, v3
.LBB6_2880:                             ;   in Loop: Header=BB6_138 Depth=3
	s_or_b64 exec, exec, s[34:35]
                                        ; implicit-def: $vgpr3
.LBB6_2881:                             ;   in Loop: Header=BB6_138 Depth=3
	s_andn2_saveexec_b64 s[26:27], s[30:31]
; %bb.2882:                             ;   in Loop: Header=BB6_138 Depth=3
	v_or_b32_e32 v60, 0x7b, v3
; %bb.2883:                             ;   in Loop: Header=BB6_138 Depth=3
	s_or_b64 exec, exec, s[26:27]
                                        ; implicit-def: $vgpr2
                                        ; implicit-def: $vgpr0_vgpr1
.LBB6_2884:                             ;   in Loop: Header=BB6_138 Depth=3
	s_andn2_saveexec_b64 s[26:27], s[94:95]
	s_cbranch_execz .LBB6_2890
; %bb.2885:                             ;   in Loop: Header=BB6_138 Depth=3
	v_cmp_ne_u64_e32 vcc, 0, v[0:1]
                                        ; implicit-def: $vgpr60
	s_and_saveexec_b64 s[62:63], vcc
	s_xor_b64 s[94:95], exec, s[62:63]
; %bb.2886:                             ;   in Loop: Header=BB6_138 Depth=3
	v_or_b32_sdwa v60, v2, s44 dst_sel:DWORD dst_unused:UNUSED_PAD src0_sel:BYTE_3 src1_sel:DWORD
                                        ; implicit-def: $vgpr2
; %bb.2887:                             ;   in Loop: Header=BB6_138 Depth=3
	s_andn2_saveexec_b64 s[94:95], s[94:95]
; %bb.2888:                             ;   in Loop: Header=BB6_138 Depth=3
	v_cmp_lt_i32_e32 vcc, -1, v2
	v_bfrev_b32_e32 v0, 0.5
	v_mov_b32_e32 v1, 0x7c
	v_cndmask_b32_e32 v60, v0, v1, vcc
; %bb.2889:                             ;   in Loop: Header=BB6_138 Depth=3
	s_or_b64 exec, exec, s[94:95]
.LBB6_2890:                             ;   in Loop: Header=BB6_138 Depth=3
	s_or_b64 exec, exec, s[26:27]
	v_lshrrev_b32_e32 v0, 16, v8
	v_cmp_ne_u16_sdwa s[62:63], v0, v33 src0_sel:BYTE_0 src1_sel:DWORD
	v_mov_b32_e32 v1, 0
	s_and_saveexec_b64 s[26:27], s[62:63]
	s_cbranch_execz .LBB6_2898
; %bb.2891:                             ;   in Loop: Header=BB6_138 Depth=3
	v_cmp_ne_u16_sdwa s[62:63], v0, s97 src0_sel:BYTE_0 src1_sel:DWORD
	v_bfrev_b32_e32 v1, 1
	s_and_saveexec_b64 s[94:95], s[62:63]
	s_cbranch_execz .LBB6_2897
; %bb.2892:                             ;   in Loop: Header=BB6_138 Depth=3
	v_and_b32_e32 v1, 0x7c0000, v8
	v_bfe_u32 v2, v8, 16, 2
	v_cmp_ne_u32_e32 vcc, s45, v1
                                        ; implicit-def: $vgpr1
	s_and_saveexec_b64 s[62:63], vcc
	s_xor_b64 s[30:31], exec, s[62:63]
	s_cbranch_execz .LBB6_2894
; %bb.2893:                             ;   in Loop: Header=BB6_138 Depth=3
	v_ffbh_u32_e32 v1, v2
	v_min_u32_e32 v4, 32, v1
	v_subrev_u32_e32 v1, 29, v4
	v_lshlrev_b64 v[0:1], v1, v[0:1]
	v_bfe_u32 v3, v8, 18, 5
	v_and_b32_e32 v0, 3, v0
	v_cmp_eq_u32_e32 vcc, 0, v3
	v_sub_u32_e32 v1, 30, v4
	v_cndmask_b32_e32 v0, v2, v0, vcc
	v_lshlrev_b32_e32 v2, 8, v8
	v_cndmask_b32_e32 v1, v3, v1, vcc
	v_and_b32_e32 v2, 0x80000000, v2
	v_lshl_add_u32 v1, v1, 23, v2
	v_lshl_or_b32 v0, v0, 21, v1
	v_add_u32_e32 v1, 0x38000000, v0
                                        ; implicit-def: $vgpr2
                                        ; implicit-def: $vgpr0
.LBB6_2894:                             ;   in Loop: Header=BB6_138 Depth=3
	s_andn2_saveexec_b64 s[30:31], s[30:31]
; %bb.2895:                             ;   in Loop: Header=BB6_138 Depth=3
	v_mov_b32_e32 v1, -1
	v_cmp_gt_i16_sdwa vcc, sext(v0), v1 src0_sel:BYTE_0 src1_sel:DWORD
	v_mov_b32_e32 v0, 0xff800000
	v_mov_b32_e32 v1, 0x7f800000
	v_cndmask_b32_e32 v0, v0, v1, vcc
	v_cmp_eq_u32_e32 vcc, 0, v2
	v_mov_b32_e32 v1, 0x7f800001
	v_cndmask_b32_e32 v1, v1, v0, vcc
; %bb.2896:                             ;   in Loop: Header=BB6_138 Depth=3
	s_or_b64 exec, exec, s[30:31]
.LBB6_2897:                             ;   in Loop: Header=BB6_138 Depth=3
	s_or_b64 exec, exec, s[94:95]
.LBB6_2898:                             ;   in Loop: Header=BB6_138 Depth=3
	s_or_b64 exec, exec, s[26:27]
	v_mul_f32_e32 v2, v14, v1
	v_and_b32_e32 v5, 0x7f800000, v2
	v_mov_b32_e32 v6, v33
	v_cmp_ne_u64_e32 vcc, s[76:77], v[5:6]
	v_and_b32_e32 v0, 0x7fffff, v2
	v_mov_b32_e32 v1, v33
                                        ; implicit-def: $vgpr61
	s_and_saveexec_b64 s[26:27], vcc
	s_xor_b64 s[94:95], exec, s[26:27]
	s_cbranch_execz .LBB6_2912
; %bb.2899:                             ;   in Loop: Header=BB6_138 Depth=3
	v_and_b32_e32 v5, 0x7fffffff, v2
	v_mov_b32_e32 v6, v33
	v_cmp_gt_u64_e32 vcc, s[78:79], v[5:6]
	v_and_b32_sdwa v3, v2, s97 dst_sel:DWORD dst_unused:UNUSED_PAD src0_sel:BYTE_3 src1_sel:DWORD
                                        ; implicit-def: $vgpr61
	s_and_saveexec_b64 s[26:27], vcc
	s_xor_b64 s[30:31], exec, s[26:27]
	s_cbranch_execz .LBB6_2909
; %bb.2900:                             ;   in Loop: Header=BB6_138 Depth=3
	v_mov_b32_e32 v61, 0
	v_cmp_ne_u32_e32 vcc, 0, v2
	s_and_saveexec_b64 s[34:35], vcc
	s_cbranch_execz .LBB6_2908
; %bb.2901:                             ;   in Loop: Header=BB6_138 Depth=3
	v_bfe_u32 v5, v2, 23, 8
	v_cmp_gt_u32_e64 s[26:27], s47, v5
	v_sub_u32_e32 v2, 0x71, v5
	v_cmp_eq_u32_e32 vcc, 0, v5
	v_cndmask_b32_e64 v2, 0, v2, s[26:27]
	v_mov_b32_e32 v6, 0x70
	v_cndmask_b32_e32 v6, v2, v6, vcc
	v_add_u32_e32 v2, 21, v6
	v_or_b32_e32 v4, 0x800000, v0
	v_lshlrev_b64 v[16:17], v2, -1
	v_cndmask_b32_e32 v0, v4, v0, vcc
	v_add_u32_e32 v2, 20, v6
	v_bfi_b32 v16, v16, 0, v0
	v_lshlrev_b64 v[18:19], v2, 1
	v_lshrrev_b64 v[0:1], v6, v[0:1]
	v_bfi_b32 v17, v17, 0, 0
	v_cmp_eq_u64_e64 s[26:27], v[16:17], v[18:19]
	v_mov_b32_e32 v2, v1
	v_mov_b32_e32 v1, v0
	s_and_saveexec_b64 s[36:37], s[26:27]
; %bb.2902:                             ;   in Loop: Header=BB6_138 Depth=3
	v_bfe_u32 v1, v0, 21, 1
	v_add_co_u32_e64 v1, s[26:27], v0, v1
	v_add_co_u32_e64 v1, s[26:27], -1, v1
; %bb.2903:                             ;   in Loop: Header=BB6_138 Depth=3
	s_or_b64 exec, exec, s[36:37]
	v_add_u32_e32 v2, 0xffffff81, v5
	v_mov_b32_e32 v4, 0xffffff82
	v_cndmask_b32_e32 v2, v2, v4, vcc
	v_lshrrev_b32_e32 v4, 23, v0
	v_add3_u32 v6, v6, v2, v4
	v_add_u32_e32 v5, 14, v6
	v_and_b32_e32 v1, 0x1fffff, v1
	v_add_u32_e32 v0, v1, v0
	v_mov_b32_e32 v1, v33
	v_cmp_ne_u32_e32 vcc, 0, v5
                                        ; implicit-def: $vgpr2
	s_and_saveexec_b64 s[26:27], vcc
	s_xor_b64 s[26:27], exec, s[26:27]
; %bb.2904:                             ;   in Loop: Header=BB6_138 Depth=3
	v_cmp_lt_u64_e32 vcc, s[88:89], v[0:1]
	v_add_u32_e32 v2, 15, v6
	v_cndmask_b32_e64 v4, 0, 1, vcc
	v_lshrrev_b64 v[0:1], v4, v[0:1]
	v_cndmask_b32_e32 v2, v5, v2, vcc
; %bb.2905:                             ;   in Loop: Header=BB6_138 Depth=3
	s_andn2_saveexec_b64 s[26:27], s[26:27]
; %bb.2906:                             ;   in Loop: Header=BB6_138 Depth=3
	v_bfe_u32 v2, v0, 23, 1
; %bb.2907:                             ;   in Loop: Header=BB6_138 Depth=3
	s_or_b64 exec, exec, s[26:27]
	v_lshrrev_b64 v[0:1], 21, v[0:1]
	v_cmp_gt_i32_e32 vcc, 32, v2
	v_cndmask_b32_e32 v1, 0, v1, vcc
	v_cndmask_b32_e32 v0, 3, v0, vcc
	v_cmp_eq_u64_e64 s[26:27], 0, v[0:1]
	v_min_i32_e32 v1, 31, v2
	v_lshlrev_b32_e32 v1, 2, v1
	v_cmp_eq_u32_e32 vcc, 0, v2
	v_and_b32_e32 v1, 0xfc, v1
	v_and_or_b32 v0, v0, 3, v1
	s_and_b64 s[26:27], vcc, s[26:27]
	v_cndmask_b32_e64 v0, v0, 0, s[26:27]
	v_or_b32_e32 v61, v0, v3
.LBB6_2908:                             ;   in Loop: Header=BB6_138 Depth=3
	s_or_b64 exec, exec, s[34:35]
                                        ; implicit-def: $vgpr3
.LBB6_2909:                             ;   in Loop: Header=BB6_138 Depth=3
	s_andn2_saveexec_b64 s[26:27], s[30:31]
; %bb.2910:                             ;   in Loop: Header=BB6_138 Depth=3
	v_or_b32_e32 v61, 0x7b, v3
; %bb.2911:                             ;   in Loop: Header=BB6_138 Depth=3
	s_or_b64 exec, exec, s[26:27]
                                        ; implicit-def: $vgpr2
                                        ; implicit-def: $vgpr0_vgpr1
.LBB6_2912:                             ;   in Loop: Header=BB6_138 Depth=3
	s_andn2_saveexec_b64 s[26:27], s[94:95]
	s_cbranch_execz .LBB6_2918
; %bb.2913:                             ;   in Loop: Header=BB6_138 Depth=3
	v_cmp_ne_u64_e32 vcc, 0, v[0:1]
                                        ; implicit-def: $vgpr61
	s_and_saveexec_b64 s[62:63], vcc
	s_xor_b64 s[94:95], exec, s[62:63]
; %bb.2914:                             ;   in Loop: Header=BB6_138 Depth=3
	v_or_b32_sdwa v61, v2, s44 dst_sel:DWORD dst_unused:UNUSED_PAD src0_sel:BYTE_3 src1_sel:DWORD
                                        ; implicit-def: $vgpr2
; %bb.2915:                             ;   in Loop: Header=BB6_138 Depth=3
	s_andn2_saveexec_b64 s[94:95], s[94:95]
; %bb.2916:                             ;   in Loop: Header=BB6_138 Depth=3
	v_cmp_lt_i32_e32 vcc, -1, v2
	v_bfrev_b32_e32 v0, 0.5
	v_mov_b32_e32 v1, 0x7c
	v_cndmask_b32_e32 v61, v0, v1, vcc
; %bb.2917:                             ;   in Loop: Header=BB6_138 Depth=3
	s_or_b64 exec, exec, s[94:95]
.LBB6_2918:                             ;   in Loop: Header=BB6_138 Depth=3
	s_or_b64 exec, exec, s[26:27]
	v_cmp_lt_u32_e32 vcc, s57, v8
	v_mov_b32_e32 v1, 0
	s_and_saveexec_b64 s[26:27], vcc
	s_cbranch_execz .LBB6_2926
; %bb.2919:                             ;   in Loop: Header=BB6_138 Depth=3
	v_lshrrev_b32_e32 v0, 24, v8
	v_cmp_ne_u32_e32 vcc, s97, v0
	v_bfrev_b32_e32 v1, 1
	s_and_saveexec_b64 s[94:95], vcc
	s_cbranch_execz .LBB6_2925
; %bb.2920:                             ;   in Loop: Header=BB6_138 Depth=3
	v_and_b32_e32 v1, 0x7c000000, v8
	v_bfe_u32 v2, v8, 24, 2
	v_cmp_ne_u32_e32 vcc, s68, v1
                                        ; implicit-def: $vgpr1
	s_and_saveexec_b64 s[62:63], vcc
	s_xor_b64 s[30:31], exec, s[62:63]
	s_cbranch_execz .LBB6_2922
; %bb.2921:                             ;   in Loop: Header=BB6_138 Depth=3
	v_ffbh_u32_e32 v1, v2
	v_min_u32_e32 v4, 32, v1
	v_subrev_u32_e32 v1, 29, v4
	v_lshlrev_b64 v[0:1], v1, v[0:1]
	v_bfe_u32 v3, v8, 26, 5
	v_sub_u32_e32 v1, 30, v4
	v_and_b32_e32 v0, 3, v0
	v_cmp_eq_u32_e32 vcc, 0, v3
	v_cndmask_b32_e32 v1, v3, v1, vcc
	v_cndmask_b32_e32 v0, v2, v0, vcc
	v_and_b32_e32 v2, 0x80000000, v8
	v_lshl_add_u32 v1, v1, 23, v2
	v_lshl_or_b32 v0, v0, 21, v1
	v_add_u32_e32 v1, 0x38000000, v0
                                        ; implicit-def: $vgpr2
.LBB6_2922:                             ;   in Loop: Header=BB6_138 Depth=3
	s_andn2_saveexec_b64 s[30:31], s[30:31]
; %bb.2923:                             ;   in Loop: Header=BB6_138 Depth=3
	v_cmp_lt_i32_e32 vcc, -1, v8
	v_mov_b32_e32 v0, 0xff800000
	v_mov_b32_e32 v1, 0x7f800000
	v_cndmask_b32_e32 v0, v0, v1, vcc
	v_cmp_eq_u32_e32 vcc, 0, v2
	v_mov_b32_e32 v1, 0x7f800001
	v_cndmask_b32_e32 v1, v1, v0, vcc
; %bb.2924:                             ;   in Loop: Header=BB6_138 Depth=3
	s_or_b64 exec, exec, s[30:31]
.LBB6_2925:                             ;   in Loop: Header=BB6_138 Depth=3
	s_or_b64 exec, exec, s[94:95]
.LBB6_2926:                             ;   in Loop: Header=BB6_138 Depth=3
	s_or_b64 exec, exec, s[26:27]
	v_mul_f32_e32 v2, v14, v1
	v_and_b32_e32 v5, 0x7f800000, v2
	v_mov_b32_e32 v6, v33
	v_cmp_ne_u64_e32 vcc, s[76:77], v[5:6]
	v_and_b32_e32 v0, 0x7fffff, v2
	v_mov_b32_e32 v1, v33
                                        ; implicit-def: $vgpr5
	s_and_saveexec_b64 s[26:27], vcc
	s_xor_b64 s[94:95], exec, s[26:27]
	s_cbranch_execz .LBB6_2940
; %bb.2927:                             ;   in Loop: Header=BB6_138 Depth=3
	v_and_b32_e32 v5, 0x7fffffff, v2
	v_mov_b32_e32 v6, v33
	v_cmp_gt_u64_e32 vcc, s[78:79], v[5:6]
	v_and_b32_sdwa v3, v2, s97 dst_sel:DWORD dst_unused:UNUSED_PAD src0_sel:BYTE_3 src1_sel:DWORD
                                        ; implicit-def: $vgpr5
	s_and_saveexec_b64 s[26:27], vcc
	s_xor_b64 s[30:31], exec, s[26:27]
	s_cbranch_execz .LBB6_2937
; %bb.2928:                             ;   in Loop: Header=BB6_138 Depth=3
	v_mov_b32_e32 v5, 0
	v_cmp_ne_u32_e32 vcc, 0, v2
	s_and_saveexec_b64 s[34:35], vcc
	s_cbranch_execz .LBB6_2936
; %bb.2929:                             ;   in Loop: Header=BB6_138 Depth=3
	v_bfe_u32 v5, v2, 23, 8
	v_cmp_gt_u32_e64 s[26:27], s47, v5
	v_sub_u32_e32 v2, 0x71, v5
	v_cmp_eq_u32_e32 vcc, 0, v5
	v_cndmask_b32_e64 v2, 0, v2, s[26:27]
	v_mov_b32_e32 v6, 0x70
	v_cndmask_b32_e32 v6, v2, v6, vcc
	v_add_u32_e32 v2, 21, v6
	v_or_b32_e32 v4, 0x800000, v0
	v_lshlrev_b64 v[16:17], v2, -1
	v_cndmask_b32_e32 v0, v4, v0, vcc
	v_add_u32_e32 v2, 20, v6
	v_bfi_b32 v16, v16, 0, v0
	v_lshlrev_b64 v[18:19], v2, 1
	v_lshrrev_b64 v[0:1], v6, v[0:1]
	v_bfi_b32 v17, v17, 0, 0
	v_cmp_eq_u64_e64 s[26:27], v[16:17], v[18:19]
	v_mov_b32_e32 v2, v1
	v_mov_b32_e32 v1, v0
	s_and_saveexec_b64 s[36:37], s[26:27]
; %bb.2930:                             ;   in Loop: Header=BB6_138 Depth=3
	v_bfe_u32 v1, v0, 21, 1
	v_add_co_u32_e64 v1, s[26:27], v0, v1
	v_add_co_u32_e64 v1, s[26:27], -1, v1
; %bb.2931:                             ;   in Loop: Header=BB6_138 Depth=3
	s_or_b64 exec, exec, s[36:37]
	v_add_u32_e32 v2, 0xffffff81, v5
	v_mov_b32_e32 v4, 0xffffff82
	v_cndmask_b32_e32 v2, v2, v4, vcc
	v_lshrrev_b32_e32 v4, 23, v0
	v_add3_u32 v6, v6, v2, v4
	v_add_u32_e32 v5, 14, v6
	v_and_b32_e32 v1, 0x1fffff, v1
	v_add_u32_e32 v0, v1, v0
	v_mov_b32_e32 v1, v33
	v_cmp_ne_u32_e32 vcc, 0, v5
                                        ; implicit-def: $vgpr2
	s_and_saveexec_b64 s[26:27], vcc
	s_xor_b64 s[26:27], exec, s[26:27]
; %bb.2932:                             ;   in Loop: Header=BB6_138 Depth=3
	v_cmp_lt_u64_e32 vcc, s[88:89], v[0:1]
	v_add_u32_e32 v2, 15, v6
	v_cndmask_b32_e64 v4, 0, 1, vcc
	v_lshrrev_b64 v[0:1], v4, v[0:1]
	v_cndmask_b32_e32 v2, v5, v2, vcc
; %bb.2933:                             ;   in Loop: Header=BB6_138 Depth=3
	s_andn2_saveexec_b64 s[26:27], s[26:27]
; %bb.2934:                             ;   in Loop: Header=BB6_138 Depth=3
	v_bfe_u32 v2, v0, 23, 1
; %bb.2935:                             ;   in Loop: Header=BB6_138 Depth=3
	s_or_b64 exec, exec, s[26:27]
	v_lshrrev_b64 v[0:1], 21, v[0:1]
	v_cmp_gt_i32_e32 vcc, 32, v2
	v_cndmask_b32_e32 v1, 0, v1, vcc
	v_cndmask_b32_e32 v0, 3, v0, vcc
	v_cmp_eq_u64_e64 s[26:27], 0, v[0:1]
	v_min_i32_e32 v1, 31, v2
	v_lshlrev_b32_e32 v1, 2, v1
	v_cmp_eq_u32_e32 vcc, 0, v2
	v_and_b32_e32 v1, 0xfc, v1
	v_and_or_b32 v0, v0, 3, v1
	s_and_b64 s[26:27], vcc, s[26:27]
	v_cndmask_b32_e64 v0, v0, 0, s[26:27]
	v_or_b32_e32 v5, v0, v3
.LBB6_2936:                             ;   in Loop: Header=BB6_138 Depth=3
	s_or_b64 exec, exec, s[34:35]
                                        ; implicit-def: $vgpr3
.LBB6_2937:                             ;   in Loop: Header=BB6_138 Depth=3
	s_andn2_saveexec_b64 s[26:27], s[30:31]
; %bb.2938:                             ;   in Loop: Header=BB6_138 Depth=3
	v_or_b32_e32 v5, 0x7b, v3
; %bb.2939:                             ;   in Loop: Header=BB6_138 Depth=3
	s_or_b64 exec, exec, s[26:27]
                                        ; implicit-def: $vgpr2
                                        ; implicit-def: $vgpr0_vgpr1
.LBB6_2940:                             ;   in Loop: Header=BB6_138 Depth=3
	s_andn2_saveexec_b64 s[26:27], s[94:95]
	s_cbranch_execz .LBB6_2946
; %bb.2941:                             ;   in Loop: Header=BB6_138 Depth=3
	v_cmp_ne_u64_e32 vcc, 0, v[0:1]
                                        ; implicit-def: $vgpr5
	s_and_saveexec_b64 s[62:63], vcc
	s_xor_b64 s[94:95], exec, s[62:63]
; %bb.2942:                             ;   in Loop: Header=BB6_138 Depth=3
	v_or_b32_sdwa v5, v2, s44 dst_sel:DWORD dst_unused:UNUSED_PAD src0_sel:BYTE_3 src1_sel:DWORD
                                        ; implicit-def: $vgpr2
; %bb.2943:                             ;   in Loop: Header=BB6_138 Depth=3
	s_andn2_saveexec_b64 s[94:95], s[94:95]
; %bb.2944:                             ;   in Loop: Header=BB6_138 Depth=3
	v_cmp_lt_i32_e32 vcc, -1, v2
	v_bfrev_b32_e32 v0, 0.5
	v_mov_b32_e32 v1, 0x7c
	v_cndmask_b32_e32 v5, v0, v1, vcc
; %bb.2945:                             ;   in Loop: Header=BB6_138 Depth=3
	s_or_b64 exec, exec, s[94:95]
.LBB6_2946:                             ;   in Loop: Header=BB6_138 Depth=3
	s_or_b64 exec, exec, s[26:27]
	v_mov_b32_e32 v0, v9
	v_mov_b32_e32 v1, v33
	v_cmp_ne_u16_sdwa s[62:63], v9, v33 src0_sel:BYTE_0 src1_sel:DWORD
	v_mov_b32_e32 v2, 0
	s_and_saveexec_b64 s[26:27], s[62:63]
	s_cbranch_execz .LBB6_2954
; %bb.2947:                             ;   in Loop: Header=BB6_138 Depth=3
	v_cmp_ne_u16_sdwa s[62:63], v9, s97 src0_sel:BYTE_0 src1_sel:DWORD
	v_bfrev_b32_e32 v2, 1
	s_and_saveexec_b64 s[94:95], s[62:63]
	s_cbranch_execz .LBB6_2953
; %bb.2948:                             ;   in Loop: Header=BB6_138 Depth=3
	v_and_b32_e32 v2, 0x7c, v9
	v_and_b32_e32 v3, 3, v9
	v_cmp_ne_u32_e32 vcc, s86, v2
                                        ; implicit-def: $vgpr2
	s_and_saveexec_b64 s[62:63], vcc
	s_xor_b64 s[30:31], exec, s[62:63]
	s_cbranch_execz .LBB6_2950
; %bb.2949:                             ;   in Loop: Header=BB6_138 Depth=3
	v_ffbh_u32_e32 v2, v3
	v_min_u32_e32 v6, 32, v2
	v_subrev_u32_e32 v2, 29, v6
	v_lshlrev_b64 v[1:2], v2, v[0:1]
	v_bfe_u32 v4, v9, 2, 5
	v_and_b32_e32 v1, 3, v1
	v_cmp_eq_u32_e32 vcc, 0, v4
	v_sub_u32_e32 v2, 30, v6
	v_cndmask_b32_e32 v1, v3, v1, vcc
	v_lshlrev_b32_e32 v3, 24, v9
	v_cndmask_b32_e32 v2, v4, v2, vcc
	v_and_b32_e32 v3, 0x80000000, v3
	v_lshl_add_u32 v2, v2, 23, v3
	v_lshl_or_b32 v1, v1, 21, v2
	v_add_u32_e32 v2, 0x38000000, v1
                                        ; implicit-def: $vgpr3
.LBB6_2950:                             ;   in Loop: Header=BB6_138 Depth=3
	s_andn2_saveexec_b64 s[30:31], s[30:31]
; %bb.2951:                             ;   in Loop: Header=BB6_138 Depth=3
	v_mov_b32_e32 v1, -1
	v_cmp_gt_i16_sdwa vcc, sext(v9), v1 src0_sel:BYTE_0 src1_sel:DWORD
	v_mov_b32_e32 v1, 0xff800000
	v_mov_b32_e32 v2, 0x7f800000
	v_cndmask_b32_e32 v1, v1, v2, vcc
	v_cmp_eq_u32_e32 vcc, 0, v3
	v_mov_b32_e32 v2, 0x7f800001
	v_cndmask_b32_e32 v2, v2, v1, vcc
; %bb.2952:                             ;   in Loop: Header=BB6_138 Depth=3
	s_or_b64 exec, exec, s[30:31]
.LBB6_2953:                             ;   in Loop: Header=BB6_138 Depth=3
	s_or_b64 exec, exec, s[94:95]
.LBB6_2954:                             ;   in Loop: Header=BB6_138 Depth=3
	s_or_b64 exec, exec, s[26:27]
	v_mul_f32_e32 v3, v14, v2
	v_and_b32_e32 v6, 0x7f800000, v3
	v_mov_b32_e32 v7, v33
	v_cmp_ne_u64_e32 vcc, s[76:77], v[6:7]
	v_and_b32_e32 v1, 0x7fffff, v3
	v_mov_b32_e32 v2, v33
                                        ; implicit-def: $vgpr46
	s_and_saveexec_b64 s[26:27], vcc
	s_xor_b64 s[94:95], exec, s[26:27]
	s_cbranch_execz .LBB6_2968
; %bb.2955:                             ;   in Loop: Header=BB6_138 Depth=3
	v_and_b32_e32 v6, 0x7fffffff, v3
	v_mov_b32_e32 v7, v33
	v_cmp_gt_u64_e32 vcc, s[78:79], v[6:7]
	v_and_b32_sdwa v6, v3, s97 dst_sel:DWORD dst_unused:UNUSED_PAD src0_sel:BYTE_3 src1_sel:DWORD
                                        ; implicit-def: $vgpr46
	s_and_saveexec_b64 s[26:27], vcc
	s_xor_b64 s[30:31], exec, s[26:27]
	s_cbranch_execz .LBB6_2965
; %bb.2956:                             ;   in Loop: Header=BB6_138 Depth=3
	v_mov_b32_e32 v46, 0
	v_cmp_ne_u32_e32 vcc, 0, v3
	s_and_saveexec_b64 s[34:35], vcc
	s_cbranch_execz .LBB6_2964
; %bb.2957:                             ;   in Loop: Header=BB6_138 Depth=3
	v_bfe_u32 v7, v3, 23, 8
	v_cmp_gt_u32_e64 s[26:27], s47, v7
	v_sub_u32_e32 v3, 0x71, v7
	v_cmp_eq_u32_e32 vcc, 0, v7
	v_cndmask_b32_e64 v3, 0, v3, s[26:27]
	v_mov_b32_e32 v16, 0x70
	v_cndmask_b32_e32 v16, v3, v16, vcc
	v_add_u32_e32 v3, 21, v16
	v_or_b32_e32 v4, 0x800000, v1
	v_lshlrev_b64 v[17:18], v3, -1
	v_cndmask_b32_e32 v1, v4, v1, vcc
	v_add_u32_e32 v3, 20, v16
	v_bfi_b32 v17, v17, 0, v1
	v_lshlrev_b64 v[24:25], v3, 1
	v_lshrrev_b64 v[1:2], v16, v[1:2]
	v_bfi_b32 v18, v18, 0, 0
	v_cmp_eq_u64_e64 s[26:27], v[17:18], v[24:25]
	v_mov_b32_e32 v3, v2
	v_mov_b32_e32 v2, v1
	s_and_saveexec_b64 s[36:37], s[26:27]
; %bb.2958:                             ;   in Loop: Header=BB6_138 Depth=3
	v_bfe_u32 v2, v1, 21, 1
	v_add_co_u32_e64 v2, s[26:27], v1, v2
	v_add_co_u32_e64 v2, s[26:27], -1, v2
; %bb.2959:                             ;   in Loop: Header=BB6_138 Depth=3
	s_or_b64 exec, exec, s[36:37]
	v_add_u32_e32 v3, 0xffffff81, v7
	v_mov_b32_e32 v4, 0xffffff82
	v_cndmask_b32_e32 v3, v3, v4, vcc
	v_lshrrev_b32_e32 v4, 23, v1
	v_add3_u32 v16, v16, v3, v4
	v_add_u32_e32 v7, 14, v16
	v_and_b32_e32 v2, 0x1fffff, v2
	v_add_u32_e32 v1, v2, v1
	v_mov_b32_e32 v2, v33
	v_cmp_ne_u32_e32 vcc, 0, v7
                                        ; implicit-def: $vgpr3
	s_and_saveexec_b64 s[26:27], vcc
	s_xor_b64 s[26:27], exec, s[26:27]
; %bb.2960:                             ;   in Loop: Header=BB6_138 Depth=3
	v_cmp_lt_u64_e32 vcc, s[88:89], v[1:2]
	v_add_u32_e32 v3, 15, v16
	v_cndmask_b32_e64 v4, 0, 1, vcc
	v_lshrrev_b64 v[1:2], v4, v[1:2]
	v_cndmask_b32_e32 v3, v7, v3, vcc
; %bb.2961:                             ;   in Loop: Header=BB6_138 Depth=3
	s_andn2_saveexec_b64 s[26:27], s[26:27]
; %bb.2962:                             ;   in Loop: Header=BB6_138 Depth=3
	v_bfe_u32 v3, v1, 23, 1
; %bb.2963:                             ;   in Loop: Header=BB6_138 Depth=3
	s_or_b64 exec, exec, s[26:27]
	v_lshrrev_b64 v[1:2], 21, v[1:2]
	v_cmp_gt_i32_e32 vcc, 32, v3
	v_cndmask_b32_e32 v2, 0, v2, vcc
	v_cndmask_b32_e32 v1, 3, v1, vcc
	v_cmp_eq_u64_e64 s[26:27], 0, v[1:2]
	v_min_i32_e32 v2, 31, v3
	v_lshlrev_b32_e32 v2, 2, v2
	v_cmp_eq_u32_e32 vcc, 0, v3
	v_and_b32_e32 v2, 0xfc, v2
	v_and_or_b32 v1, v1, 3, v2
	s_and_b64 s[26:27], vcc, s[26:27]
	v_cndmask_b32_e64 v1, v1, 0, s[26:27]
	v_or_b32_e32 v46, v1, v6
.LBB6_2964:                             ;   in Loop: Header=BB6_138 Depth=3
	s_or_b64 exec, exec, s[34:35]
                                        ; implicit-def: $vgpr6
.LBB6_2965:                             ;   in Loop: Header=BB6_138 Depth=3
	s_andn2_saveexec_b64 s[26:27], s[30:31]
; %bb.2966:                             ;   in Loop: Header=BB6_138 Depth=3
	v_or_b32_e32 v46, 0x7b, v6
; %bb.2967:                             ;   in Loop: Header=BB6_138 Depth=3
	s_or_b64 exec, exec, s[26:27]
                                        ; implicit-def: $vgpr3
                                        ; implicit-def: $vgpr1_vgpr2
.LBB6_2968:                             ;   in Loop: Header=BB6_138 Depth=3
	s_andn2_saveexec_b64 s[26:27], s[94:95]
	s_cbranch_execz .LBB6_2974
; %bb.2969:                             ;   in Loop: Header=BB6_138 Depth=3
	v_cmp_ne_u64_e32 vcc, 0, v[1:2]
                                        ; implicit-def: $vgpr46
	s_and_saveexec_b64 s[62:63], vcc
	s_xor_b64 s[94:95], exec, s[62:63]
; %bb.2970:                             ;   in Loop: Header=BB6_138 Depth=3
	v_or_b32_sdwa v46, v3, s44 dst_sel:DWORD dst_unused:UNUSED_PAD src0_sel:BYTE_3 src1_sel:DWORD
                                        ; implicit-def: $vgpr3
; %bb.2971:                             ;   in Loop: Header=BB6_138 Depth=3
	s_andn2_saveexec_b64 s[94:95], s[94:95]
; %bb.2972:                             ;   in Loop: Header=BB6_138 Depth=3
	v_cmp_lt_i32_e32 vcc, -1, v3
	v_bfrev_b32_e32 v1, 0.5
	v_mov_b32_e32 v2, 0x7c
	v_cndmask_b32_e32 v46, v1, v2, vcc
; %bb.2973:                             ;   in Loop: Header=BB6_138 Depth=3
	s_or_b64 exec, exec, s[94:95]
.LBB6_2974:                             ;   in Loop: Header=BB6_138 Depth=3
	s_or_b64 exec, exec, s[26:27]
	v_lshrrev_b16_e32 v1, 8, v0
	v_cmp_ne_u16_e32 vcc, 0, v1
	v_mov_b32_e32 v2, 0
	s_and_saveexec_b64 s[26:27], vcc
	s_cbranch_execz .LBB6_2982
; %bb.2975:                             ;   in Loop: Header=BB6_138 Depth=3
	v_cmp_ne_u16_e32 vcc, s97, v1
	v_bfrev_b32_e32 v2, 1
	s_and_saveexec_b64 s[94:95], vcc
	s_cbranch_execz .LBB6_2981
; %bb.2976:                             ;   in Loop: Header=BB6_138 Depth=3
	v_and_b32_e32 v2, 0x7c, v1
	v_and_b32_e32 v3, 3, v1
	v_cmp_ne_u32_e32 vcc, s86, v2
                                        ; implicit-def: $vgpr2
	s_and_saveexec_b64 s[62:63], vcc
	s_xor_b64 s[30:31], exec, s[62:63]
	s_cbranch_execz .LBB6_2978
; %bb.2977:                             ;   in Loop: Header=BB6_138 Depth=3
	v_ffbh_u32_e32 v6, v3
	v_min_u32_e32 v6, 32, v6
	v_mov_b32_e32 v2, v33
	v_subrev_u32_e32 v7, 29, v6
	v_bfe_u32 v4, v1, 2, 5
	v_lshlrev_b64 v[1:2], v7, v[1:2]
	v_sub_u32_e32 v2, 30, v6
	v_cmp_eq_u32_e32 vcc, 0, v4
	v_lshlrev_b32_e32 v0, 16, v0
	v_and_b32_e32 v1, 3, v1
	v_cndmask_b32_e32 v2, v4, v2, vcc
	v_and_b32_e32 v0, 0x80000000, v0
	v_cndmask_b32_e32 v1, v3, v1, vcc
	v_lshl_add_u32 v0, v2, 23, v0
	v_lshl_or_b32 v0, v1, 21, v0
	v_add_u32_e32 v2, 0x38000000, v0
                                        ; implicit-def: $vgpr3
                                        ; implicit-def: $vgpr0_vgpr1
.LBB6_2978:                             ;   in Loop: Header=BB6_138 Depth=3
	s_andn2_saveexec_b64 s[30:31], s[30:31]
; %bb.2979:                             ;   in Loop: Header=BB6_138 Depth=3
	v_cmp_lt_i16_e32 vcc, -1, v0
	v_mov_b32_e32 v0, 0xff800000
	v_mov_b32_e32 v1, 0x7f800000
	v_cndmask_b32_e32 v0, v0, v1, vcc
	v_cmp_eq_u32_e32 vcc, 0, v3
	v_mov_b32_e32 v1, 0x7f800001
	v_cndmask_b32_e32 v2, v1, v0, vcc
; %bb.2980:                             ;   in Loop: Header=BB6_138 Depth=3
	s_or_b64 exec, exec, s[30:31]
.LBB6_2981:                             ;   in Loop: Header=BB6_138 Depth=3
	s_or_b64 exec, exec, s[94:95]
.LBB6_2982:                             ;   in Loop: Header=BB6_138 Depth=3
	s_or_b64 exec, exec, s[26:27]
	v_mul_f32_e32 v2, v14, v2
	v_and_b32_e32 v6, 0x7f800000, v2
	v_mov_b32_e32 v7, v33
	v_cmp_ne_u64_e32 vcc, s[76:77], v[6:7]
	v_and_b32_e32 v0, 0x7fffff, v2
	v_mov_b32_e32 v1, v33
                                        ; implicit-def: $vgpr47
	s_and_saveexec_b64 s[26:27], vcc
	s_xor_b64 s[94:95], exec, s[26:27]
	s_cbranch_execz .LBB6_2996
; %bb.2983:                             ;   in Loop: Header=BB6_138 Depth=3
	v_and_b32_e32 v6, 0x7fffffff, v2
	v_mov_b32_e32 v7, v33
	v_cmp_gt_u64_e32 vcc, s[78:79], v[6:7]
	v_and_b32_sdwa v3, v2, s97 dst_sel:DWORD dst_unused:UNUSED_PAD src0_sel:BYTE_3 src1_sel:DWORD
                                        ; implicit-def: $vgpr47
	s_and_saveexec_b64 s[26:27], vcc
	s_xor_b64 s[30:31], exec, s[26:27]
	s_cbranch_execz .LBB6_2993
; %bb.2984:                             ;   in Loop: Header=BB6_138 Depth=3
	v_mov_b32_e32 v47, 0
	v_cmp_ne_u32_e32 vcc, 0, v2
	s_and_saveexec_b64 s[34:35], vcc
	s_cbranch_execz .LBB6_2992
; %bb.2985:                             ;   in Loop: Header=BB6_138 Depth=3
	v_bfe_u32 v6, v2, 23, 8
	v_cmp_gt_u32_e64 s[26:27], s47, v6
	v_sub_u32_e32 v2, 0x71, v6
	v_cmp_eq_u32_e32 vcc, 0, v6
	v_cndmask_b32_e64 v2, 0, v2, s[26:27]
	v_mov_b32_e32 v7, 0x70
	v_cndmask_b32_e32 v7, v2, v7, vcc
	v_add_u32_e32 v2, 21, v7
	v_or_b32_e32 v4, 0x800000, v0
	v_lshlrev_b64 v[16:17], v2, -1
	v_cndmask_b32_e32 v0, v4, v0, vcc
	v_add_u32_e32 v2, 20, v7
	v_bfi_b32 v16, v16, 0, v0
	v_lshlrev_b64 v[18:19], v2, 1
	v_lshrrev_b64 v[0:1], v7, v[0:1]
	v_bfi_b32 v17, v17, 0, 0
	v_cmp_eq_u64_e64 s[26:27], v[16:17], v[18:19]
	v_mov_b32_e32 v2, v1
	v_mov_b32_e32 v1, v0
	s_and_saveexec_b64 s[36:37], s[26:27]
; %bb.2986:                             ;   in Loop: Header=BB6_138 Depth=3
	v_bfe_u32 v1, v0, 21, 1
	v_add_co_u32_e64 v1, s[26:27], v0, v1
	v_add_co_u32_e64 v1, s[26:27], -1, v1
; %bb.2987:                             ;   in Loop: Header=BB6_138 Depth=3
	s_or_b64 exec, exec, s[36:37]
	v_add_u32_e32 v2, 0xffffff81, v6
	v_mov_b32_e32 v4, 0xffffff82
	v_cndmask_b32_e32 v2, v2, v4, vcc
	v_lshrrev_b32_e32 v4, 23, v0
	v_add3_u32 v7, v7, v2, v4
	v_add_u32_e32 v6, 14, v7
	v_and_b32_e32 v1, 0x1fffff, v1
	v_add_u32_e32 v0, v1, v0
	v_mov_b32_e32 v1, v33
	v_cmp_ne_u32_e32 vcc, 0, v6
                                        ; implicit-def: $vgpr2
	s_and_saveexec_b64 s[26:27], vcc
	s_xor_b64 s[26:27], exec, s[26:27]
; %bb.2988:                             ;   in Loop: Header=BB6_138 Depth=3
	v_cmp_lt_u64_e32 vcc, s[88:89], v[0:1]
	v_add_u32_e32 v2, 15, v7
	v_cndmask_b32_e64 v4, 0, 1, vcc
	v_lshrrev_b64 v[0:1], v4, v[0:1]
	v_cndmask_b32_e32 v2, v6, v2, vcc
; %bb.2989:                             ;   in Loop: Header=BB6_138 Depth=3
	s_andn2_saveexec_b64 s[26:27], s[26:27]
; %bb.2990:                             ;   in Loop: Header=BB6_138 Depth=3
	v_bfe_u32 v2, v0, 23, 1
; %bb.2991:                             ;   in Loop: Header=BB6_138 Depth=3
	s_or_b64 exec, exec, s[26:27]
	v_lshrrev_b64 v[0:1], 21, v[0:1]
	v_cmp_gt_i32_e32 vcc, 32, v2
	v_cndmask_b32_e32 v1, 0, v1, vcc
	v_cndmask_b32_e32 v0, 3, v0, vcc
	v_cmp_eq_u64_e64 s[26:27], 0, v[0:1]
	v_min_i32_e32 v1, 31, v2
	v_lshlrev_b32_e32 v1, 2, v1
	v_cmp_eq_u32_e32 vcc, 0, v2
	v_and_b32_e32 v1, 0xfc, v1
	v_and_or_b32 v0, v0, 3, v1
	s_and_b64 s[26:27], vcc, s[26:27]
	v_cndmask_b32_e64 v0, v0, 0, s[26:27]
	v_or_b32_e32 v47, v0, v3
.LBB6_2992:                             ;   in Loop: Header=BB6_138 Depth=3
	s_or_b64 exec, exec, s[34:35]
                                        ; implicit-def: $vgpr3
.LBB6_2993:                             ;   in Loop: Header=BB6_138 Depth=3
	s_andn2_saveexec_b64 s[26:27], s[30:31]
; %bb.2994:                             ;   in Loop: Header=BB6_138 Depth=3
	v_or_b32_e32 v47, 0x7b, v3
; %bb.2995:                             ;   in Loop: Header=BB6_138 Depth=3
	s_or_b64 exec, exec, s[26:27]
                                        ; implicit-def: $vgpr2
                                        ; implicit-def: $vgpr0_vgpr1
.LBB6_2996:                             ;   in Loop: Header=BB6_138 Depth=3
	s_andn2_saveexec_b64 s[26:27], s[94:95]
	s_cbranch_execz .LBB6_3002
; %bb.2997:                             ;   in Loop: Header=BB6_138 Depth=3
	v_cmp_ne_u64_e32 vcc, 0, v[0:1]
                                        ; implicit-def: $vgpr47
	s_and_saveexec_b64 s[62:63], vcc
	s_xor_b64 s[94:95], exec, s[62:63]
; %bb.2998:                             ;   in Loop: Header=BB6_138 Depth=3
	v_or_b32_sdwa v47, v2, s44 dst_sel:DWORD dst_unused:UNUSED_PAD src0_sel:BYTE_3 src1_sel:DWORD
                                        ; implicit-def: $vgpr2
; %bb.2999:                             ;   in Loop: Header=BB6_138 Depth=3
	s_andn2_saveexec_b64 s[94:95], s[94:95]
; %bb.3000:                             ;   in Loop: Header=BB6_138 Depth=3
	v_cmp_lt_i32_e32 vcc, -1, v2
	v_bfrev_b32_e32 v0, 0.5
	v_mov_b32_e32 v1, 0x7c
	v_cndmask_b32_e32 v47, v0, v1, vcc
; %bb.3001:                             ;   in Loop: Header=BB6_138 Depth=3
	s_or_b64 exec, exec, s[94:95]
.LBB6_3002:                             ;   in Loop: Header=BB6_138 Depth=3
	s_or_b64 exec, exec, s[26:27]
	v_lshrrev_b32_e32 v0, 16, v9
	v_cmp_ne_u16_sdwa s[62:63], v0, v33 src0_sel:BYTE_0 src1_sel:DWORD
	v_mov_b32_e32 v1, 0
	s_and_saveexec_b64 s[26:27], s[62:63]
	s_cbranch_execz .LBB6_3010
; %bb.3003:                             ;   in Loop: Header=BB6_138 Depth=3
	v_cmp_ne_u16_sdwa s[62:63], v0, s97 src0_sel:BYTE_0 src1_sel:DWORD
	v_bfrev_b32_e32 v1, 1
	s_and_saveexec_b64 s[94:95], s[62:63]
	s_cbranch_execz .LBB6_3009
; %bb.3004:                             ;   in Loop: Header=BB6_138 Depth=3
	v_and_b32_e32 v1, 0x7c0000, v9
	v_bfe_u32 v2, v9, 16, 2
	v_cmp_ne_u32_e32 vcc, s45, v1
                                        ; implicit-def: $vgpr1
	s_and_saveexec_b64 s[62:63], vcc
	s_xor_b64 s[30:31], exec, s[62:63]
	s_cbranch_execz .LBB6_3006
; %bb.3005:                             ;   in Loop: Header=BB6_138 Depth=3
	v_ffbh_u32_e32 v1, v2
	v_min_u32_e32 v4, 32, v1
	v_subrev_u32_e32 v1, 29, v4
	v_lshlrev_b64 v[0:1], v1, v[0:1]
	v_bfe_u32 v3, v9, 18, 5
	v_and_b32_e32 v0, 3, v0
	v_cmp_eq_u32_e32 vcc, 0, v3
	v_sub_u32_e32 v1, 30, v4
	v_cndmask_b32_e32 v0, v2, v0, vcc
	v_lshlrev_b32_e32 v2, 8, v9
	v_cndmask_b32_e32 v1, v3, v1, vcc
	v_and_b32_e32 v2, 0x80000000, v2
	v_lshl_add_u32 v1, v1, 23, v2
	v_lshl_or_b32 v0, v0, 21, v1
	v_add_u32_e32 v1, 0x38000000, v0
                                        ; implicit-def: $vgpr2
                                        ; implicit-def: $vgpr0
.LBB6_3006:                             ;   in Loop: Header=BB6_138 Depth=3
	s_andn2_saveexec_b64 s[30:31], s[30:31]
; %bb.3007:                             ;   in Loop: Header=BB6_138 Depth=3
	v_mov_b32_e32 v1, -1
	v_cmp_gt_i16_sdwa vcc, sext(v0), v1 src0_sel:BYTE_0 src1_sel:DWORD
	v_mov_b32_e32 v0, 0xff800000
	v_mov_b32_e32 v1, 0x7f800000
	v_cndmask_b32_e32 v0, v0, v1, vcc
	v_cmp_eq_u32_e32 vcc, 0, v2
	v_mov_b32_e32 v1, 0x7f800001
	v_cndmask_b32_e32 v1, v1, v0, vcc
; %bb.3008:                             ;   in Loop: Header=BB6_138 Depth=3
	s_or_b64 exec, exec, s[30:31]
.LBB6_3009:                             ;   in Loop: Header=BB6_138 Depth=3
	s_or_b64 exec, exec, s[94:95]
.LBB6_3010:                             ;   in Loop: Header=BB6_138 Depth=3
	s_or_b64 exec, exec, s[26:27]
	v_mul_f32_e32 v2, v14, v1
	v_and_b32_e32 v6, 0x7f800000, v2
	v_mov_b32_e32 v7, v33
	v_cmp_ne_u64_e32 vcc, s[76:77], v[6:7]
	v_and_b32_e32 v0, 0x7fffff, v2
	v_mov_b32_e32 v1, v33
                                        ; implicit-def: $vgpr25
	s_and_saveexec_b64 s[26:27], vcc
	s_xor_b64 s[94:95], exec, s[26:27]
	s_cbranch_execz .LBB6_3024
; %bb.3011:                             ;   in Loop: Header=BB6_138 Depth=3
	v_and_b32_e32 v6, 0x7fffffff, v2
	v_mov_b32_e32 v7, v33
	v_cmp_gt_u64_e32 vcc, s[78:79], v[6:7]
	v_and_b32_sdwa v3, v2, s97 dst_sel:DWORD dst_unused:UNUSED_PAD src0_sel:BYTE_3 src1_sel:DWORD
                                        ; implicit-def: $vgpr25
	s_and_saveexec_b64 s[26:27], vcc
	s_xor_b64 s[30:31], exec, s[26:27]
	s_cbranch_execz .LBB6_3021
; %bb.3012:                             ;   in Loop: Header=BB6_138 Depth=3
	v_mov_b32_e32 v25, 0
	v_cmp_ne_u32_e32 vcc, 0, v2
	s_and_saveexec_b64 s[34:35], vcc
	s_cbranch_execz .LBB6_3020
; %bb.3013:                             ;   in Loop: Header=BB6_138 Depth=3
	v_bfe_u32 v6, v2, 23, 8
	v_cmp_gt_u32_e64 s[26:27], s47, v6
	v_sub_u32_e32 v2, 0x71, v6
	v_cmp_eq_u32_e32 vcc, 0, v6
	v_cndmask_b32_e64 v2, 0, v2, s[26:27]
	v_mov_b32_e32 v7, 0x70
	v_cndmask_b32_e32 v7, v2, v7, vcc
	v_add_u32_e32 v2, 21, v7
	v_or_b32_e32 v4, 0x800000, v0
	v_lshlrev_b64 v[16:17], v2, -1
	v_cndmask_b32_e32 v0, v4, v0, vcc
	v_add_u32_e32 v2, 20, v7
	v_bfi_b32 v16, v16, 0, v0
	v_lshlrev_b64 v[18:19], v2, 1
	v_lshrrev_b64 v[0:1], v7, v[0:1]
	v_bfi_b32 v17, v17, 0, 0
	v_cmp_eq_u64_e64 s[26:27], v[16:17], v[18:19]
	v_mov_b32_e32 v2, v1
	v_mov_b32_e32 v1, v0
	s_and_saveexec_b64 s[36:37], s[26:27]
; %bb.3014:                             ;   in Loop: Header=BB6_138 Depth=3
	v_bfe_u32 v1, v0, 21, 1
	v_add_co_u32_e64 v1, s[26:27], v0, v1
	v_add_co_u32_e64 v1, s[26:27], -1, v1
; %bb.3015:                             ;   in Loop: Header=BB6_138 Depth=3
	s_or_b64 exec, exec, s[36:37]
	v_add_u32_e32 v2, 0xffffff81, v6
	v_mov_b32_e32 v4, 0xffffff82
	v_cndmask_b32_e32 v2, v2, v4, vcc
	v_lshrrev_b32_e32 v4, 23, v0
	v_add3_u32 v7, v7, v2, v4
	v_add_u32_e32 v6, 14, v7
	v_and_b32_e32 v1, 0x1fffff, v1
	v_add_u32_e32 v0, v1, v0
	v_mov_b32_e32 v1, v33
	v_cmp_ne_u32_e32 vcc, 0, v6
                                        ; implicit-def: $vgpr2
	s_and_saveexec_b64 s[26:27], vcc
	s_xor_b64 s[26:27], exec, s[26:27]
; %bb.3016:                             ;   in Loop: Header=BB6_138 Depth=3
	v_cmp_lt_u64_e32 vcc, s[88:89], v[0:1]
	v_add_u32_e32 v2, 15, v7
	v_cndmask_b32_e64 v4, 0, 1, vcc
	v_lshrrev_b64 v[0:1], v4, v[0:1]
	v_cndmask_b32_e32 v2, v6, v2, vcc
; %bb.3017:                             ;   in Loop: Header=BB6_138 Depth=3
	s_andn2_saveexec_b64 s[26:27], s[26:27]
; %bb.3018:                             ;   in Loop: Header=BB6_138 Depth=3
	v_bfe_u32 v2, v0, 23, 1
; %bb.3019:                             ;   in Loop: Header=BB6_138 Depth=3
	s_or_b64 exec, exec, s[26:27]
	v_lshrrev_b64 v[0:1], 21, v[0:1]
	v_cmp_gt_i32_e32 vcc, 32, v2
	v_cndmask_b32_e32 v1, 0, v1, vcc
	v_cndmask_b32_e32 v0, 3, v0, vcc
	v_cmp_eq_u64_e64 s[26:27], 0, v[0:1]
	v_min_i32_e32 v1, 31, v2
	v_lshlrev_b32_e32 v1, 2, v1
	v_cmp_eq_u32_e32 vcc, 0, v2
	v_and_b32_e32 v1, 0xfc, v1
	v_and_or_b32 v0, v0, 3, v1
	s_and_b64 s[26:27], vcc, s[26:27]
	v_cndmask_b32_e64 v0, v0, 0, s[26:27]
	v_or_b32_e32 v25, v0, v3
.LBB6_3020:                             ;   in Loop: Header=BB6_138 Depth=3
	s_or_b64 exec, exec, s[34:35]
                                        ; implicit-def: $vgpr3
.LBB6_3021:                             ;   in Loop: Header=BB6_138 Depth=3
	s_andn2_saveexec_b64 s[26:27], s[30:31]
; %bb.3022:                             ;   in Loop: Header=BB6_138 Depth=3
	v_or_b32_e32 v25, 0x7b, v3
; %bb.3023:                             ;   in Loop: Header=BB6_138 Depth=3
	s_or_b64 exec, exec, s[26:27]
                                        ; implicit-def: $vgpr2
                                        ; implicit-def: $vgpr0_vgpr1
.LBB6_3024:                             ;   in Loop: Header=BB6_138 Depth=3
	s_andn2_saveexec_b64 s[26:27], s[94:95]
	s_cbranch_execz .LBB6_3030
; %bb.3025:                             ;   in Loop: Header=BB6_138 Depth=3
	v_cmp_ne_u64_e32 vcc, 0, v[0:1]
                                        ; implicit-def: $vgpr25
	s_and_saveexec_b64 s[62:63], vcc
	s_xor_b64 s[94:95], exec, s[62:63]
; %bb.3026:                             ;   in Loop: Header=BB6_138 Depth=3
	v_or_b32_sdwa v25, v2, s44 dst_sel:DWORD dst_unused:UNUSED_PAD src0_sel:BYTE_3 src1_sel:DWORD
                                        ; implicit-def: $vgpr2
; %bb.3027:                             ;   in Loop: Header=BB6_138 Depth=3
	s_andn2_saveexec_b64 s[94:95], s[94:95]
; %bb.3028:                             ;   in Loop: Header=BB6_138 Depth=3
	v_cmp_lt_i32_e32 vcc, -1, v2
	v_bfrev_b32_e32 v0, 0.5
	v_mov_b32_e32 v1, 0x7c
	v_cndmask_b32_e32 v25, v0, v1, vcc
; %bb.3029:                             ;   in Loop: Header=BB6_138 Depth=3
	s_or_b64 exec, exec, s[94:95]
.LBB6_3030:                             ;   in Loop: Header=BB6_138 Depth=3
	s_or_b64 exec, exec, s[26:27]
	v_cmp_lt_u64_e32 vcc, s[56:57], v[8:9]
	v_mov_b32_e32 v1, 0
	s_and_saveexec_b64 s[26:27], vcc
	s_cbranch_execz .LBB6_3038
; %bb.3031:                             ;   in Loop: Header=BB6_138 Depth=3
	v_lshrrev_b32_e32 v0, 24, v9
	v_cmp_ne_u32_e32 vcc, s97, v0
	v_bfrev_b32_e32 v1, 1
	s_and_saveexec_b64 s[94:95], vcc
	s_cbranch_execz .LBB6_3037
; %bb.3032:                             ;   in Loop: Header=BB6_138 Depth=3
	v_and_b32_e32 v1, 0x7c000000, v9
	v_bfe_u32 v2, v9, 24, 2
	v_cmp_ne_u32_e32 vcc, s68, v1
                                        ; implicit-def: $vgpr1
	s_and_saveexec_b64 s[62:63], vcc
	s_xor_b64 s[30:31], exec, s[62:63]
	s_cbranch_execz .LBB6_3034
; %bb.3033:                             ;   in Loop: Header=BB6_138 Depth=3
	v_ffbh_u32_e32 v1, v2
	v_min_u32_e32 v4, 32, v1
	v_subrev_u32_e32 v1, 29, v4
	v_lshlrev_b64 v[0:1], v1, v[0:1]
	v_bfe_u32 v3, v9, 26, 5
	v_sub_u32_e32 v1, 30, v4
	v_and_b32_e32 v0, 3, v0
	v_cmp_eq_u32_e32 vcc, 0, v3
	v_cndmask_b32_e32 v1, v3, v1, vcc
	v_cndmask_b32_e32 v0, v2, v0, vcc
	v_and_b32_e32 v2, 0x80000000, v9
	v_lshl_add_u32 v1, v1, 23, v2
	v_lshl_or_b32 v0, v0, 21, v1
	v_add_u32_e32 v1, 0x38000000, v0
                                        ; implicit-def: $vgpr2
.LBB6_3034:                             ;   in Loop: Header=BB6_138 Depth=3
	s_andn2_saveexec_b64 s[30:31], s[30:31]
; %bb.3035:                             ;   in Loop: Header=BB6_138 Depth=3
	v_cmp_lt_i64_e32 vcc, -1, v[8:9]
	v_mov_b32_e32 v0, 0xff800000
	v_mov_b32_e32 v1, 0x7f800000
	v_cndmask_b32_e32 v0, v0, v1, vcc
	v_cmp_eq_u32_e32 vcc, 0, v2
	v_mov_b32_e32 v1, 0x7f800001
	v_cndmask_b32_e32 v1, v1, v0, vcc
; %bb.3036:                             ;   in Loop: Header=BB6_138 Depth=3
	s_or_b64 exec, exec, s[30:31]
.LBB6_3037:                             ;   in Loop: Header=BB6_138 Depth=3
	s_or_b64 exec, exec, s[94:95]
.LBB6_3038:                             ;   in Loop: Header=BB6_138 Depth=3
	s_or_b64 exec, exec, s[26:27]
	v_mul_f32_e32 v2, v14, v1
	v_and_b32_e32 v6, 0x7f800000, v2
	v_mov_b32_e32 v7, v33
	v_cmp_ne_u64_e32 vcc, s[76:77], v[6:7]
	v_and_b32_e32 v0, 0x7fffff, v2
	v_mov_b32_e32 v1, v33
                                        ; implicit-def: $vgpr6
	s_and_saveexec_b64 s[26:27], vcc
	s_xor_b64 s[94:95], exec, s[26:27]
	s_cbranch_execz .LBB6_3052
; %bb.3039:                             ;   in Loop: Header=BB6_138 Depth=3
	v_and_b32_e32 v6, 0x7fffffff, v2
	v_mov_b32_e32 v7, v33
	v_cmp_gt_u64_e32 vcc, s[78:79], v[6:7]
	v_and_b32_sdwa v3, v2, s97 dst_sel:DWORD dst_unused:UNUSED_PAD src0_sel:BYTE_3 src1_sel:DWORD
                                        ; implicit-def: $vgpr6
	s_and_saveexec_b64 s[26:27], vcc
	s_xor_b64 s[30:31], exec, s[26:27]
	s_cbranch_execz .LBB6_3049
; %bb.3040:                             ;   in Loop: Header=BB6_138 Depth=3
	v_mov_b32_e32 v6, 0
	v_cmp_ne_u32_e32 vcc, 0, v2
	s_and_saveexec_b64 s[34:35], vcc
	s_cbranch_execz .LBB6_3048
; %bb.3041:                             ;   in Loop: Header=BB6_138 Depth=3
	v_bfe_u32 v6, v2, 23, 8
	v_cmp_gt_u32_e64 s[26:27], s47, v6
	v_sub_u32_e32 v2, 0x71, v6
	v_cmp_eq_u32_e32 vcc, 0, v6
	v_cndmask_b32_e64 v2, 0, v2, s[26:27]
	v_mov_b32_e32 v7, 0x70
	v_cndmask_b32_e32 v7, v2, v7, vcc
	v_add_u32_e32 v2, 21, v7
	v_or_b32_e32 v4, 0x800000, v0
	v_lshlrev_b64 v[8:9], v2, -1
	v_cndmask_b32_e32 v0, v4, v0, vcc
	v_add_u32_e32 v2, 20, v7
	v_bfi_b32 v8, v8, 0, v0
	v_lshlrev_b64 v[16:17], v2, 1
	v_lshrrev_b64 v[0:1], v7, v[0:1]
	v_bfi_b32 v9, v9, 0, 0
	v_cmp_eq_u64_e64 s[26:27], v[8:9], v[16:17]
	v_mov_b32_e32 v2, v1
	v_mov_b32_e32 v1, v0
	s_and_saveexec_b64 s[36:37], s[26:27]
; %bb.3042:                             ;   in Loop: Header=BB6_138 Depth=3
	v_bfe_u32 v1, v0, 21, 1
	v_add_co_u32_e64 v1, s[26:27], v0, v1
	v_add_co_u32_e64 v1, s[26:27], -1, v1
; %bb.3043:                             ;   in Loop: Header=BB6_138 Depth=3
	s_or_b64 exec, exec, s[36:37]
	v_add_u32_e32 v2, 0xffffff81, v6
	v_mov_b32_e32 v4, 0xffffff82
	v_cndmask_b32_e32 v2, v2, v4, vcc
	v_lshrrev_b32_e32 v4, 23, v0
	v_add3_u32 v7, v7, v2, v4
	v_add_u32_e32 v6, 14, v7
	v_and_b32_e32 v1, 0x1fffff, v1
	v_add_u32_e32 v0, v1, v0
	v_mov_b32_e32 v1, v33
	v_cmp_ne_u32_e32 vcc, 0, v6
                                        ; implicit-def: $vgpr2
	s_and_saveexec_b64 s[26:27], vcc
	s_xor_b64 s[26:27], exec, s[26:27]
; %bb.3044:                             ;   in Loop: Header=BB6_138 Depth=3
	v_cmp_lt_u64_e32 vcc, s[88:89], v[0:1]
	v_add_u32_e32 v2, 15, v7
	v_cndmask_b32_e64 v4, 0, 1, vcc
	v_lshrrev_b64 v[0:1], v4, v[0:1]
	v_cndmask_b32_e32 v2, v6, v2, vcc
; %bb.3045:                             ;   in Loop: Header=BB6_138 Depth=3
	s_andn2_saveexec_b64 s[26:27], s[26:27]
; %bb.3046:                             ;   in Loop: Header=BB6_138 Depth=3
	v_bfe_u32 v2, v0, 23, 1
; %bb.3047:                             ;   in Loop: Header=BB6_138 Depth=3
	s_or_b64 exec, exec, s[26:27]
	v_lshrrev_b64 v[0:1], 21, v[0:1]
	v_cmp_gt_i32_e32 vcc, 32, v2
	v_cndmask_b32_e32 v1, 0, v1, vcc
	v_cndmask_b32_e32 v0, 3, v0, vcc
	v_cmp_eq_u64_e64 s[26:27], 0, v[0:1]
	v_min_i32_e32 v1, 31, v2
	v_lshlrev_b32_e32 v1, 2, v1
	v_cmp_eq_u32_e32 vcc, 0, v2
	v_and_b32_e32 v1, 0xfc, v1
	v_and_or_b32 v0, v0, 3, v1
	s_and_b64 s[26:27], vcc, s[26:27]
	v_cndmask_b32_e64 v0, v0, 0, s[26:27]
	v_or_b32_e32 v6, v0, v3
.LBB6_3048:                             ;   in Loop: Header=BB6_138 Depth=3
	s_or_b64 exec, exec, s[34:35]
                                        ; implicit-def: $vgpr3
.LBB6_3049:                             ;   in Loop: Header=BB6_138 Depth=3
	s_andn2_saveexec_b64 s[26:27], s[30:31]
; %bb.3050:                             ;   in Loop: Header=BB6_138 Depth=3
	v_or_b32_e32 v6, 0x7b, v3
; %bb.3051:                             ;   in Loop: Header=BB6_138 Depth=3
	s_or_b64 exec, exec, s[26:27]
                                        ; implicit-def: $vgpr2
                                        ; implicit-def: $vgpr0_vgpr1
.LBB6_3052:                             ;   in Loop: Header=BB6_138 Depth=3
	s_andn2_saveexec_b64 s[26:27], s[94:95]
	s_cbranch_execz .LBB6_3058
; %bb.3053:                             ;   in Loop: Header=BB6_138 Depth=3
	v_cmp_ne_u64_e32 vcc, 0, v[0:1]
                                        ; implicit-def: $vgpr6
	s_and_saveexec_b64 s[62:63], vcc
	s_xor_b64 s[94:95], exec, s[62:63]
; %bb.3054:                             ;   in Loop: Header=BB6_138 Depth=3
	v_or_b32_sdwa v6, v2, s44 dst_sel:DWORD dst_unused:UNUSED_PAD src0_sel:BYTE_3 src1_sel:DWORD
                                        ; implicit-def: $vgpr2
; %bb.3055:                             ;   in Loop: Header=BB6_138 Depth=3
	s_andn2_saveexec_b64 s[94:95], s[94:95]
; %bb.3056:                             ;   in Loop: Header=BB6_138 Depth=3
	v_cmp_lt_i32_e32 vcc, -1, v2
	v_bfrev_b32_e32 v0, 0.5
	v_mov_b32_e32 v1, 0x7c
	v_cndmask_b32_e32 v6, v0, v1, vcc
; %bb.3057:                             ;   in Loop: Header=BB6_138 Depth=3
	s_or_b64 exec, exec, s[94:95]
.LBB6_3058:                             ;   in Loop: Header=BB6_138 Depth=3
	s_or_b64 exec, exec, s[26:27]
	v_cmp_ne_u16_sdwa s[62:63], v10, v33 src0_sel:BYTE_0 src1_sel:DWORD
	v_mov_b32_e32 v0, 0
	s_and_saveexec_b64 s[26:27], s[62:63]
	s_cbranch_execz .LBB6_3066
; %bb.3059:                             ;   in Loop: Header=BB6_138 Depth=3
	v_cmp_ne_u16_sdwa s[62:63], sext(v10), s46 src0_sel:BYTE_0 src1_sel:DWORD
	v_bfrev_b32_e32 v0, 1
	s_and_saveexec_b64 s[94:95], s[62:63]
	s_cbranch_execz .LBB6_3065
; %bb.3060:                             ;   in Loop: Header=BB6_138 Depth=3
	v_and_b32_e32 v0, 0x7c, v10
	v_and_b32_e32 v1, 3, v10
	v_cmp_ne_u32_e32 vcc, s86, v0
                                        ; implicit-def: $vgpr0
	s_and_saveexec_b64 s[62:63], vcc
	s_xor_b64 s[30:31], exec, s[62:63]
	s_cbranch_execz .LBB6_3062
; %bb.3061:                             ;   in Loop: Header=BB6_138 Depth=3
	v_ffbh_u32_e32 v2, v1
	v_min_u32_e32 v4, 32, v2
	v_subrev_u32_e32 v2, 29, v4
	v_lshlrev_b64 v[2:3], v2, v[10:11]
	v_bfe_u32 v0, v10, 2, 5
	v_and_b32_e32 v2, 3, v2
	v_cmp_eq_u32_e32 vcc, 0, v0
	v_sub_u32_e32 v3, 30, v4
	v_cndmask_b32_e32 v1, v1, v2, vcc
	v_lshlrev_b32_e32 v2, 24, v10
	v_cndmask_b32_e32 v0, v0, v3, vcc
	v_and_b32_e32 v2, 0x80000000, v2
	v_lshl_add_u32 v0, v0, 23, v2
	v_lshl_or_b32 v0, v1, 21, v0
	v_add_u32_e32 v0, 0x38000000, v0
                                        ; implicit-def: $vgpr1
.LBB6_3062:                             ;   in Loop: Header=BB6_138 Depth=3
	s_andn2_saveexec_b64 s[30:31], s[30:31]
; %bb.3063:                             ;   in Loop: Header=BB6_138 Depth=3
	v_mov_b32_e32 v0, -1
	v_cmp_gt_i16_sdwa vcc, sext(v10), v0 src0_sel:BYTE_0 src1_sel:DWORD
	v_mov_b32_e32 v0, 0xff800000
	v_mov_b32_e32 v2, 0x7f800000
	v_cndmask_b32_e32 v0, v0, v2, vcc
	v_cmp_eq_u32_e32 vcc, 0, v1
	v_mov_b32_e32 v1, 0x7f800001
	v_cndmask_b32_e32 v0, v1, v0, vcc
; %bb.3064:                             ;   in Loop: Header=BB6_138 Depth=3
	s_or_b64 exec, exec, s[30:31]
.LBB6_3065:                             ;   in Loop: Header=BB6_138 Depth=3
	s_or_b64 exec, exec, s[94:95]
.LBB6_3066:                             ;   in Loop: Header=BB6_138 Depth=3
	s_or_b64 exec, exec, s[26:27]
	v_mul_f32_e32 v2, v14, v0
	v_and_b32_e32 v7, 0x7f800000, v2
	v_mov_b32_e32 v8, v33
	v_cmp_ne_u64_e32 vcc, s[76:77], v[7:8]
	v_and_b32_e32 v0, 0x7fffff, v2
	v_mov_b32_e32 v1, v33
                                        ; implicit-def: $vgpr16
	s_and_saveexec_b64 s[26:27], vcc
	s_xor_b64 s[94:95], exec, s[26:27]
	s_cbranch_execz .LBB6_3080
; %bb.3067:                             ;   in Loop: Header=BB6_138 Depth=3
	v_and_b32_e32 v7, 0x7fffffff, v2
	v_mov_b32_e32 v8, v33
	v_cmp_gt_u64_e32 vcc, s[78:79], v[7:8]
	v_and_b32_sdwa v3, v2, s97 dst_sel:DWORD dst_unused:UNUSED_PAD src0_sel:BYTE_3 src1_sel:DWORD
                                        ; implicit-def: $vgpr16
	s_and_saveexec_b64 s[26:27], vcc
	s_xor_b64 s[30:31], exec, s[26:27]
	s_cbranch_execz .LBB6_3077
; %bb.3068:                             ;   in Loop: Header=BB6_138 Depth=3
	v_mov_b32_e32 v16, 0
	v_cmp_ne_u32_e32 vcc, 0, v2
	s_and_saveexec_b64 s[34:35], vcc
	s_cbranch_execz .LBB6_3076
; %bb.3069:                             ;   in Loop: Header=BB6_138 Depth=3
	v_bfe_u32 v7, v2, 23, 8
	v_cmp_gt_u32_e64 s[26:27], s47, v7
	v_sub_u32_e32 v2, 0x71, v7
	v_cmp_eq_u32_e32 vcc, 0, v7
	v_cndmask_b32_e64 v2, 0, v2, s[26:27]
	v_mov_b32_e32 v8, 0x70
	v_cndmask_b32_e32 v8, v2, v8, vcc
	v_add_u32_e32 v2, 21, v8
	v_or_b32_e32 v4, 0x800000, v0
	v_lshlrev_b64 v[16:17], v2, -1
	v_cndmask_b32_e32 v0, v4, v0, vcc
	v_add_u32_e32 v2, 20, v8
	v_bfi_b32 v16, v16, 0, v0
	v_lshlrev_b64 v[18:19], v2, 1
	v_lshrrev_b64 v[0:1], v8, v[0:1]
	v_bfi_b32 v17, v17, 0, 0
	v_cmp_eq_u64_e64 s[26:27], v[16:17], v[18:19]
	v_mov_b32_e32 v2, v1
	v_mov_b32_e32 v1, v0
	s_and_saveexec_b64 s[36:37], s[26:27]
; %bb.3070:                             ;   in Loop: Header=BB6_138 Depth=3
	v_bfe_u32 v1, v0, 21, 1
	v_add_co_u32_e64 v1, s[26:27], v0, v1
	v_add_co_u32_e64 v1, s[26:27], -1, v1
; %bb.3071:                             ;   in Loop: Header=BB6_138 Depth=3
	s_or_b64 exec, exec, s[36:37]
	v_add_u32_e32 v2, 0xffffff81, v7
	v_mov_b32_e32 v4, 0xffffff82
	v_cndmask_b32_e32 v2, v2, v4, vcc
	v_lshrrev_b32_e32 v4, 23, v0
	v_add3_u32 v8, v8, v2, v4
	v_add_u32_e32 v7, 14, v8
	v_and_b32_e32 v1, 0x1fffff, v1
	v_add_u32_e32 v0, v1, v0
	v_mov_b32_e32 v1, v33
	v_cmp_ne_u32_e32 vcc, 0, v7
                                        ; implicit-def: $vgpr2
	s_and_saveexec_b64 s[26:27], vcc
	s_xor_b64 s[26:27], exec, s[26:27]
; %bb.3072:                             ;   in Loop: Header=BB6_138 Depth=3
	v_cmp_lt_u64_e32 vcc, s[88:89], v[0:1]
	v_add_u32_e32 v2, 15, v8
	v_cndmask_b32_e64 v4, 0, 1, vcc
	v_lshrrev_b64 v[0:1], v4, v[0:1]
	v_cndmask_b32_e32 v2, v7, v2, vcc
; %bb.3073:                             ;   in Loop: Header=BB6_138 Depth=3
	s_andn2_saveexec_b64 s[26:27], s[26:27]
; %bb.3074:                             ;   in Loop: Header=BB6_138 Depth=3
	v_bfe_u32 v2, v0, 23, 1
; %bb.3075:                             ;   in Loop: Header=BB6_138 Depth=3
	s_or_b64 exec, exec, s[26:27]
	v_lshrrev_b64 v[0:1], 21, v[0:1]
	v_cmp_gt_i32_e32 vcc, 32, v2
	v_cndmask_b32_e32 v1, 0, v1, vcc
	v_cndmask_b32_e32 v0, 3, v0, vcc
	v_cmp_eq_u64_e64 s[26:27], 0, v[0:1]
	v_min_i32_e32 v1, 31, v2
	v_lshlrev_b32_e32 v1, 2, v1
	v_cmp_eq_u32_e32 vcc, 0, v2
	v_and_b32_e32 v1, 0xfc, v1
	v_and_or_b32 v0, v0, 3, v1
	s_and_b64 s[26:27], vcc, s[26:27]
	v_cndmask_b32_e64 v0, v0, 0, s[26:27]
	v_or_b32_e32 v16, v0, v3
.LBB6_3076:                             ;   in Loop: Header=BB6_138 Depth=3
	s_or_b64 exec, exec, s[34:35]
                                        ; implicit-def: $vgpr3
.LBB6_3077:                             ;   in Loop: Header=BB6_138 Depth=3
	s_andn2_saveexec_b64 s[26:27], s[30:31]
; %bb.3078:                             ;   in Loop: Header=BB6_138 Depth=3
	v_or_b32_e32 v16, 0x7b, v3
; %bb.3079:                             ;   in Loop: Header=BB6_138 Depth=3
	s_or_b64 exec, exec, s[26:27]
                                        ; implicit-def: $vgpr2
                                        ; implicit-def: $vgpr0_vgpr1
.LBB6_3080:                             ;   in Loop: Header=BB6_138 Depth=3
	s_andn2_saveexec_b64 s[26:27], s[94:95]
	s_cbranch_execz .LBB6_3086
; %bb.3081:                             ;   in Loop: Header=BB6_138 Depth=3
	v_cmp_ne_u64_e32 vcc, 0, v[0:1]
                                        ; implicit-def: $vgpr16
	s_and_saveexec_b64 s[62:63], vcc
	s_xor_b64 s[94:95], exec, s[62:63]
; %bb.3082:                             ;   in Loop: Header=BB6_138 Depth=3
	v_or_b32_sdwa v16, v2, s44 dst_sel:DWORD dst_unused:UNUSED_PAD src0_sel:BYTE_3 src1_sel:DWORD
                                        ; implicit-def: $vgpr2
; %bb.3083:                             ;   in Loop: Header=BB6_138 Depth=3
	s_andn2_saveexec_b64 s[94:95], s[94:95]
; %bb.3084:                             ;   in Loop: Header=BB6_138 Depth=3
	v_cmp_lt_i32_e32 vcc, -1, v2
	v_bfrev_b32_e32 v0, 0.5
	v_mov_b32_e32 v1, 0x7c
	v_cndmask_b32_e32 v16, v0, v1, vcc
; %bb.3085:                             ;   in Loop: Header=BB6_138 Depth=3
	s_or_b64 exec, exec, s[94:95]
.LBB6_3086:                             ;   in Loop: Header=BB6_138 Depth=3
	s_or_b64 exec, exec, s[26:27]
	v_lshrrev_b16_e32 v0, 8, v10
	v_cmp_ne_u16_e32 vcc, 0, v0
	v_mov_b32_e32 v1, 0
	s_and_saveexec_b64 s[26:27], vcc
	s_cbranch_execz .LBB6_3094
; %bb.3087:                             ;   in Loop: Header=BB6_138 Depth=3
	v_cmp_ne_u16_e32 vcc, s97, v0
	v_bfrev_b32_e32 v1, 1
	s_and_saveexec_b64 s[94:95], vcc
	s_cbranch_execz .LBB6_3093
; %bb.3088:                             ;   in Loop: Header=BB6_138 Depth=3
	v_and_b32_e32 v1, 0x7c, v0
	v_and_b32_e32 v2, 3, v0
	v_cmp_ne_u32_e32 vcc, s86, v1
                                        ; implicit-def: $vgpr1
	s_and_saveexec_b64 s[62:63], vcc
	s_xor_b64 s[30:31], exec, s[62:63]
	s_cbranch_execz .LBB6_3090
; %bb.3089:                             ;   in Loop: Header=BB6_138 Depth=3
	v_ffbh_u32_e32 v4, v2
	v_min_u32_e32 v4, 32, v4
	v_mov_b32_e32 v1, v33
	v_subrev_u32_e32 v7, 29, v4
	v_bfe_u32 v3, v0, 2, 5
	v_lshlrev_b64 v[0:1], v7, v[0:1]
	v_cmp_eq_u32_e32 vcc, 0, v3
	v_and_b32_e32 v0, 3, v0
	v_sub_u32_e32 v1, 30, v4
	v_cndmask_b32_e32 v0, v2, v0, vcc
	v_lshlrev_b32_e32 v2, 16, v10
	v_cndmask_b32_e32 v1, v3, v1, vcc
	v_and_b32_e32 v2, 0x80000000, v2
	v_lshl_add_u32 v1, v1, 23, v2
	v_lshl_or_b32 v0, v0, 21, v1
	v_add_u32_e32 v1, 0x38000000, v0
                                        ; implicit-def: $vgpr2
.LBB6_3090:                             ;   in Loop: Header=BB6_138 Depth=3
	s_andn2_saveexec_b64 s[30:31], s[30:31]
; %bb.3091:                             ;   in Loop: Header=BB6_138 Depth=3
	v_cmp_lt_i16_e32 vcc, -1, v10
	v_mov_b32_e32 v0, 0xff800000
	v_mov_b32_e32 v1, 0x7f800000
	v_cndmask_b32_e32 v0, v0, v1, vcc
	v_cmp_eq_u32_e32 vcc, 0, v2
	v_mov_b32_e32 v1, 0x7f800001
	v_cndmask_b32_e32 v1, v1, v0, vcc
; %bb.3092:                             ;   in Loop: Header=BB6_138 Depth=3
	s_or_b64 exec, exec, s[30:31]
.LBB6_3093:                             ;   in Loop: Header=BB6_138 Depth=3
	s_or_b64 exec, exec, s[94:95]
.LBB6_3094:                             ;   in Loop: Header=BB6_138 Depth=3
	s_or_b64 exec, exec, s[26:27]
	v_mul_f32_e32 v2, v14, v1
	v_and_b32_e32 v7, 0x7f800000, v2
	v_mov_b32_e32 v8, v33
	v_cmp_ne_u64_e32 vcc, s[76:77], v[7:8]
	v_and_b32_e32 v0, 0x7fffff, v2
	v_mov_b32_e32 v1, v33
                                        ; implicit-def: $vgpr17
	s_and_saveexec_b64 s[26:27], vcc
	s_xor_b64 s[94:95], exec, s[26:27]
	s_cbranch_execz .LBB6_3108
; %bb.3095:                             ;   in Loop: Header=BB6_138 Depth=3
	v_and_b32_e32 v7, 0x7fffffff, v2
	v_mov_b32_e32 v8, v33
	v_cmp_gt_u64_e32 vcc, s[78:79], v[7:8]
	v_and_b32_sdwa v3, v2, s97 dst_sel:DWORD dst_unused:UNUSED_PAD src0_sel:BYTE_3 src1_sel:DWORD
                                        ; implicit-def: $vgpr17
	s_and_saveexec_b64 s[26:27], vcc
	s_xor_b64 s[30:31], exec, s[26:27]
	s_cbranch_execz .LBB6_3105
; %bb.3096:                             ;   in Loop: Header=BB6_138 Depth=3
	v_mov_b32_e32 v17, 0
	v_cmp_ne_u32_e32 vcc, 0, v2
	s_and_saveexec_b64 s[34:35], vcc
	s_cbranch_execz .LBB6_3104
; %bb.3097:                             ;   in Loop: Header=BB6_138 Depth=3
	v_bfe_u32 v7, v2, 23, 8
	v_cmp_gt_u32_e64 s[26:27], s47, v7
	v_sub_u32_e32 v2, 0x71, v7
	v_cmp_eq_u32_e32 vcc, 0, v7
	v_cndmask_b32_e64 v2, 0, v2, s[26:27]
	v_mov_b32_e32 v8, 0x70
	v_cndmask_b32_e32 v8, v2, v8, vcc
	v_add_u32_e32 v2, 21, v8
	v_or_b32_e32 v4, 0x800000, v0
	v_lshlrev_b64 v[17:18], v2, -1
	v_cndmask_b32_e32 v0, v4, v0, vcc
	v_add_u32_e32 v2, 20, v8
	v_bfi_b32 v17, v17, 0, v0
	v_lshlrev_b64 v[30:31], v2, 1
	v_lshrrev_b64 v[0:1], v8, v[0:1]
	v_bfi_b32 v18, v18, 0, 0
	v_cmp_eq_u64_e64 s[26:27], v[17:18], v[30:31]
	v_mov_b32_e32 v2, v1
	v_mov_b32_e32 v1, v0
	s_and_saveexec_b64 s[36:37], s[26:27]
; %bb.3098:                             ;   in Loop: Header=BB6_138 Depth=3
	v_bfe_u32 v1, v0, 21, 1
	v_add_co_u32_e64 v1, s[26:27], v0, v1
	v_add_co_u32_e64 v1, s[26:27], -1, v1
; %bb.3099:                             ;   in Loop: Header=BB6_138 Depth=3
	s_or_b64 exec, exec, s[36:37]
	v_add_u32_e32 v2, 0xffffff81, v7
	v_mov_b32_e32 v4, 0xffffff82
	v_cndmask_b32_e32 v2, v2, v4, vcc
	v_lshrrev_b32_e32 v4, 23, v0
	v_add3_u32 v8, v8, v2, v4
	v_add_u32_e32 v7, 14, v8
	v_and_b32_e32 v1, 0x1fffff, v1
	v_add_u32_e32 v0, v1, v0
	v_mov_b32_e32 v1, v33
	v_cmp_ne_u32_e32 vcc, 0, v7
                                        ; implicit-def: $vgpr2
	s_and_saveexec_b64 s[26:27], vcc
	s_xor_b64 s[26:27], exec, s[26:27]
; %bb.3100:                             ;   in Loop: Header=BB6_138 Depth=3
	v_cmp_lt_u64_e32 vcc, s[88:89], v[0:1]
	v_add_u32_e32 v2, 15, v8
	v_cndmask_b32_e64 v4, 0, 1, vcc
	v_lshrrev_b64 v[0:1], v4, v[0:1]
	v_cndmask_b32_e32 v2, v7, v2, vcc
; %bb.3101:                             ;   in Loop: Header=BB6_138 Depth=3
	s_andn2_saveexec_b64 s[26:27], s[26:27]
; %bb.3102:                             ;   in Loop: Header=BB6_138 Depth=3
	v_bfe_u32 v2, v0, 23, 1
; %bb.3103:                             ;   in Loop: Header=BB6_138 Depth=3
	s_or_b64 exec, exec, s[26:27]
	v_lshrrev_b64 v[0:1], 21, v[0:1]
	v_cmp_gt_i32_e32 vcc, 32, v2
	v_cndmask_b32_e32 v1, 0, v1, vcc
	v_cndmask_b32_e32 v0, 3, v0, vcc
	v_cmp_eq_u64_e64 s[26:27], 0, v[0:1]
	v_min_i32_e32 v1, 31, v2
	v_lshlrev_b32_e32 v1, 2, v1
	v_cmp_eq_u32_e32 vcc, 0, v2
	v_and_b32_e32 v1, 0xfc, v1
	v_and_or_b32 v0, v0, 3, v1
	s_and_b64 s[26:27], vcc, s[26:27]
	v_cndmask_b32_e64 v0, v0, 0, s[26:27]
	v_or_b32_e32 v17, v0, v3
.LBB6_3104:                             ;   in Loop: Header=BB6_138 Depth=3
	s_or_b64 exec, exec, s[34:35]
                                        ; implicit-def: $vgpr3
.LBB6_3105:                             ;   in Loop: Header=BB6_138 Depth=3
	s_andn2_saveexec_b64 s[26:27], s[30:31]
; %bb.3106:                             ;   in Loop: Header=BB6_138 Depth=3
	v_or_b32_e32 v17, 0x7b, v3
; %bb.3107:                             ;   in Loop: Header=BB6_138 Depth=3
	s_or_b64 exec, exec, s[26:27]
                                        ; implicit-def: $vgpr2
                                        ; implicit-def: $vgpr0_vgpr1
.LBB6_3108:                             ;   in Loop: Header=BB6_138 Depth=3
	s_andn2_saveexec_b64 s[26:27], s[94:95]
	s_cbranch_execz .LBB6_3114
; %bb.3109:                             ;   in Loop: Header=BB6_138 Depth=3
	v_cmp_ne_u64_e32 vcc, 0, v[0:1]
                                        ; implicit-def: $vgpr17
	s_and_saveexec_b64 s[62:63], vcc
	s_xor_b64 s[94:95], exec, s[62:63]
; %bb.3110:                             ;   in Loop: Header=BB6_138 Depth=3
	v_or_b32_sdwa v17, v2, s44 dst_sel:DWORD dst_unused:UNUSED_PAD src0_sel:BYTE_3 src1_sel:DWORD
                                        ; implicit-def: $vgpr2
; %bb.3111:                             ;   in Loop: Header=BB6_138 Depth=3
	s_andn2_saveexec_b64 s[94:95], s[94:95]
; %bb.3112:                             ;   in Loop: Header=BB6_138 Depth=3
	v_cmp_lt_i32_e32 vcc, -1, v2
	v_bfrev_b32_e32 v0, 0.5
	v_mov_b32_e32 v1, 0x7c
	v_cndmask_b32_e32 v17, v0, v1, vcc
; %bb.3113:                             ;   in Loop: Header=BB6_138 Depth=3
	s_or_b64 exec, exec, s[94:95]
.LBB6_3114:                             ;   in Loop: Header=BB6_138 Depth=3
	s_or_b64 exec, exec, s[26:27]
	v_lshrrev_b32_e32 v0, 16, v10
	v_cmp_ne_u16_sdwa s[62:63], v0, v33 src0_sel:BYTE_0 src1_sel:DWORD
	v_mov_b32_e32 v1, 0
	s_and_saveexec_b64 s[26:27], s[62:63]
	s_cbranch_execz .LBB6_3122
; %bb.3115:                             ;   in Loop: Header=BB6_138 Depth=3
	v_cmp_ne_u16_sdwa s[62:63], v0, s97 src0_sel:BYTE_0 src1_sel:DWORD
	v_bfrev_b32_e32 v1, 1
	s_and_saveexec_b64 s[94:95], s[62:63]
	s_cbranch_execz .LBB6_3121
; %bb.3116:                             ;   in Loop: Header=BB6_138 Depth=3
	v_and_b32_e32 v1, 0x7c0000, v10
	v_bfe_u32 v2, v10, 16, 2
	v_cmp_ne_u32_e32 vcc, s45, v1
                                        ; implicit-def: $vgpr1
	s_and_saveexec_b64 s[62:63], vcc
	s_xor_b64 s[30:31], exec, s[62:63]
	s_cbranch_execz .LBB6_3118
; %bb.3117:                             ;   in Loop: Header=BB6_138 Depth=3
	v_ffbh_u32_e32 v1, v2
	v_min_u32_e32 v4, 32, v1
	v_subrev_u32_e32 v1, 29, v4
	v_lshlrev_b64 v[0:1], v1, v[0:1]
	v_bfe_u32 v3, v10, 18, 5
	v_and_b32_e32 v0, 3, v0
	v_cmp_eq_u32_e32 vcc, 0, v3
	v_sub_u32_e32 v1, 30, v4
	v_cndmask_b32_e32 v0, v2, v0, vcc
	v_lshlrev_b32_e32 v2, 8, v10
	v_cndmask_b32_e32 v1, v3, v1, vcc
	v_and_b32_e32 v2, 0x80000000, v2
	v_lshl_add_u32 v1, v1, 23, v2
	v_lshl_or_b32 v0, v0, 21, v1
	v_add_u32_e32 v1, 0x38000000, v0
                                        ; implicit-def: $vgpr2
                                        ; implicit-def: $vgpr0
.LBB6_3118:                             ;   in Loop: Header=BB6_138 Depth=3
	s_andn2_saveexec_b64 s[30:31], s[30:31]
; %bb.3119:                             ;   in Loop: Header=BB6_138 Depth=3
	v_mov_b32_e32 v1, -1
	v_cmp_gt_i16_sdwa vcc, sext(v0), v1 src0_sel:BYTE_0 src1_sel:DWORD
	v_mov_b32_e32 v0, 0xff800000
	v_mov_b32_e32 v1, 0x7f800000
	v_cndmask_b32_e32 v0, v0, v1, vcc
	v_cmp_eq_u32_e32 vcc, 0, v2
	v_mov_b32_e32 v1, 0x7f800001
	v_cndmask_b32_e32 v1, v1, v0, vcc
; %bb.3120:                             ;   in Loop: Header=BB6_138 Depth=3
	s_or_b64 exec, exec, s[30:31]
.LBB6_3121:                             ;   in Loop: Header=BB6_138 Depth=3
	s_or_b64 exec, exec, s[94:95]
.LBB6_3122:                             ;   in Loop: Header=BB6_138 Depth=3
	s_or_b64 exec, exec, s[26:27]
	v_mul_f32_e32 v2, v14, v1
	v_and_b32_e32 v7, 0x7f800000, v2
	v_mov_b32_e32 v8, v33
	v_cmp_ne_u64_e32 vcc, s[76:77], v[7:8]
	v_and_b32_e32 v0, 0x7fffff, v2
	v_mov_b32_e32 v1, v33
                                        ; implicit-def: $vgpr18
	s_and_saveexec_b64 s[26:27], vcc
	s_xor_b64 s[94:95], exec, s[26:27]
	s_cbranch_execz .LBB6_3136
; %bb.3123:                             ;   in Loop: Header=BB6_138 Depth=3
	v_and_b32_e32 v7, 0x7fffffff, v2
	v_mov_b32_e32 v8, v33
	v_cmp_gt_u64_e32 vcc, s[78:79], v[7:8]
	v_and_b32_sdwa v3, v2, s97 dst_sel:DWORD dst_unused:UNUSED_PAD src0_sel:BYTE_3 src1_sel:DWORD
                                        ; implicit-def: $vgpr18
	s_and_saveexec_b64 s[26:27], vcc
	s_xor_b64 s[30:31], exec, s[26:27]
	s_cbranch_execz .LBB6_3133
; %bb.3124:                             ;   in Loop: Header=BB6_138 Depth=3
	v_mov_b32_e32 v18, 0
	v_cmp_ne_u32_e32 vcc, 0, v2
	s_and_saveexec_b64 s[34:35], vcc
	s_cbranch_execz .LBB6_3132
; %bb.3125:                             ;   in Loop: Header=BB6_138 Depth=3
	v_bfe_u32 v7, v2, 23, 8
	v_cmp_gt_u32_e64 s[26:27], s47, v7
	v_sub_u32_e32 v2, 0x71, v7
	v_cmp_eq_u32_e32 vcc, 0, v7
	v_cndmask_b32_e64 v2, 0, v2, s[26:27]
	v_mov_b32_e32 v8, 0x70
	v_cndmask_b32_e32 v8, v2, v8, vcc
	v_add_u32_e32 v2, 21, v8
	v_or_b32_e32 v4, 0x800000, v0
	v_lshlrev_b64 v[18:19], v2, -1
	v_cndmask_b32_e32 v0, v4, v0, vcc
	v_add_u32_e32 v2, 20, v8
	v_bfi_b32 v18, v18, 0, v0
	v_lshlrev_b64 v[30:31], v2, 1
	v_lshrrev_b64 v[0:1], v8, v[0:1]
	v_bfi_b32 v19, v19, 0, 0
	v_cmp_eq_u64_e64 s[26:27], v[18:19], v[30:31]
	v_mov_b32_e32 v2, v1
	v_mov_b32_e32 v1, v0
	s_and_saveexec_b64 s[36:37], s[26:27]
; %bb.3126:                             ;   in Loop: Header=BB6_138 Depth=3
	v_bfe_u32 v1, v0, 21, 1
	v_add_co_u32_e64 v1, s[26:27], v0, v1
	v_add_co_u32_e64 v1, s[26:27], -1, v1
; %bb.3127:                             ;   in Loop: Header=BB6_138 Depth=3
	s_or_b64 exec, exec, s[36:37]
	v_add_u32_e32 v2, 0xffffff81, v7
	v_mov_b32_e32 v4, 0xffffff82
	v_cndmask_b32_e32 v2, v2, v4, vcc
	v_lshrrev_b32_e32 v4, 23, v0
	v_add3_u32 v8, v8, v2, v4
	v_add_u32_e32 v7, 14, v8
	v_and_b32_e32 v1, 0x1fffff, v1
	v_add_u32_e32 v0, v1, v0
	v_mov_b32_e32 v1, v33
	v_cmp_ne_u32_e32 vcc, 0, v7
                                        ; implicit-def: $vgpr2
	s_and_saveexec_b64 s[26:27], vcc
	s_xor_b64 s[26:27], exec, s[26:27]
; %bb.3128:                             ;   in Loop: Header=BB6_138 Depth=3
	v_cmp_lt_u64_e32 vcc, s[88:89], v[0:1]
	v_add_u32_e32 v2, 15, v8
	v_cndmask_b32_e64 v4, 0, 1, vcc
	v_lshrrev_b64 v[0:1], v4, v[0:1]
	v_cndmask_b32_e32 v2, v7, v2, vcc
; %bb.3129:                             ;   in Loop: Header=BB6_138 Depth=3
	s_andn2_saveexec_b64 s[26:27], s[26:27]
; %bb.3130:                             ;   in Loop: Header=BB6_138 Depth=3
	v_bfe_u32 v2, v0, 23, 1
; %bb.3131:                             ;   in Loop: Header=BB6_138 Depth=3
	s_or_b64 exec, exec, s[26:27]
	v_lshrrev_b64 v[0:1], 21, v[0:1]
	v_cmp_gt_i32_e32 vcc, 32, v2
	v_cndmask_b32_e32 v1, 0, v1, vcc
	v_cndmask_b32_e32 v0, 3, v0, vcc
	v_cmp_eq_u64_e64 s[26:27], 0, v[0:1]
	v_min_i32_e32 v1, 31, v2
	v_lshlrev_b32_e32 v1, 2, v1
	v_cmp_eq_u32_e32 vcc, 0, v2
	v_and_b32_e32 v1, 0xfc, v1
	v_and_or_b32 v0, v0, 3, v1
	s_and_b64 s[26:27], vcc, s[26:27]
	v_cndmask_b32_e64 v0, v0, 0, s[26:27]
	v_or_b32_e32 v18, v0, v3
.LBB6_3132:                             ;   in Loop: Header=BB6_138 Depth=3
	s_or_b64 exec, exec, s[34:35]
                                        ; implicit-def: $vgpr3
.LBB6_3133:                             ;   in Loop: Header=BB6_138 Depth=3
	s_andn2_saveexec_b64 s[26:27], s[30:31]
; %bb.3134:                             ;   in Loop: Header=BB6_138 Depth=3
	v_or_b32_e32 v18, 0x7b, v3
; %bb.3135:                             ;   in Loop: Header=BB6_138 Depth=3
	s_or_b64 exec, exec, s[26:27]
                                        ; implicit-def: $vgpr2
                                        ; implicit-def: $vgpr0_vgpr1
.LBB6_3136:                             ;   in Loop: Header=BB6_138 Depth=3
	s_andn2_saveexec_b64 s[26:27], s[94:95]
	s_cbranch_execz .LBB6_3142
; %bb.3137:                             ;   in Loop: Header=BB6_138 Depth=3
	v_cmp_ne_u64_e32 vcc, 0, v[0:1]
                                        ; implicit-def: $vgpr18
	s_and_saveexec_b64 s[62:63], vcc
	s_xor_b64 s[94:95], exec, s[62:63]
; %bb.3138:                             ;   in Loop: Header=BB6_138 Depth=3
	v_or_b32_sdwa v18, v2, s44 dst_sel:DWORD dst_unused:UNUSED_PAD src0_sel:BYTE_3 src1_sel:DWORD
                                        ; implicit-def: $vgpr2
; %bb.3139:                             ;   in Loop: Header=BB6_138 Depth=3
	s_andn2_saveexec_b64 s[94:95], s[94:95]
; %bb.3140:                             ;   in Loop: Header=BB6_138 Depth=3
	v_cmp_lt_i32_e32 vcc, -1, v2
	v_bfrev_b32_e32 v0, 0.5
	v_mov_b32_e32 v1, 0x7c
	v_cndmask_b32_e32 v18, v0, v1, vcc
; %bb.3141:                             ;   in Loop: Header=BB6_138 Depth=3
	s_or_b64 exec, exec, s[94:95]
.LBB6_3142:                             ;   in Loop: Header=BB6_138 Depth=3
	s_or_b64 exec, exec, s[26:27]
	v_cmp_lt_u32_e32 vcc, s57, v10
	v_mov_b32_e32 v1, 0
	s_and_saveexec_b64 s[26:27], vcc
	s_cbranch_execz .LBB6_3150
; %bb.3143:                             ;   in Loop: Header=BB6_138 Depth=3
	v_lshrrev_b32_e32 v0, 24, v10
	v_cmp_ne_u32_e32 vcc, s97, v0
	v_bfrev_b32_e32 v1, 1
	s_and_saveexec_b64 s[94:95], vcc
	s_cbranch_execz .LBB6_3149
; %bb.3144:                             ;   in Loop: Header=BB6_138 Depth=3
	v_and_b32_e32 v1, 0x7c000000, v10
	v_bfe_u32 v2, v10, 24, 2
	v_cmp_ne_u32_e32 vcc, s68, v1
                                        ; implicit-def: $vgpr1
	s_and_saveexec_b64 s[62:63], vcc
	s_xor_b64 s[30:31], exec, s[62:63]
	s_cbranch_execz .LBB6_3146
; %bb.3145:                             ;   in Loop: Header=BB6_138 Depth=3
	v_ffbh_u32_e32 v1, v2
	v_min_u32_e32 v4, 32, v1
	v_subrev_u32_e32 v1, 29, v4
	v_lshlrev_b64 v[0:1], v1, v[0:1]
	v_bfe_u32 v3, v10, 26, 5
	v_sub_u32_e32 v1, 30, v4
	v_and_b32_e32 v0, 3, v0
	v_cmp_eq_u32_e32 vcc, 0, v3
	v_cndmask_b32_e32 v1, v3, v1, vcc
	v_cndmask_b32_e32 v0, v2, v0, vcc
	v_and_b32_e32 v2, 0x80000000, v10
	v_lshl_add_u32 v1, v1, 23, v2
	v_lshl_or_b32 v0, v0, 21, v1
	v_add_u32_e32 v1, 0x38000000, v0
                                        ; implicit-def: $vgpr2
.LBB6_3146:                             ;   in Loop: Header=BB6_138 Depth=3
	s_andn2_saveexec_b64 s[30:31], s[30:31]
; %bb.3147:                             ;   in Loop: Header=BB6_138 Depth=3
	v_cmp_lt_i32_e32 vcc, -1, v10
	v_mov_b32_e32 v0, 0xff800000
	v_mov_b32_e32 v1, 0x7f800000
	v_cndmask_b32_e32 v0, v0, v1, vcc
	v_cmp_eq_u32_e32 vcc, 0, v2
	v_mov_b32_e32 v1, 0x7f800001
	v_cndmask_b32_e32 v1, v1, v0, vcc
; %bb.3148:                             ;   in Loop: Header=BB6_138 Depth=3
	s_or_b64 exec, exec, s[30:31]
.LBB6_3149:                             ;   in Loop: Header=BB6_138 Depth=3
	s_or_b64 exec, exec, s[94:95]
.LBB6_3150:                             ;   in Loop: Header=BB6_138 Depth=3
	s_or_b64 exec, exec, s[26:27]
	v_mul_f32_e32 v2, v14, v1
	v_and_b32_e32 v7, 0x7f800000, v2
	v_mov_b32_e32 v8, v33
	v_cmp_ne_u64_e32 vcc, s[76:77], v[7:8]
	v_and_b32_e32 v0, 0x7fffff, v2
	v_mov_b32_e32 v1, v33
                                        ; implicit-def: $vgpr19
	s_and_saveexec_b64 s[26:27], vcc
	s_xor_b64 s[94:95], exec, s[26:27]
	s_cbranch_execz .LBB6_3164
; %bb.3151:                             ;   in Loop: Header=BB6_138 Depth=3
	v_and_b32_e32 v7, 0x7fffffff, v2
	v_mov_b32_e32 v8, v33
	v_cmp_gt_u64_e32 vcc, s[78:79], v[7:8]
	v_and_b32_sdwa v3, v2, s97 dst_sel:DWORD dst_unused:UNUSED_PAD src0_sel:BYTE_3 src1_sel:DWORD
                                        ; implicit-def: $vgpr19
	s_and_saveexec_b64 s[26:27], vcc
	s_xor_b64 s[30:31], exec, s[26:27]
	s_cbranch_execz .LBB6_3161
; %bb.3152:                             ;   in Loop: Header=BB6_138 Depth=3
	v_mov_b32_e32 v19, 0
	v_cmp_ne_u32_e32 vcc, 0, v2
	s_and_saveexec_b64 s[34:35], vcc
	s_cbranch_execz .LBB6_3160
; %bb.3153:                             ;   in Loop: Header=BB6_138 Depth=3
	v_bfe_u32 v7, v2, 23, 8
	v_cmp_gt_u32_e64 s[26:27], s47, v7
	v_sub_u32_e32 v2, 0x71, v7
	v_cmp_eq_u32_e32 vcc, 0, v7
	v_cndmask_b32_e64 v2, 0, v2, s[26:27]
	v_mov_b32_e32 v8, 0x70
	v_cndmask_b32_e32 v8, v2, v8, vcc
	v_add_u32_e32 v2, 21, v8
	v_or_b32_e32 v4, 0x800000, v0
	v_lshlrev_b64 v[30:31], v2, -1
	v_cndmask_b32_e32 v0, v4, v0, vcc
	v_add_u32_e32 v2, 20, v8
	v_bfi_b32 v30, v30, 0, v0
	v_lshlrev_b64 v[34:35], v2, 1
	v_lshrrev_b64 v[0:1], v8, v[0:1]
	v_bfi_b32 v31, v31, 0, 0
	v_cmp_eq_u64_e64 s[26:27], v[30:31], v[34:35]
	v_mov_b32_e32 v2, v1
	v_mov_b32_e32 v1, v0
	s_and_saveexec_b64 s[36:37], s[26:27]
; %bb.3154:                             ;   in Loop: Header=BB6_138 Depth=3
	v_bfe_u32 v1, v0, 21, 1
	v_add_co_u32_e64 v1, s[26:27], v0, v1
	v_add_co_u32_e64 v1, s[26:27], -1, v1
; %bb.3155:                             ;   in Loop: Header=BB6_138 Depth=3
	s_or_b64 exec, exec, s[36:37]
	v_add_u32_e32 v2, 0xffffff81, v7
	v_mov_b32_e32 v4, 0xffffff82
	v_cndmask_b32_e32 v2, v2, v4, vcc
	v_lshrrev_b32_e32 v4, 23, v0
	v_add3_u32 v8, v8, v2, v4
	v_add_u32_e32 v7, 14, v8
	v_and_b32_e32 v1, 0x1fffff, v1
	v_add_u32_e32 v0, v1, v0
	v_mov_b32_e32 v1, v33
	v_cmp_ne_u32_e32 vcc, 0, v7
                                        ; implicit-def: $vgpr2
	s_and_saveexec_b64 s[26:27], vcc
	s_xor_b64 s[26:27], exec, s[26:27]
; %bb.3156:                             ;   in Loop: Header=BB6_138 Depth=3
	v_cmp_lt_u64_e32 vcc, s[88:89], v[0:1]
	v_add_u32_e32 v2, 15, v8
	v_cndmask_b32_e64 v4, 0, 1, vcc
	v_lshrrev_b64 v[0:1], v4, v[0:1]
	v_cndmask_b32_e32 v2, v7, v2, vcc
; %bb.3157:                             ;   in Loop: Header=BB6_138 Depth=3
	s_andn2_saveexec_b64 s[26:27], s[26:27]
; %bb.3158:                             ;   in Loop: Header=BB6_138 Depth=3
	v_bfe_u32 v2, v0, 23, 1
; %bb.3159:                             ;   in Loop: Header=BB6_138 Depth=3
	s_or_b64 exec, exec, s[26:27]
	v_lshrrev_b64 v[0:1], 21, v[0:1]
	v_cmp_gt_i32_e32 vcc, 32, v2
	v_cndmask_b32_e32 v1, 0, v1, vcc
	v_cndmask_b32_e32 v0, 3, v0, vcc
	v_cmp_eq_u64_e64 s[26:27], 0, v[0:1]
	v_min_i32_e32 v1, 31, v2
	v_lshlrev_b32_e32 v1, 2, v1
	v_cmp_eq_u32_e32 vcc, 0, v2
	v_and_b32_e32 v1, 0xfc, v1
	v_and_or_b32 v0, v0, 3, v1
	s_and_b64 s[26:27], vcc, s[26:27]
	v_cndmask_b32_e64 v0, v0, 0, s[26:27]
	v_or_b32_e32 v19, v0, v3
.LBB6_3160:                             ;   in Loop: Header=BB6_138 Depth=3
	s_or_b64 exec, exec, s[34:35]
                                        ; implicit-def: $vgpr3
.LBB6_3161:                             ;   in Loop: Header=BB6_138 Depth=3
	s_andn2_saveexec_b64 s[26:27], s[30:31]
; %bb.3162:                             ;   in Loop: Header=BB6_138 Depth=3
	v_or_b32_e32 v19, 0x7b, v3
; %bb.3163:                             ;   in Loop: Header=BB6_138 Depth=3
	s_or_b64 exec, exec, s[26:27]
                                        ; implicit-def: $vgpr2
                                        ; implicit-def: $vgpr0_vgpr1
.LBB6_3164:                             ;   in Loop: Header=BB6_138 Depth=3
	s_andn2_saveexec_b64 s[26:27], s[94:95]
	s_cbranch_execz .LBB6_3170
; %bb.3165:                             ;   in Loop: Header=BB6_138 Depth=3
	v_cmp_ne_u64_e32 vcc, 0, v[0:1]
                                        ; implicit-def: $vgpr19
	s_and_saveexec_b64 s[62:63], vcc
	s_xor_b64 s[94:95], exec, s[62:63]
; %bb.3166:                             ;   in Loop: Header=BB6_138 Depth=3
	v_or_b32_sdwa v19, v2, s44 dst_sel:DWORD dst_unused:UNUSED_PAD src0_sel:BYTE_3 src1_sel:DWORD
                                        ; implicit-def: $vgpr2
; %bb.3167:                             ;   in Loop: Header=BB6_138 Depth=3
	s_andn2_saveexec_b64 s[94:95], s[94:95]
; %bb.3168:                             ;   in Loop: Header=BB6_138 Depth=3
	v_cmp_lt_i32_e32 vcc, -1, v2
	v_bfrev_b32_e32 v0, 0.5
	v_mov_b32_e32 v1, 0x7c
	v_cndmask_b32_e32 v19, v0, v1, vcc
; %bb.3169:                             ;   in Loop: Header=BB6_138 Depth=3
	s_or_b64 exec, exec, s[94:95]
.LBB6_3170:                             ;   in Loop: Header=BB6_138 Depth=3
	s_or_b64 exec, exec, s[26:27]
	v_mov_b32_e32 v0, v11
	v_mov_b32_e32 v1, v33
	v_cmp_ne_u16_sdwa s[62:63], v11, v33 src0_sel:BYTE_0 src1_sel:DWORD
	v_mov_b32_e32 v2, 0
	s_and_saveexec_b64 s[26:27], s[62:63]
	s_cbranch_execz .LBB6_3178
; %bb.3171:                             ;   in Loop: Header=BB6_138 Depth=3
	v_cmp_ne_u16_sdwa s[62:63], v11, s97 src0_sel:BYTE_0 src1_sel:DWORD
	v_bfrev_b32_e32 v2, 1
	s_and_saveexec_b64 s[94:95], s[62:63]
	s_cbranch_execz .LBB6_3177
; %bb.3172:                             ;   in Loop: Header=BB6_138 Depth=3
	v_and_b32_e32 v2, 0x7c, v11
	v_and_b32_e32 v3, 3, v11
	v_cmp_ne_u32_e32 vcc, s86, v2
                                        ; implicit-def: $vgpr2
	s_and_saveexec_b64 s[62:63], vcc
	s_xor_b64 s[30:31], exec, s[62:63]
	s_cbranch_execz .LBB6_3174
; %bb.3173:                             ;   in Loop: Header=BB6_138 Depth=3
	v_ffbh_u32_e32 v2, v3
	v_min_u32_e32 v7, 32, v2
	v_subrev_u32_e32 v2, 29, v7
	v_lshlrev_b64 v[1:2], v2, v[0:1]
	v_bfe_u32 v4, v11, 2, 5
	v_and_b32_e32 v1, 3, v1
	v_cmp_eq_u32_e32 vcc, 0, v4
	v_sub_u32_e32 v2, 30, v7
	v_cndmask_b32_e32 v1, v3, v1, vcc
	v_lshlrev_b32_e32 v3, 24, v11
	v_cndmask_b32_e32 v2, v4, v2, vcc
	v_and_b32_e32 v3, 0x80000000, v3
	v_lshl_add_u32 v2, v2, 23, v3
	v_lshl_or_b32 v1, v1, 21, v2
	v_add_u32_e32 v2, 0x38000000, v1
                                        ; implicit-def: $vgpr3
.LBB6_3174:                             ;   in Loop: Header=BB6_138 Depth=3
	s_andn2_saveexec_b64 s[30:31], s[30:31]
; %bb.3175:                             ;   in Loop: Header=BB6_138 Depth=3
	v_mov_b32_e32 v1, -1
	v_cmp_gt_i16_sdwa vcc, sext(v11), v1 src0_sel:BYTE_0 src1_sel:DWORD
	v_mov_b32_e32 v1, 0xff800000
	v_mov_b32_e32 v2, 0x7f800000
	v_cndmask_b32_e32 v1, v1, v2, vcc
	v_cmp_eq_u32_e32 vcc, 0, v3
	v_mov_b32_e32 v2, 0x7f800001
	v_cndmask_b32_e32 v2, v2, v1, vcc
; %bb.3176:                             ;   in Loop: Header=BB6_138 Depth=3
	s_or_b64 exec, exec, s[30:31]
.LBB6_3177:                             ;   in Loop: Header=BB6_138 Depth=3
	s_or_b64 exec, exec, s[94:95]
.LBB6_3178:                             ;   in Loop: Header=BB6_138 Depth=3
	s_or_b64 exec, exec, s[26:27]
	v_mul_f32_e32 v3, v14, v2
	v_and_b32_e32 v7, 0x7f800000, v3
	v_mov_b32_e32 v8, v33
	v_cmp_ne_u64_e32 vcc, s[76:77], v[7:8]
	v_and_b32_e32 v1, 0x7fffff, v3
	v_mov_b32_e32 v2, v33
                                        ; implicit-def: $vgpr7
	s_and_saveexec_b64 s[26:27], vcc
	s_xor_b64 s[94:95], exec, s[26:27]
	s_cbranch_execz .LBB6_3192
; %bb.3179:                             ;   in Loop: Header=BB6_138 Depth=3
	v_and_b32_e32 v7, 0x7fffffff, v3
	v_mov_b32_e32 v8, v33
	v_cmp_gt_u64_e32 vcc, s[78:79], v[7:8]
	v_and_b32_sdwa v8, v3, s97 dst_sel:DWORD dst_unused:UNUSED_PAD src0_sel:BYTE_3 src1_sel:DWORD
                                        ; implicit-def: $vgpr7
	s_and_saveexec_b64 s[26:27], vcc
	s_xor_b64 s[30:31], exec, s[26:27]
	s_cbranch_execz .LBB6_3189
; %bb.3180:                             ;   in Loop: Header=BB6_138 Depth=3
	v_mov_b32_e32 v7, 0
	v_cmp_ne_u32_e32 vcc, 0, v3
	s_and_saveexec_b64 s[34:35], vcc
	s_cbranch_execz .LBB6_3188
; %bb.3181:                             ;   in Loop: Header=BB6_138 Depth=3
	v_bfe_u32 v7, v3, 23, 8
	v_cmp_gt_u32_e64 s[26:27], s47, v7
	v_sub_u32_e32 v3, 0x71, v7
	v_cmp_eq_u32_e32 vcc, 0, v7
	v_cndmask_b32_e64 v3, 0, v3, s[26:27]
	v_mov_b32_e32 v9, 0x70
	v_cndmask_b32_e32 v9, v3, v9, vcc
	v_add_u32_e32 v3, 21, v9
	v_or_b32_e32 v4, 0x800000, v1
	v_lshlrev_b64 v[30:31], v3, -1
	v_cndmask_b32_e32 v1, v4, v1, vcc
	v_add_u32_e32 v3, 20, v9
	v_bfi_b32 v30, v30, 0, v1
	v_lshlrev_b64 v[34:35], v3, 1
	v_lshrrev_b64 v[1:2], v9, v[1:2]
	v_bfi_b32 v31, v31, 0, 0
	v_cmp_eq_u64_e64 s[26:27], v[30:31], v[34:35]
	v_mov_b32_e32 v3, v2
	v_mov_b32_e32 v2, v1
	s_and_saveexec_b64 s[36:37], s[26:27]
; %bb.3182:                             ;   in Loop: Header=BB6_138 Depth=3
	v_bfe_u32 v2, v1, 21, 1
	v_add_co_u32_e64 v2, s[26:27], v1, v2
	v_add_co_u32_e64 v2, s[26:27], -1, v2
; %bb.3183:                             ;   in Loop: Header=BB6_138 Depth=3
	s_or_b64 exec, exec, s[36:37]
	v_add_u32_e32 v3, 0xffffff81, v7
	v_mov_b32_e32 v4, 0xffffff82
	v_cndmask_b32_e32 v3, v3, v4, vcc
	v_lshrrev_b32_e32 v4, 23, v1
	v_add3_u32 v9, v9, v3, v4
	v_add_u32_e32 v7, 14, v9
	v_and_b32_e32 v2, 0x1fffff, v2
	v_add_u32_e32 v1, v2, v1
	v_mov_b32_e32 v2, v33
	v_cmp_ne_u32_e32 vcc, 0, v7
                                        ; implicit-def: $vgpr3
	s_and_saveexec_b64 s[26:27], vcc
	s_xor_b64 s[26:27], exec, s[26:27]
; %bb.3184:                             ;   in Loop: Header=BB6_138 Depth=3
	v_cmp_lt_u64_e32 vcc, s[88:89], v[1:2]
	v_add_u32_e32 v3, 15, v9
	v_cndmask_b32_e64 v4, 0, 1, vcc
	v_lshrrev_b64 v[1:2], v4, v[1:2]
	v_cndmask_b32_e32 v3, v7, v3, vcc
; %bb.3185:                             ;   in Loop: Header=BB6_138 Depth=3
	s_andn2_saveexec_b64 s[26:27], s[26:27]
; %bb.3186:                             ;   in Loop: Header=BB6_138 Depth=3
	v_bfe_u32 v3, v1, 23, 1
; %bb.3187:                             ;   in Loop: Header=BB6_138 Depth=3
	s_or_b64 exec, exec, s[26:27]
	v_lshrrev_b64 v[1:2], 21, v[1:2]
	v_cmp_gt_i32_e32 vcc, 32, v3
	v_cndmask_b32_e32 v2, 0, v2, vcc
	v_cndmask_b32_e32 v1, 3, v1, vcc
	v_cmp_eq_u64_e64 s[26:27], 0, v[1:2]
	v_min_i32_e32 v2, 31, v3
	v_lshlrev_b32_e32 v2, 2, v2
	v_cmp_eq_u32_e32 vcc, 0, v3
	v_and_b32_e32 v2, 0xfc, v2
	v_and_or_b32 v1, v1, 3, v2
	s_and_b64 s[26:27], vcc, s[26:27]
	v_cndmask_b32_e64 v1, v1, 0, s[26:27]
	v_or_b32_e32 v7, v1, v8
.LBB6_3188:                             ;   in Loop: Header=BB6_138 Depth=3
	s_or_b64 exec, exec, s[34:35]
                                        ; implicit-def: $vgpr8
.LBB6_3189:                             ;   in Loop: Header=BB6_138 Depth=3
	s_andn2_saveexec_b64 s[26:27], s[30:31]
; %bb.3190:                             ;   in Loop: Header=BB6_138 Depth=3
	v_or_b32_e32 v7, 0x7b, v8
; %bb.3191:                             ;   in Loop: Header=BB6_138 Depth=3
	s_or_b64 exec, exec, s[26:27]
                                        ; implicit-def: $vgpr3
                                        ; implicit-def: $vgpr1_vgpr2
.LBB6_3192:                             ;   in Loop: Header=BB6_138 Depth=3
	s_andn2_saveexec_b64 s[26:27], s[94:95]
	s_cbranch_execz .LBB6_3198
; %bb.3193:                             ;   in Loop: Header=BB6_138 Depth=3
	v_cmp_ne_u64_e32 vcc, 0, v[1:2]
                                        ; implicit-def: $vgpr7
	s_and_saveexec_b64 s[62:63], vcc
	s_xor_b64 s[94:95], exec, s[62:63]
; %bb.3194:                             ;   in Loop: Header=BB6_138 Depth=3
	v_or_b32_sdwa v7, v3, s44 dst_sel:DWORD dst_unused:UNUSED_PAD src0_sel:BYTE_3 src1_sel:DWORD
                                        ; implicit-def: $vgpr3
; %bb.3195:                             ;   in Loop: Header=BB6_138 Depth=3
	s_andn2_saveexec_b64 s[94:95], s[94:95]
; %bb.3196:                             ;   in Loop: Header=BB6_138 Depth=3
	v_cmp_lt_i32_e32 vcc, -1, v3
	v_bfrev_b32_e32 v1, 0.5
	v_mov_b32_e32 v2, 0x7c
	v_cndmask_b32_e32 v7, v1, v2, vcc
; %bb.3197:                             ;   in Loop: Header=BB6_138 Depth=3
	s_or_b64 exec, exec, s[94:95]
.LBB6_3198:                             ;   in Loop: Header=BB6_138 Depth=3
	s_or_b64 exec, exec, s[26:27]
	v_lshrrev_b16_e32 v1, 8, v0
	v_cmp_ne_u16_e32 vcc, 0, v1
	v_mov_b32_e32 v2, 0
	s_and_saveexec_b64 s[26:27], vcc
	s_cbranch_execz .LBB6_3206
; %bb.3199:                             ;   in Loop: Header=BB6_138 Depth=3
	v_cmp_ne_u16_e32 vcc, s97, v1
	v_bfrev_b32_e32 v2, 1
	s_and_saveexec_b64 s[94:95], vcc
	s_cbranch_execz .LBB6_3205
; %bb.3200:                             ;   in Loop: Header=BB6_138 Depth=3
	v_and_b32_e32 v2, 0x7c, v1
	v_and_b32_e32 v3, 3, v1
	v_cmp_ne_u32_e32 vcc, s86, v2
                                        ; implicit-def: $vgpr2
	s_and_saveexec_b64 s[62:63], vcc
	s_xor_b64 s[30:31], exec, s[62:63]
	s_cbranch_execz .LBB6_3202
; %bb.3201:                             ;   in Loop: Header=BB6_138 Depth=3
	v_ffbh_u32_e32 v8, v3
	v_min_u32_e32 v8, 32, v8
	v_mov_b32_e32 v2, v33
	v_subrev_u32_e32 v9, 29, v8
	v_bfe_u32 v4, v1, 2, 5
	v_lshlrev_b64 v[1:2], v9, v[1:2]
	v_sub_u32_e32 v2, 30, v8
	v_cmp_eq_u32_e32 vcc, 0, v4
	v_lshlrev_b32_e32 v0, 16, v0
	v_and_b32_e32 v1, 3, v1
	v_cndmask_b32_e32 v2, v4, v2, vcc
	v_and_b32_e32 v0, 0x80000000, v0
	v_cndmask_b32_e32 v1, v3, v1, vcc
	v_lshl_add_u32 v0, v2, 23, v0
	v_lshl_or_b32 v0, v1, 21, v0
	v_add_u32_e32 v2, 0x38000000, v0
                                        ; implicit-def: $vgpr3
                                        ; implicit-def: $vgpr0_vgpr1
.LBB6_3202:                             ;   in Loop: Header=BB6_138 Depth=3
	s_andn2_saveexec_b64 s[30:31], s[30:31]
; %bb.3203:                             ;   in Loop: Header=BB6_138 Depth=3
	v_cmp_lt_i16_e32 vcc, -1, v0
	v_mov_b32_e32 v0, 0xff800000
	v_mov_b32_e32 v1, 0x7f800000
	v_cndmask_b32_e32 v0, v0, v1, vcc
	v_cmp_eq_u32_e32 vcc, 0, v3
	v_mov_b32_e32 v1, 0x7f800001
	v_cndmask_b32_e32 v2, v1, v0, vcc
; %bb.3204:                             ;   in Loop: Header=BB6_138 Depth=3
	s_or_b64 exec, exec, s[30:31]
.LBB6_3205:                             ;   in Loop: Header=BB6_138 Depth=3
	s_or_b64 exec, exec, s[94:95]
.LBB6_3206:                             ;   in Loop: Header=BB6_138 Depth=3
	s_or_b64 exec, exec, s[26:27]
	v_mul_f32_e32 v2, v14, v2
	v_and_b32_e32 v8, 0x7f800000, v2
	v_mov_b32_e32 v9, v33
	v_cmp_ne_u64_e32 vcc, s[76:77], v[8:9]
	v_and_b32_e32 v0, 0x7fffff, v2
	v_mov_b32_e32 v1, v33
                                        ; implicit-def: $vgpr24
	s_and_saveexec_b64 s[26:27], vcc
	s_xor_b64 s[94:95], exec, s[26:27]
	s_cbranch_execz .LBB6_3220
; %bb.3207:                             ;   in Loop: Header=BB6_138 Depth=3
	v_and_b32_e32 v8, 0x7fffffff, v2
	v_mov_b32_e32 v9, v33
	v_cmp_gt_u64_e32 vcc, s[78:79], v[8:9]
	v_and_b32_sdwa v3, v2, s97 dst_sel:DWORD dst_unused:UNUSED_PAD src0_sel:BYTE_3 src1_sel:DWORD
                                        ; implicit-def: $vgpr24
	s_and_saveexec_b64 s[26:27], vcc
	s_xor_b64 s[30:31], exec, s[26:27]
	s_cbranch_execz .LBB6_3217
; %bb.3208:                             ;   in Loop: Header=BB6_138 Depth=3
	v_mov_b32_e32 v24, 0
	v_cmp_ne_u32_e32 vcc, 0, v2
	s_and_saveexec_b64 s[34:35], vcc
	s_cbranch_execz .LBB6_3216
; %bb.3209:                             ;   in Loop: Header=BB6_138 Depth=3
	v_bfe_u32 v8, v2, 23, 8
	v_cmp_gt_u32_e64 s[26:27], s47, v8
	v_sub_u32_e32 v2, 0x71, v8
	v_cmp_eq_u32_e32 vcc, 0, v8
	v_cndmask_b32_e64 v2, 0, v2, s[26:27]
	v_mov_b32_e32 v9, 0x70
	v_cndmask_b32_e32 v9, v2, v9, vcc
	v_add_u32_e32 v2, 21, v9
	v_or_b32_e32 v4, 0x800000, v0
	v_lshlrev_b64 v[30:31], v2, -1
	v_cndmask_b32_e32 v0, v4, v0, vcc
	v_add_u32_e32 v2, 20, v9
	v_bfi_b32 v30, v30, 0, v0
	v_lshlrev_b64 v[34:35], v2, 1
	v_lshrrev_b64 v[0:1], v9, v[0:1]
	v_bfi_b32 v31, v31, 0, 0
	v_cmp_eq_u64_e64 s[26:27], v[30:31], v[34:35]
	v_mov_b32_e32 v2, v1
	v_mov_b32_e32 v1, v0
	s_and_saveexec_b64 s[36:37], s[26:27]
; %bb.3210:                             ;   in Loop: Header=BB6_138 Depth=3
	v_bfe_u32 v1, v0, 21, 1
	v_add_co_u32_e64 v1, s[26:27], v0, v1
	v_add_co_u32_e64 v1, s[26:27], -1, v1
; %bb.3211:                             ;   in Loop: Header=BB6_138 Depth=3
	s_or_b64 exec, exec, s[36:37]
	v_add_u32_e32 v2, 0xffffff81, v8
	v_mov_b32_e32 v4, 0xffffff82
	v_cndmask_b32_e32 v2, v2, v4, vcc
	v_lshrrev_b32_e32 v4, 23, v0
	v_add3_u32 v9, v9, v2, v4
	v_add_u32_e32 v8, 14, v9
	v_and_b32_e32 v1, 0x1fffff, v1
	v_add_u32_e32 v0, v1, v0
	v_mov_b32_e32 v1, v33
	v_cmp_ne_u32_e32 vcc, 0, v8
                                        ; implicit-def: $vgpr2
	s_and_saveexec_b64 s[26:27], vcc
	s_xor_b64 s[26:27], exec, s[26:27]
; %bb.3212:                             ;   in Loop: Header=BB6_138 Depth=3
	v_cmp_lt_u64_e32 vcc, s[88:89], v[0:1]
	v_add_u32_e32 v2, 15, v9
	v_cndmask_b32_e64 v4, 0, 1, vcc
	v_lshrrev_b64 v[0:1], v4, v[0:1]
	v_cndmask_b32_e32 v2, v8, v2, vcc
; %bb.3213:                             ;   in Loop: Header=BB6_138 Depth=3
	s_andn2_saveexec_b64 s[26:27], s[26:27]
; %bb.3214:                             ;   in Loop: Header=BB6_138 Depth=3
	v_bfe_u32 v2, v0, 23, 1
; %bb.3215:                             ;   in Loop: Header=BB6_138 Depth=3
	s_or_b64 exec, exec, s[26:27]
	v_lshrrev_b64 v[0:1], 21, v[0:1]
	v_cmp_gt_i32_e32 vcc, 32, v2
	v_cndmask_b32_e32 v1, 0, v1, vcc
	v_cndmask_b32_e32 v0, 3, v0, vcc
	v_cmp_eq_u64_e64 s[26:27], 0, v[0:1]
	v_min_i32_e32 v1, 31, v2
	v_lshlrev_b32_e32 v1, 2, v1
	v_cmp_eq_u32_e32 vcc, 0, v2
	v_and_b32_e32 v1, 0xfc, v1
	v_and_or_b32 v0, v0, 3, v1
	s_and_b64 s[26:27], vcc, s[26:27]
	v_cndmask_b32_e64 v0, v0, 0, s[26:27]
	v_or_b32_e32 v24, v0, v3
.LBB6_3216:                             ;   in Loop: Header=BB6_138 Depth=3
	s_or_b64 exec, exec, s[34:35]
                                        ; implicit-def: $vgpr3
.LBB6_3217:                             ;   in Loop: Header=BB6_138 Depth=3
	s_andn2_saveexec_b64 s[26:27], s[30:31]
; %bb.3218:                             ;   in Loop: Header=BB6_138 Depth=3
	v_or_b32_e32 v24, 0x7b, v3
; %bb.3219:                             ;   in Loop: Header=BB6_138 Depth=3
	s_or_b64 exec, exec, s[26:27]
                                        ; implicit-def: $vgpr2
                                        ; implicit-def: $vgpr0_vgpr1
.LBB6_3220:                             ;   in Loop: Header=BB6_138 Depth=3
	s_andn2_saveexec_b64 s[26:27], s[94:95]
	s_cbranch_execz .LBB6_3226
; %bb.3221:                             ;   in Loop: Header=BB6_138 Depth=3
	v_cmp_ne_u64_e32 vcc, 0, v[0:1]
                                        ; implicit-def: $vgpr24
	s_and_saveexec_b64 s[62:63], vcc
	s_xor_b64 s[94:95], exec, s[62:63]
; %bb.3222:                             ;   in Loop: Header=BB6_138 Depth=3
	v_or_b32_sdwa v24, v2, s44 dst_sel:DWORD dst_unused:UNUSED_PAD src0_sel:BYTE_3 src1_sel:DWORD
                                        ; implicit-def: $vgpr2
; %bb.3223:                             ;   in Loop: Header=BB6_138 Depth=3
	s_andn2_saveexec_b64 s[94:95], s[94:95]
; %bb.3224:                             ;   in Loop: Header=BB6_138 Depth=3
	v_cmp_lt_i32_e32 vcc, -1, v2
	v_bfrev_b32_e32 v0, 0.5
	v_mov_b32_e32 v1, 0x7c
	v_cndmask_b32_e32 v24, v0, v1, vcc
; %bb.3225:                             ;   in Loop: Header=BB6_138 Depth=3
	s_or_b64 exec, exec, s[94:95]
.LBB6_3226:                             ;   in Loop: Header=BB6_138 Depth=3
	s_or_b64 exec, exec, s[26:27]
	v_lshrrev_b32_e32 v0, 16, v11
	v_cmp_ne_u16_sdwa s[62:63], v0, v33 src0_sel:BYTE_0 src1_sel:DWORD
	v_mov_b32_e32 v1, 0
	s_and_saveexec_b64 s[26:27], s[62:63]
	s_cbranch_execz .LBB6_3234
; %bb.3227:                             ;   in Loop: Header=BB6_138 Depth=3
	v_cmp_ne_u16_sdwa s[62:63], v0, s97 src0_sel:BYTE_0 src1_sel:DWORD
	v_bfrev_b32_e32 v1, 1
	s_and_saveexec_b64 s[94:95], s[62:63]
	s_cbranch_execz .LBB6_3233
; %bb.3228:                             ;   in Loop: Header=BB6_138 Depth=3
	v_and_b32_e32 v1, 0x7c0000, v11
	v_bfe_u32 v2, v11, 16, 2
	v_cmp_ne_u32_e32 vcc, s45, v1
                                        ; implicit-def: $vgpr1
	s_and_saveexec_b64 s[62:63], vcc
	s_xor_b64 s[30:31], exec, s[62:63]
	s_cbranch_execz .LBB6_3230
; %bb.3229:                             ;   in Loop: Header=BB6_138 Depth=3
	v_ffbh_u32_e32 v1, v2
	v_min_u32_e32 v4, 32, v1
	v_subrev_u32_e32 v1, 29, v4
	v_lshlrev_b64 v[0:1], v1, v[0:1]
	v_bfe_u32 v3, v11, 18, 5
	v_and_b32_e32 v0, 3, v0
	v_cmp_eq_u32_e32 vcc, 0, v3
	v_sub_u32_e32 v1, 30, v4
	v_cndmask_b32_e32 v0, v2, v0, vcc
	v_lshlrev_b32_e32 v2, 8, v11
	v_cndmask_b32_e32 v1, v3, v1, vcc
	v_and_b32_e32 v2, 0x80000000, v2
	v_lshl_add_u32 v1, v1, 23, v2
	v_lshl_or_b32 v0, v0, 21, v1
	v_add_u32_e32 v1, 0x38000000, v0
                                        ; implicit-def: $vgpr2
                                        ; implicit-def: $vgpr0
.LBB6_3230:                             ;   in Loop: Header=BB6_138 Depth=3
	s_andn2_saveexec_b64 s[30:31], s[30:31]
; %bb.3231:                             ;   in Loop: Header=BB6_138 Depth=3
	v_mov_b32_e32 v1, -1
	v_cmp_gt_i16_sdwa vcc, sext(v0), v1 src0_sel:BYTE_0 src1_sel:DWORD
	v_mov_b32_e32 v0, 0xff800000
	v_mov_b32_e32 v1, 0x7f800000
	v_cndmask_b32_e32 v0, v0, v1, vcc
	v_cmp_eq_u32_e32 vcc, 0, v2
	v_mov_b32_e32 v1, 0x7f800001
	v_cndmask_b32_e32 v1, v1, v0, vcc
; %bb.3232:                             ;   in Loop: Header=BB6_138 Depth=3
	s_or_b64 exec, exec, s[30:31]
.LBB6_3233:                             ;   in Loop: Header=BB6_138 Depth=3
	s_or_b64 exec, exec, s[94:95]
.LBB6_3234:                             ;   in Loop: Header=BB6_138 Depth=3
	s_or_b64 exec, exec, s[26:27]
	v_mul_f32_e32 v2, v14, v1
	v_and_b32_e32 v8, 0x7f800000, v2
	v_mov_b32_e32 v9, v33
	v_cmp_ne_u64_e32 vcc, s[76:77], v[8:9]
	v_and_b32_e32 v0, 0x7fffff, v2
	v_mov_b32_e32 v1, v33
                                        ; implicit-def: $vgpr30
	s_and_saveexec_b64 s[26:27], vcc
	s_xor_b64 s[94:95], exec, s[26:27]
	s_cbranch_execz .LBB6_3248
; %bb.3235:                             ;   in Loop: Header=BB6_138 Depth=3
	v_and_b32_e32 v8, 0x7fffffff, v2
	v_mov_b32_e32 v9, v33
	v_cmp_gt_u64_e32 vcc, s[78:79], v[8:9]
	v_and_b32_sdwa v3, v2, s97 dst_sel:DWORD dst_unused:UNUSED_PAD src0_sel:BYTE_3 src1_sel:DWORD
                                        ; implicit-def: $vgpr30
	s_and_saveexec_b64 s[26:27], vcc
	s_xor_b64 s[30:31], exec, s[26:27]
	s_cbranch_execz .LBB6_3245
; %bb.3236:                             ;   in Loop: Header=BB6_138 Depth=3
	v_mov_b32_e32 v30, 0
	v_cmp_ne_u32_e32 vcc, 0, v2
	s_and_saveexec_b64 s[34:35], vcc
	s_cbranch_execz .LBB6_3244
; %bb.3237:                             ;   in Loop: Header=BB6_138 Depth=3
	v_bfe_u32 v8, v2, 23, 8
	v_cmp_gt_u32_e64 s[26:27], s47, v8
	v_sub_u32_e32 v2, 0x71, v8
	v_cmp_eq_u32_e32 vcc, 0, v8
	v_cndmask_b32_e64 v2, 0, v2, s[26:27]
	v_mov_b32_e32 v9, 0x70
	v_cndmask_b32_e32 v9, v2, v9, vcc
	v_add_u32_e32 v2, 21, v9
	v_or_b32_e32 v4, 0x800000, v0
	v_lshlrev_b64 v[30:31], v2, -1
	v_cndmask_b32_e32 v0, v4, v0, vcc
	v_add_u32_e32 v2, 20, v9
	v_bfi_b32 v30, v30, 0, v0
	v_lshlrev_b64 v[34:35], v2, 1
	v_lshrrev_b64 v[0:1], v9, v[0:1]
	v_bfi_b32 v31, v31, 0, 0
	v_cmp_eq_u64_e64 s[26:27], v[30:31], v[34:35]
	v_mov_b32_e32 v2, v1
	v_mov_b32_e32 v1, v0
	s_and_saveexec_b64 s[36:37], s[26:27]
; %bb.3238:                             ;   in Loop: Header=BB6_138 Depth=3
	v_bfe_u32 v1, v0, 21, 1
	v_add_co_u32_e64 v1, s[26:27], v0, v1
	v_add_co_u32_e64 v1, s[26:27], -1, v1
; %bb.3239:                             ;   in Loop: Header=BB6_138 Depth=3
	s_or_b64 exec, exec, s[36:37]
	v_add_u32_e32 v2, 0xffffff81, v8
	v_mov_b32_e32 v4, 0xffffff82
	v_cndmask_b32_e32 v2, v2, v4, vcc
	v_lshrrev_b32_e32 v4, 23, v0
	v_add3_u32 v9, v9, v2, v4
	v_add_u32_e32 v8, 14, v9
	v_and_b32_e32 v1, 0x1fffff, v1
	v_add_u32_e32 v0, v1, v0
	v_mov_b32_e32 v1, v33
	v_cmp_ne_u32_e32 vcc, 0, v8
                                        ; implicit-def: $vgpr2
	s_and_saveexec_b64 s[26:27], vcc
	s_xor_b64 s[26:27], exec, s[26:27]
; %bb.3240:                             ;   in Loop: Header=BB6_138 Depth=3
	v_cmp_lt_u64_e32 vcc, s[88:89], v[0:1]
	v_add_u32_e32 v2, 15, v9
	v_cndmask_b32_e64 v4, 0, 1, vcc
	v_lshrrev_b64 v[0:1], v4, v[0:1]
	v_cndmask_b32_e32 v2, v8, v2, vcc
; %bb.3241:                             ;   in Loop: Header=BB6_138 Depth=3
	s_andn2_saveexec_b64 s[26:27], s[26:27]
; %bb.3242:                             ;   in Loop: Header=BB6_138 Depth=3
	v_bfe_u32 v2, v0, 23, 1
; %bb.3243:                             ;   in Loop: Header=BB6_138 Depth=3
	s_or_b64 exec, exec, s[26:27]
	v_lshrrev_b64 v[0:1], 21, v[0:1]
	v_cmp_gt_i32_e32 vcc, 32, v2
	v_cndmask_b32_e32 v1, 0, v1, vcc
	v_cndmask_b32_e32 v0, 3, v0, vcc
	v_cmp_eq_u64_e64 s[26:27], 0, v[0:1]
	v_min_i32_e32 v1, 31, v2
	v_lshlrev_b32_e32 v1, 2, v1
	v_cmp_eq_u32_e32 vcc, 0, v2
	v_and_b32_e32 v1, 0xfc, v1
	v_and_or_b32 v0, v0, 3, v1
	s_and_b64 s[26:27], vcc, s[26:27]
	v_cndmask_b32_e64 v0, v0, 0, s[26:27]
	v_or_b32_e32 v30, v0, v3
.LBB6_3244:                             ;   in Loop: Header=BB6_138 Depth=3
	s_or_b64 exec, exec, s[34:35]
                                        ; implicit-def: $vgpr3
.LBB6_3245:                             ;   in Loop: Header=BB6_138 Depth=3
	s_andn2_saveexec_b64 s[26:27], s[30:31]
; %bb.3246:                             ;   in Loop: Header=BB6_138 Depth=3
	v_or_b32_e32 v30, 0x7b, v3
; %bb.3247:                             ;   in Loop: Header=BB6_138 Depth=3
	s_or_b64 exec, exec, s[26:27]
                                        ; implicit-def: $vgpr2
                                        ; implicit-def: $vgpr0_vgpr1
.LBB6_3248:                             ;   in Loop: Header=BB6_138 Depth=3
	s_andn2_saveexec_b64 s[26:27], s[94:95]
	s_cbranch_execz .LBB6_3254
; %bb.3249:                             ;   in Loop: Header=BB6_138 Depth=3
	v_cmp_ne_u64_e32 vcc, 0, v[0:1]
                                        ; implicit-def: $vgpr30
	s_and_saveexec_b64 s[62:63], vcc
	s_xor_b64 s[94:95], exec, s[62:63]
; %bb.3250:                             ;   in Loop: Header=BB6_138 Depth=3
	v_or_b32_sdwa v30, v2, s44 dst_sel:DWORD dst_unused:UNUSED_PAD src0_sel:BYTE_3 src1_sel:DWORD
                                        ; implicit-def: $vgpr2
; %bb.3251:                             ;   in Loop: Header=BB6_138 Depth=3
	s_andn2_saveexec_b64 s[94:95], s[94:95]
; %bb.3252:                             ;   in Loop: Header=BB6_138 Depth=3
	v_cmp_lt_i32_e32 vcc, -1, v2
	v_bfrev_b32_e32 v0, 0.5
	v_mov_b32_e32 v1, 0x7c
	v_cndmask_b32_e32 v30, v0, v1, vcc
; %bb.3253:                             ;   in Loop: Header=BB6_138 Depth=3
	s_or_b64 exec, exec, s[94:95]
.LBB6_3254:                             ;   in Loop: Header=BB6_138 Depth=3
	s_or_b64 exec, exec, s[26:27]
	v_cmp_lt_u64_e32 vcc, s[56:57], v[10:11]
	v_mov_b32_e32 v1, 0
	s_and_saveexec_b64 s[26:27], vcc
	s_cbranch_execz .LBB6_3262
; %bb.3255:                             ;   in Loop: Header=BB6_138 Depth=3
	v_lshrrev_b32_e32 v0, 24, v11
	v_cmp_ne_u32_e32 vcc, s97, v0
	v_bfrev_b32_e32 v1, 1
	s_and_saveexec_b64 s[94:95], vcc
	s_cbranch_execz .LBB6_3261
; %bb.3256:                             ;   in Loop: Header=BB6_138 Depth=3
	v_and_b32_e32 v1, 0x7c000000, v11
	v_bfe_u32 v2, v11, 24, 2
	v_cmp_ne_u32_e32 vcc, s68, v1
                                        ; implicit-def: $vgpr1
	s_and_saveexec_b64 s[62:63], vcc
	s_xor_b64 s[30:31], exec, s[62:63]
	s_cbranch_execz .LBB6_3258
; %bb.3257:                             ;   in Loop: Header=BB6_138 Depth=3
	v_ffbh_u32_e32 v1, v2
	v_min_u32_e32 v4, 32, v1
	v_subrev_u32_e32 v1, 29, v4
	v_lshlrev_b64 v[0:1], v1, v[0:1]
	v_bfe_u32 v3, v11, 26, 5
	v_sub_u32_e32 v1, 30, v4
	v_and_b32_e32 v0, 3, v0
	v_cmp_eq_u32_e32 vcc, 0, v3
	v_cndmask_b32_e32 v1, v3, v1, vcc
	v_cndmask_b32_e32 v0, v2, v0, vcc
	v_and_b32_e32 v2, 0x80000000, v11
	v_lshl_add_u32 v1, v1, 23, v2
	v_lshl_or_b32 v0, v0, 21, v1
	v_add_u32_e32 v1, 0x38000000, v0
                                        ; implicit-def: $vgpr2
                                        ; implicit-def: $vgpr10_vgpr11
.LBB6_3258:                             ;   in Loop: Header=BB6_138 Depth=3
	s_andn2_saveexec_b64 s[30:31], s[30:31]
; %bb.3259:                             ;   in Loop: Header=BB6_138 Depth=3
	v_cmp_lt_i64_e32 vcc, -1, v[10:11]
	v_mov_b32_e32 v0, 0xff800000
	v_mov_b32_e32 v1, 0x7f800000
	v_cndmask_b32_e32 v0, v0, v1, vcc
	v_cmp_eq_u32_e32 vcc, 0, v2
	v_mov_b32_e32 v1, 0x7f800001
	v_cndmask_b32_e32 v1, v1, v0, vcc
; %bb.3260:                             ;   in Loop: Header=BB6_138 Depth=3
	s_or_b64 exec, exec, s[30:31]
.LBB6_3261:                             ;   in Loop: Header=BB6_138 Depth=3
	s_or_b64 exec, exec, s[94:95]
.LBB6_3262:                             ;   in Loop: Header=BB6_138 Depth=3
	s_or_b64 exec, exec, s[26:27]
	v_mul_f32_e32 v2, v14, v1
	v_and_b32_e32 v8, 0x7f800000, v2
	v_mov_b32_e32 v9, v33
	v_cmp_ne_u64_e32 vcc, s[76:77], v[8:9]
	v_and_b32_e32 v0, 0x7fffff, v2
	v_mov_b32_e32 v1, v33
                                        ; implicit-def: $vgpr31
	s_and_saveexec_b64 s[26:27], vcc
	s_xor_b64 s[94:95], exec, s[26:27]
	s_cbranch_execz .LBB6_3276
; %bb.3263:                             ;   in Loop: Header=BB6_138 Depth=3
	v_and_b32_e32 v8, 0x7fffffff, v2
	v_mov_b32_e32 v9, v33
	v_cmp_gt_u64_e32 vcc, s[78:79], v[8:9]
	v_and_b32_sdwa v3, v2, s97 dst_sel:DWORD dst_unused:UNUSED_PAD src0_sel:BYTE_3 src1_sel:DWORD
                                        ; implicit-def: $vgpr31
	s_and_saveexec_b64 s[26:27], vcc
	s_xor_b64 s[30:31], exec, s[26:27]
	s_cbranch_execz .LBB6_3273
; %bb.3264:                             ;   in Loop: Header=BB6_138 Depth=3
	v_mov_b32_e32 v31, 0
	v_cmp_ne_u32_e32 vcc, 0, v2
	s_and_saveexec_b64 s[34:35], vcc
	s_cbranch_execz .LBB6_3272
; %bb.3265:                             ;   in Loop: Header=BB6_138 Depth=3
	v_bfe_u32 v8, v2, 23, 8
	v_cmp_gt_u32_e64 s[26:27], s47, v8
	v_sub_u32_e32 v2, 0x71, v8
	v_cmp_eq_u32_e32 vcc, 0, v8
	v_cndmask_b32_e64 v2, 0, v2, s[26:27]
	v_mov_b32_e32 v9, 0x70
	v_cndmask_b32_e32 v9, v2, v9, vcc
	v_add_u32_e32 v2, 21, v9
	v_or_b32_e32 v4, 0x800000, v0
	v_lshlrev_b64 v[10:11], v2, -1
	v_cndmask_b32_e32 v0, v4, v0, vcc
	v_add_u32_e32 v2, 20, v9
	v_bfi_b32 v10, v10, 0, v0
	v_lshlrev_b64 v[31:32], v2, 1
	v_lshrrev_b64 v[0:1], v9, v[0:1]
	v_bfi_b32 v11, v11, 0, 0
	v_cmp_eq_u64_e64 s[26:27], v[10:11], v[31:32]
	v_mov_b32_e32 v2, v1
	v_mov_b32_e32 v1, v0
	s_and_saveexec_b64 s[36:37], s[26:27]
; %bb.3266:                             ;   in Loop: Header=BB6_138 Depth=3
	v_bfe_u32 v1, v0, 21, 1
	v_add_co_u32_e64 v1, s[26:27], v0, v1
	v_add_co_u32_e64 v1, s[26:27], -1, v1
; %bb.3267:                             ;   in Loop: Header=BB6_138 Depth=3
	s_or_b64 exec, exec, s[36:37]
	v_add_u32_e32 v2, 0xffffff81, v8
	v_mov_b32_e32 v4, 0xffffff82
	v_cndmask_b32_e32 v2, v2, v4, vcc
	v_lshrrev_b32_e32 v4, 23, v0
	v_add3_u32 v9, v9, v2, v4
	v_add_u32_e32 v8, 14, v9
	v_and_b32_e32 v1, 0x1fffff, v1
	v_add_u32_e32 v0, v1, v0
	v_mov_b32_e32 v1, v33
	v_cmp_ne_u32_e32 vcc, 0, v8
                                        ; implicit-def: $vgpr2
	s_and_saveexec_b64 s[26:27], vcc
	s_xor_b64 s[26:27], exec, s[26:27]
; %bb.3268:                             ;   in Loop: Header=BB6_138 Depth=3
	v_cmp_lt_u64_e32 vcc, s[88:89], v[0:1]
	v_add_u32_e32 v2, 15, v9
	v_cndmask_b32_e64 v4, 0, 1, vcc
	v_lshrrev_b64 v[0:1], v4, v[0:1]
	v_cndmask_b32_e32 v2, v8, v2, vcc
; %bb.3269:                             ;   in Loop: Header=BB6_138 Depth=3
	s_andn2_saveexec_b64 s[26:27], s[26:27]
; %bb.3270:                             ;   in Loop: Header=BB6_138 Depth=3
	v_bfe_u32 v2, v0, 23, 1
; %bb.3271:                             ;   in Loop: Header=BB6_138 Depth=3
	s_or_b64 exec, exec, s[26:27]
	v_lshrrev_b64 v[0:1], 21, v[0:1]
	v_cmp_gt_i32_e32 vcc, 32, v2
	v_cndmask_b32_e32 v1, 0, v1, vcc
	v_cndmask_b32_e32 v0, 3, v0, vcc
	v_cmp_eq_u64_e64 s[26:27], 0, v[0:1]
	v_min_i32_e32 v1, 31, v2
	v_lshlrev_b32_e32 v1, 2, v1
	v_cmp_eq_u32_e32 vcc, 0, v2
	v_and_b32_e32 v1, 0xfc, v1
	v_and_or_b32 v0, v0, 3, v1
	s_and_b64 s[26:27], vcc, s[26:27]
	v_cndmask_b32_e64 v0, v0, 0, s[26:27]
	v_or_b32_e32 v31, v0, v3
.LBB6_3272:                             ;   in Loop: Header=BB6_138 Depth=3
	s_or_b64 exec, exec, s[34:35]
                                        ; implicit-def: $vgpr3
.LBB6_3273:                             ;   in Loop: Header=BB6_138 Depth=3
	s_andn2_saveexec_b64 s[26:27], s[30:31]
; %bb.3274:                             ;   in Loop: Header=BB6_138 Depth=3
	v_or_b32_e32 v31, 0x7b, v3
; %bb.3275:                             ;   in Loop: Header=BB6_138 Depth=3
	s_or_b64 exec, exec, s[26:27]
                                        ; implicit-def: $vgpr2
                                        ; implicit-def: $vgpr0_vgpr1
.LBB6_3276:                             ;   in Loop: Header=BB6_138 Depth=3
	s_andn2_saveexec_b64 s[26:27], s[94:95]
	s_cbranch_execz .LBB6_3282
; %bb.3277:                             ;   in Loop: Header=BB6_138 Depth=3
	v_cmp_ne_u64_e32 vcc, 0, v[0:1]
                                        ; implicit-def: $vgpr31
	s_and_saveexec_b64 s[62:63], vcc
	s_xor_b64 s[94:95], exec, s[62:63]
; %bb.3278:                             ;   in Loop: Header=BB6_138 Depth=3
	v_or_b32_sdwa v31, v2, s44 dst_sel:DWORD dst_unused:UNUSED_PAD src0_sel:BYTE_3 src1_sel:DWORD
                                        ; implicit-def: $vgpr2
; %bb.3279:                             ;   in Loop: Header=BB6_138 Depth=3
	s_andn2_saveexec_b64 s[94:95], s[94:95]
; %bb.3280:                             ;   in Loop: Header=BB6_138 Depth=3
	v_cmp_lt_i32_e32 vcc, -1, v2
	v_bfrev_b32_e32 v0, 0.5
	v_mov_b32_e32 v1, 0x7c
	v_cndmask_b32_e32 v31, v0, v1, vcc
; %bb.3281:                             ;   in Loop: Header=BB6_138 Depth=3
	s_or_b64 exec, exec, s[94:95]
.LBB6_3282:                             ;   in Loop: Header=BB6_138 Depth=3
	s_or_b64 exec, exec, s[26:27]
	v_add_co_u32_e32 v0, vcc, 0x1000, v12
	v_addc_co_u32_e32 v1, vcc, 0, v13, vcc
	global_load_dwordx4 v[8:11], v[0:1], off offset:3072 glc slc
	v_mov_b32_e32 v0, 0
	s_waitcnt vmcnt(0)
	v_cmp_ne_u16_sdwa s[62:63], v8, v33 src0_sel:BYTE_0 src1_sel:DWORD
	s_and_saveexec_b64 s[26:27], s[62:63]
	s_cbranch_execz .LBB6_3290
; %bb.3283:                             ;   in Loop: Header=BB6_138 Depth=3
	v_cmp_ne_u16_sdwa s[62:63], sext(v8), s46 src0_sel:BYTE_0 src1_sel:DWORD
	v_bfrev_b32_e32 v0, 1
	s_and_saveexec_b64 s[94:95], s[62:63]
	s_cbranch_execz .LBB6_3289
; %bb.3284:                             ;   in Loop: Header=BB6_138 Depth=3
	v_and_b32_e32 v0, 0x7c, v8
	v_and_b32_e32 v1, 3, v8
	v_cmp_ne_u32_e32 vcc, s86, v0
                                        ; implicit-def: $vgpr0
	s_and_saveexec_b64 s[62:63], vcc
	s_xor_b64 s[30:31], exec, s[62:63]
	s_cbranch_execz .LBB6_3286
; %bb.3285:                             ;   in Loop: Header=BB6_138 Depth=3
	v_ffbh_u32_e32 v2, v1
	v_min_u32_e32 v4, 32, v2
	v_subrev_u32_e32 v2, 29, v4
	v_lshlrev_b64 v[2:3], v2, v[8:9]
	v_bfe_u32 v0, v8, 2, 5
	v_and_b32_e32 v2, 3, v2
	v_cmp_eq_u32_e32 vcc, 0, v0
	v_sub_u32_e32 v3, 30, v4
	v_cndmask_b32_e32 v1, v1, v2, vcc
	v_lshlrev_b32_e32 v2, 24, v8
	v_cndmask_b32_e32 v0, v0, v3, vcc
	v_and_b32_e32 v2, 0x80000000, v2
	v_lshl_add_u32 v0, v0, 23, v2
	v_lshl_or_b32 v0, v1, 21, v0
	v_add_u32_e32 v0, 0x38000000, v0
                                        ; implicit-def: $vgpr1
.LBB6_3286:                             ;   in Loop: Header=BB6_138 Depth=3
	s_andn2_saveexec_b64 s[30:31], s[30:31]
; %bb.3287:                             ;   in Loop: Header=BB6_138 Depth=3
	v_mov_b32_e32 v0, -1
	v_cmp_gt_i16_sdwa vcc, sext(v8), v0 src0_sel:BYTE_0 src1_sel:DWORD
	v_mov_b32_e32 v0, 0xff800000
	v_mov_b32_e32 v2, 0x7f800000
	v_cndmask_b32_e32 v0, v0, v2, vcc
	v_cmp_eq_u32_e32 vcc, 0, v1
	v_mov_b32_e32 v1, 0x7f800001
	v_cndmask_b32_e32 v0, v1, v0, vcc
; %bb.3288:                             ;   in Loop: Header=BB6_138 Depth=3
	s_or_b64 exec, exec, s[30:31]
.LBB6_3289:                             ;   in Loop: Header=BB6_138 Depth=3
	s_or_b64 exec, exec, s[94:95]
.LBB6_3290:                             ;   in Loop: Header=BB6_138 Depth=3
	s_or_b64 exec, exec, s[26:27]
	v_mul_f32_e32 v2, v14, v0
	v_and_b32_e32 v12, 0x7f800000, v2
	v_mov_b32_e32 v13, v33
	v_cmp_ne_u64_e32 vcc, s[76:77], v[12:13]
	v_and_b32_e32 v0, 0x7fffff, v2
	v_mov_b32_e32 v1, v33
                                        ; implicit-def: $vgpr32
	s_and_saveexec_b64 s[26:27], vcc
	s_xor_b64 s[94:95], exec, s[26:27]
	s_cbranch_execz .LBB6_3304
; %bb.3291:                             ;   in Loop: Header=BB6_138 Depth=3
	v_and_b32_e32 v12, 0x7fffffff, v2
	v_mov_b32_e32 v13, v33
	v_cmp_gt_u64_e32 vcc, s[78:79], v[12:13]
	v_and_b32_sdwa v3, v2, s97 dst_sel:DWORD dst_unused:UNUSED_PAD src0_sel:BYTE_3 src1_sel:DWORD
                                        ; implicit-def: $vgpr32
	s_and_saveexec_b64 s[26:27], vcc
	s_xor_b64 s[30:31], exec, s[26:27]
	s_cbranch_execz .LBB6_3301
; %bb.3292:                             ;   in Loop: Header=BB6_138 Depth=3
	v_mov_b32_e32 v32, 0
	v_cmp_ne_u32_e32 vcc, 0, v2
	s_and_saveexec_b64 s[34:35], vcc
	s_cbranch_execz .LBB6_3300
; %bb.3293:                             ;   in Loop: Header=BB6_138 Depth=3
	v_bfe_u32 v12, v2, 23, 8
	v_cmp_gt_u32_e64 s[26:27], s47, v12
	v_sub_u32_e32 v2, 0x71, v12
	v_cmp_eq_u32_e32 vcc, 0, v12
	v_cndmask_b32_e64 v2, 0, v2, s[26:27]
	v_mov_b32_e32 v13, 0x70
	v_cndmask_b32_e32 v13, v2, v13, vcc
	v_add_u32_e32 v2, 21, v13
	v_or_b32_e32 v4, 0x800000, v0
	v_lshlrev_b64 v[34:35], v2, -1
	v_cndmask_b32_e32 v0, v4, v0, vcc
	v_add_u32_e32 v2, 20, v13
	v_bfi_b32 v34, v34, 0, v0
	v_lshlrev_b64 v[36:37], v2, 1
	v_lshrrev_b64 v[0:1], v13, v[0:1]
	v_bfi_b32 v35, v35, 0, 0
	v_cmp_eq_u64_e64 s[26:27], v[34:35], v[36:37]
	v_mov_b32_e32 v2, v1
	v_mov_b32_e32 v1, v0
	s_and_saveexec_b64 s[36:37], s[26:27]
; %bb.3294:                             ;   in Loop: Header=BB6_138 Depth=3
	v_bfe_u32 v1, v0, 21, 1
	v_add_co_u32_e64 v1, s[26:27], v0, v1
	v_add_co_u32_e64 v1, s[26:27], -1, v1
; %bb.3295:                             ;   in Loop: Header=BB6_138 Depth=3
	s_or_b64 exec, exec, s[36:37]
	v_add_u32_e32 v2, 0xffffff81, v12
	v_mov_b32_e32 v4, 0xffffff82
	v_cndmask_b32_e32 v2, v2, v4, vcc
	v_lshrrev_b32_e32 v4, 23, v0
	v_add3_u32 v13, v13, v2, v4
	v_add_u32_e32 v12, 14, v13
	v_and_b32_e32 v1, 0x1fffff, v1
	v_add_u32_e32 v0, v1, v0
	v_mov_b32_e32 v1, v33
	v_cmp_ne_u32_e32 vcc, 0, v12
                                        ; implicit-def: $vgpr2
	s_and_saveexec_b64 s[26:27], vcc
	s_xor_b64 s[26:27], exec, s[26:27]
; %bb.3296:                             ;   in Loop: Header=BB6_138 Depth=3
	v_cmp_lt_u64_e32 vcc, s[88:89], v[0:1]
	v_add_u32_e32 v2, 15, v13
	v_cndmask_b32_e64 v4, 0, 1, vcc
	v_lshrrev_b64 v[0:1], v4, v[0:1]
	v_cndmask_b32_e32 v2, v12, v2, vcc
; %bb.3297:                             ;   in Loop: Header=BB6_138 Depth=3
	s_andn2_saveexec_b64 s[26:27], s[26:27]
; %bb.3298:                             ;   in Loop: Header=BB6_138 Depth=3
	v_bfe_u32 v2, v0, 23, 1
; %bb.3299:                             ;   in Loop: Header=BB6_138 Depth=3
	s_or_b64 exec, exec, s[26:27]
	v_lshrrev_b64 v[0:1], 21, v[0:1]
	v_cmp_gt_i32_e32 vcc, 32, v2
	v_cndmask_b32_e32 v1, 0, v1, vcc
	v_cndmask_b32_e32 v0, 3, v0, vcc
	v_cmp_eq_u64_e64 s[26:27], 0, v[0:1]
	v_min_i32_e32 v1, 31, v2
	v_lshlrev_b32_e32 v1, 2, v1
	v_cmp_eq_u32_e32 vcc, 0, v2
	v_and_b32_e32 v1, 0xfc, v1
	v_and_or_b32 v0, v0, 3, v1
	s_and_b64 s[26:27], vcc, s[26:27]
	v_cndmask_b32_e64 v0, v0, 0, s[26:27]
	v_or_b32_e32 v32, v0, v3
.LBB6_3300:                             ;   in Loop: Header=BB6_138 Depth=3
	s_or_b64 exec, exec, s[34:35]
                                        ; implicit-def: $vgpr3
.LBB6_3301:                             ;   in Loop: Header=BB6_138 Depth=3
	s_andn2_saveexec_b64 s[26:27], s[30:31]
; %bb.3302:                             ;   in Loop: Header=BB6_138 Depth=3
	v_or_b32_e32 v32, 0x7b, v3
; %bb.3303:                             ;   in Loop: Header=BB6_138 Depth=3
	s_or_b64 exec, exec, s[26:27]
                                        ; implicit-def: $vgpr2
                                        ; implicit-def: $vgpr0_vgpr1
.LBB6_3304:                             ;   in Loop: Header=BB6_138 Depth=3
	s_andn2_saveexec_b64 s[26:27], s[94:95]
	s_cbranch_execz .LBB6_3310
; %bb.3305:                             ;   in Loop: Header=BB6_138 Depth=3
	v_cmp_ne_u64_e32 vcc, 0, v[0:1]
                                        ; implicit-def: $vgpr32
	s_and_saveexec_b64 s[62:63], vcc
	s_xor_b64 s[94:95], exec, s[62:63]
; %bb.3306:                             ;   in Loop: Header=BB6_138 Depth=3
	v_or_b32_sdwa v32, v2, s44 dst_sel:DWORD dst_unused:UNUSED_PAD src0_sel:BYTE_3 src1_sel:DWORD
                                        ; implicit-def: $vgpr2
; %bb.3307:                             ;   in Loop: Header=BB6_138 Depth=3
	s_andn2_saveexec_b64 s[94:95], s[94:95]
; %bb.3308:                             ;   in Loop: Header=BB6_138 Depth=3
	v_cmp_lt_i32_e32 vcc, -1, v2
	v_bfrev_b32_e32 v0, 0.5
	v_mov_b32_e32 v1, 0x7c
	v_cndmask_b32_e32 v32, v0, v1, vcc
; %bb.3309:                             ;   in Loop: Header=BB6_138 Depth=3
	s_or_b64 exec, exec, s[94:95]
.LBB6_3310:                             ;   in Loop: Header=BB6_138 Depth=3
	s_or_b64 exec, exec, s[26:27]
	v_lshrrev_b16_e32 v0, 8, v8
	v_cmp_ne_u16_e32 vcc, 0, v0
	v_mov_b32_e32 v1, 0
	s_and_saveexec_b64 s[26:27], vcc
	s_cbranch_execz .LBB6_3318
; %bb.3311:                             ;   in Loop: Header=BB6_138 Depth=3
	v_cmp_ne_u16_e32 vcc, s97, v0
	v_bfrev_b32_e32 v1, 1
	s_and_saveexec_b64 s[94:95], vcc
	s_cbranch_execz .LBB6_3317
; %bb.3312:                             ;   in Loop: Header=BB6_138 Depth=3
	v_and_b32_e32 v1, 0x7c, v0
	v_and_b32_e32 v2, 3, v0
	v_cmp_ne_u32_e32 vcc, s86, v1
                                        ; implicit-def: $vgpr1
	s_and_saveexec_b64 s[62:63], vcc
	s_xor_b64 s[30:31], exec, s[62:63]
	s_cbranch_execz .LBB6_3314
; %bb.3313:                             ;   in Loop: Header=BB6_138 Depth=3
	v_ffbh_u32_e32 v4, v2
	v_min_u32_e32 v4, 32, v4
	v_mov_b32_e32 v1, v33
	v_subrev_u32_e32 v12, 29, v4
	v_bfe_u32 v3, v0, 2, 5
	v_lshlrev_b64 v[0:1], v12, v[0:1]
	v_cmp_eq_u32_e32 vcc, 0, v3
	v_and_b32_e32 v0, 3, v0
	v_sub_u32_e32 v1, 30, v4
	v_cndmask_b32_e32 v0, v2, v0, vcc
	v_lshlrev_b32_e32 v2, 16, v8
	v_cndmask_b32_e32 v1, v3, v1, vcc
	v_and_b32_e32 v2, 0x80000000, v2
	v_lshl_add_u32 v1, v1, 23, v2
	v_lshl_or_b32 v0, v0, 21, v1
	v_add_u32_e32 v1, 0x38000000, v0
                                        ; implicit-def: $vgpr2
.LBB6_3314:                             ;   in Loop: Header=BB6_138 Depth=3
	s_andn2_saveexec_b64 s[30:31], s[30:31]
; %bb.3315:                             ;   in Loop: Header=BB6_138 Depth=3
	v_cmp_lt_i16_e32 vcc, -1, v8
	v_mov_b32_e32 v0, 0xff800000
	v_mov_b32_e32 v1, 0x7f800000
	v_cndmask_b32_e32 v0, v0, v1, vcc
	v_cmp_eq_u32_e32 vcc, 0, v2
	v_mov_b32_e32 v1, 0x7f800001
	v_cndmask_b32_e32 v1, v1, v0, vcc
; %bb.3316:                             ;   in Loop: Header=BB6_138 Depth=3
	s_or_b64 exec, exec, s[30:31]
.LBB6_3317:                             ;   in Loop: Header=BB6_138 Depth=3
	s_or_b64 exec, exec, s[94:95]
.LBB6_3318:                             ;   in Loop: Header=BB6_138 Depth=3
	s_or_b64 exec, exec, s[26:27]
	v_mul_f32_e32 v2, v14, v1
	v_and_b32_e32 v12, 0x7f800000, v2
	v_mov_b32_e32 v13, v33
	v_cmp_ne_u64_e32 vcc, s[76:77], v[12:13]
	v_and_b32_e32 v0, 0x7fffff, v2
	v_mov_b32_e32 v1, v33
                                        ; implicit-def: $vgpr34
	s_and_saveexec_b64 s[26:27], vcc
	s_xor_b64 s[94:95], exec, s[26:27]
	s_cbranch_execz .LBB6_3332
; %bb.3319:                             ;   in Loop: Header=BB6_138 Depth=3
	v_and_b32_e32 v12, 0x7fffffff, v2
	v_mov_b32_e32 v13, v33
	v_cmp_gt_u64_e32 vcc, s[78:79], v[12:13]
	v_and_b32_sdwa v3, v2, s97 dst_sel:DWORD dst_unused:UNUSED_PAD src0_sel:BYTE_3 src1_sel:DWORD
                                        ; implicit-def: $vgpr34
	s_and_saveexec_b64 s[26:27], vcc
	s_xor_b64 s[30:31], exec, s[26:27]
	s_cbranch_execz .LBB6_3329
; %bb.3320:                             ;   in Loop: Header=BB6_138 Depth=3
	v_mov_b32_e32 v34, 0
	v_cmp_ne_u32_e32 vcc, 0, v2
	s_and_saveexec_b64 s[34:35], vcc
	s_cbranch_execz .LBB6_3328
; %bb.3321:                             ;   in Loop: Header=BB6_138 Depth=3
	v_bfe_u32 v12, v2, 23, 8
	v_cmp_gt_u32_e64 s[26:27], s47, v12
	v_sub_u32_e32 v2, 0x71, v12
	v_cmp_eq_u32_e32 vcc, 0, v12
	v_cndmask_b32_e64 v2, 0, v2, s[26:27]
	v_mov_b32_e32 v13, 0x70
	v_cndmask_b32_e32 v13, v2, v13, vcc
	v_add_u32_e32 v2, 21, v13
	v_or_b32_e32 v4, 0x800000, v0
	v_lshlrev_b64 v[34:35], v2, -1
	v_cndmask_b32_e32 v0, v4, v0, vcc
	v_add_u32_e32 v2, 20, v13
	v_bfi_b32 v34, v34, 0, v0
	v_lshlrev_b64 v[36:37], v2, 1
	v_lshrrev_b64 v[0:1], v13, v[0:1]
	v_bfi_b32 v35, v35, 0, 0
	v_cmp_eq_u64_e64 s[26:27], v[34:35], v[36:37]
	v_mov_b32_e32 v2, v1
	v_mov_b32_e32 v1, v0
	s_and_saveexec_b64 s[36:37], s[26:27]
; %bb.3322:                             ;   in Loop: Header=BB6_138 Depth=3
	v_bfe_u32 v1, v0, 21, 1
	v_add_co_u32_e64 v1, s[26:27], v0, v1
	v_add_co_u32_e64 v1, s[26:27], -1, v1
; %bb.3323:                             ;   in Loop: Header=BB6_138 Depth=3
	s_or_b64 exec, exec, s[36:37]
	v_add_u32_e32 v2, 0xffffff81, v12
	v_mov_b32_e32 v4, 0xffffff82
	v_cndmask_b32_e32 v2, v2, v4, vcc
	v_lshrrev_b32_e32 v4, 23, v0
	v_add3_u32 v13, v13, v2, v4
	v_add_u32_e32 v12, 14, v13
	v_and_b32_e32 v1, 0x1fffff, v1
	v_add_u32_e32 v0, v1, v0
	v_mov_b32_e32 v1, v33
	v_cmp_ne_u32_e32 vcc, 0, v12
                                        ; implicit-def: $vgpr2
	s_and_saveexec_b64 s[26:27], vcc
	s_xor_b64 s[26:27], exec, s[26:27]
; %bb.3324:                             ;   in Loop: Header=BB6_138 Depth=3
	v_cmp_lt_u64_e32 vcc, s[88:89], v[0:1]
	v_add_u32_e32 v2, 15, v13
	v_cndmask_b32_e64 v4, 0, 1, vcc
	v_lshrrev_b64 v[0:1], v4, v[0:1]
	v_cndmask_b32_e32 v2, v12, v2, vcc
; %bb.3325:                             ;   in Loop: Header=BB6_138 Depth=3
	s_andn2_saveexec_b64 s[26:27], s[26:27]
; %bb.3326:                             ;   in Loop: Header=BB6_138 Depth=3
	v_bfe_u32 v2, v0, 23, 1
; %bb.3327:                             ;   in Loop: Header=BB6_138 Depth=3
	s_or_b64 exec, exec, s[26:27]
	v_lshrrev_b64 v[0:1], 21, v[0:1]
	v_cmp_gt_i32_e32 vcc, 32, v2
	v_cndmask_b32_e32 v1, 0, v1, vcc
	v_cndmask_b32_e32 v0, 3, v0, vcc
	v_cmp_eq_u64_e64 s[26:27], 0, v[0:1]
	v_min_i32_e32 v1, 31, v2
	v_lshlrev_b32_e32 v1, 2, v1
	v_cmp_eq_u32_e32 vcc, 0, v2
	v_and_b32_e32 v1, 0xfc, v1
	v_and_or_b32 v0, v0, 3, v1
	s_and_b64 s[26:27], vcc, s[26:27]
	v_cndmask_b32_e64 v0, v0, 0, s[26:27]
	v_or_b32_e32 v34, v0, v3
.LBB6_3328:                             ;   in Loop: Header=BB6_138 Depth=3
	s_or_b64 exec, exec, s[34:35]
                                        ; implicit-def: $vgpr3
.LBB6_3329:                             ;   in Loop: Header=BB6_138 Depth=3
	s_andn2_saveexec_b64 s[26:27], s[30:31]
; %bb.3330:                             ;   in Loop: Header=BB6_138 Depth=3
	v_or_b32_e32 v34, 0x7b, v3
; %bb.3331:                             ;   in Loop: Header=BB6_138 Depth=3
	s_or_b64 exec, exec, s[26:27]
                                        ; implicit-def: $vgpr2
                                        ; implicit-def: $vgpr0_vgpr1
.LBB6_3332:                             ;   in Loop: Header=BB6_138 Depth=3
	s_andn2_saveexec_b64 s[26:27], s[94:95]
	s_cbranch_execz .LBB6_3338
; %bb.3333:                             ;   in Loop: Header=BB6_138 Depth=3
	v_cmp_ne_u64_e32 vcc, 0, v[0:1]
                                        ; implicit-def: $vgpr34
	s_and_saveexec_b64 s[62:63], vcc
	s_xor_b64 s[94:95], exec, s[62:63]
; %bb.3334:                             ;   in Loop: Header=BB6_138 Depth=3
	v_or_b32_sdwa v34, v2, s44 dst_sel:DWORD dst_unused:UNUSED_PAD src0_sel:BYTE_3 src1_sel:DWORD
                                        ; implicit-def: $vgpr2
; %bb.3335:                             ;   in Loop: Header=BB6_138 Depth=3
	s_andn2_saveexec_b64 s[94:95], s[94:95]
; %bb.3336:                             ;   in Loop: Header=BB6_138 Depth=3
	v_cmp_lt_i32_e32 vcc, -1, v2
	v_bfrev_b32_e32 v0, 0.5
	v_mov_b32_e32 v1, 0x7c
	v_cndmask_b32_e32 v34, v0, v1, vcc
; %bb.3337:                             ;   in Loop: Header=BB6_138 Depth=3
	s_or_b64 exec, exec, s[94:95]
.LBB6_3338:                             ;   in Loop: Header=BB6_138 Depth=3
	s_or_b64 exec, exec, s[26:27]
	v_lshrrev_b32_e32 v0, 16, v8
	v_cmp_ne_u16_sdwa s[62:63], v0, v33 src0_sel:BYTE_0 src1_sel:DWORD
	v_mov_b32_e32 v1, 0
	s_and_saveexec_b64 s[26:27], s[62:63]
	s_cbranch_execz .LBB6_3346
; %bb.3339:                             ;   in Loop: Header=BB6_138 Depth=3
	v_cmp_ne_u16_sdwa s[62:63], v0, s97 src0_sel:BYTE_0 src1_sel:DWORD
	v_bfrev_b32_e32 v1, 1
	s_and_saveexec_b64 s[94:95], s[62:63]
	s_cbranch_execz .LBB6_3345
; %bb.3340:                             ;   in Loop: Header=BB6_138 Depth=3
	v_and_b32_e32 v1, 0x7c0000, v8
	v_bfe_u32 v2, v8, 16, 2
	v_cmp_ne_u32_e32 vcc, s45, v1
                                        ; implicit-def: $vgpr1
	s_and_saveexec_b64 s[62:63], vcc
	s_xor_b64 s[30:31], exec, s[62:63]
	s_cbranch_execz .LBB6_3342
; %bb.3341:                             ;   in Loop: Header=BB6_138 Depth=3
	v_ffbh_u32_e32 v1, v2
	v_min_u32_e32 v4, 32, v1
	v_subrev_u32_e32 v1, 29, v4
	v_lshlrev_b64 v[0:1], v1, v[0:1]
	v_bfe_u32 v3, v8, 18, 5
	v_and_b32_e32 v0, 3, v0
	v_cmp_eq_u32_e32 vcc, 0, v3
	v_sub_u32_e32 v1, 30, v4
	v_cndmask_b32_e32 v0, v2, v0, vcc
	v_lshlrev_b32_e32 v2, 8, v8
	v_cndmask_b32_e32 v1, v3, v1, vcc
	v_and_b32_e32 v2, 0x80000000, v2
	v_lshl_add_u32 v1, v1, 23, v2
	v_lshl_or_b32 v0, v0, 21, v1
	v_add_u32_e32 v1, 0x38000000, v0
                                        ; implicit-def: $vgpr2
                                        ; implicit-def: $vgpr0
.LBB6_3342:                             ;   in Loop: Header=BB6_138 Depth=3
	s_andn2_saveexec_b64 s[30:31], s[30:31]
; %bb.3343:                             ;   in Loop: Header=BB6_138 Depth=3
	v_mov_b32_e32 v1, -1
	v_cmp_gt_i16_sdwa vcc, sext(v0), v1 src0_sel:BYTE_0 src1_sel:DWORD
	v_mov_b32_e32 v0, 0xff800000
	v_mov_b32_e32 v1, 0x7f800000
	v_cndmask_b32_e32 v0, v0, v1, vcc
	v_cmp_eq_u32_e32 vcc, 0, v2
	v_mov_b32_e32 v1, 0x7f800001
	v_cndmask_b32_e32 v1, v1, v0, vcc
; %bb.3344:                             ;   in Loop: Header=BB6_138 Depth=3
	s_or_b64 exec, exec, s[30:31]
.LBB6_3345:                             ;   in Loop: Header=BB6_138 Depth=3
	s_or_b64 exec, exec, s[94:95]
.LBB6_3346:                             ;   in Loop: Header=BB6_138 Depth=3
	s_or_b64 exec, exec, s[26:27]
	v_mul_f32_e32 v2, v14, v1
	v_and_b32_e32 v12, 0x7f800000, v2
	v_mov_b32_e32 v13, v33
	v_cmp_ne_u64_e32 vcc, s[76:77], v[12:13]
	v_and_b32_e32 v0, 0x7fffff, v2
	v_mov_b32_e32 v1, v33
                                        ; implicit-def: $vgpr35
	s_and_saveexec_b64 s[26:27], vcc
	s_xor_b64 s[94:95], exec, s[26:27]
	s_cbranch_execz .LBB6_3360
; %bb.3347:                             ;   in Loop: Header=BB6_138 Depth=3
	v_and_b32_e32 v12, 0x7fffffff, v2
	v_mov_b32_e32 v13, v33
	v_cmp_gt_u64_e32 vcc, s[78:79], v[12:13]
	v_and_b32_sdwa v3, v2, s97 dst_sel:DWORD dst_unused:UNUSED_PAD src0_sel:BYTE_3 src1_sel:DWORD
                                        ; implicit-def: $vgpr35
	s_and_saveexec_b64 s[26:27], vcc
	s_xor_b64 s[30:31], exec, s[26:27]
	s_cbranch_execz .LBB6_3357
; %bb.3348:                             ;   in Loop: Header=BB6_138 Depth=3
	v_mov_b32_e32 v35, 0
	v_cmp_ne_u32_e32 vcc, 0, v2
	s_and_saveexec_b64 s[34:35], vcc
	s_cbranch_execz .LBB6_3356
; %bb.3349:                             ;   in Loop: Header=BB6_138 Depth=3
	v_bfe_u32 v12, v2, 23, 8
	v_cmp_gt_u32_e64 s[26:27], s47, v12
	v_sub_u32_e32 v2, 0x71, v12
	v_cmp_eq_u32_e32 vcc, 0, v12
	v_cndmask_b32_e64 v2, 0, v2, s[26:27]
	v_mov_b32_e32 v13, 0x70
	v_cndmask_b32_e32 v13, v2, v13, vcc
	v_add_u32_e32 v2, 21, v13
	v_or_b32_e32 v4, 0x800000, v0
	v_lshlrev_b64 v[35:36], v2, -1
	v_cndmask_b32_e32 v0, v4, v0, vcc
	v_add_u32_e32 v2, 20, v13
	v_bfi_b32 v35, v35, 0, v0
	v_lshlrev_b64 v[37:38], v2, 1
	v_lshrrev_b64 v[0:1], v13, v[0:1]
	v_bfi_b32 v36, v36, 0, 0
	v_cmp_eq_u64_e64 s[26:27], v[35:36], v[37:38]
	v_mov_b32_e32 v2, v1
	v_mov_b32_e32 v1, v0
	s_and_saveexec_b64 s[36:37], s[26:27]
; %bb.3350:                             ;   in Loop: Header=BB6_138 Depth=3
	v_bfe_u32 v1, v0, 21, 1
	v_add_co_u32_e64 v1, s[26:27], v0, v1
	v_add_co_u32_e64 v1, s[26:27], -1, v1
; %bb.3351:                             ;   in Loop: Header=BB6_138 Depth=3
	s_or_b64 exec, exec, s[36:37]
	v_add_u32_e32 v2, 0xffffff81, v12
	v_mov_b32_e32 v4, 0xffffff82
	v_cndmask_b32_e32 v2, v2, v4, vcc
	v_lshrrev_b32_e32 v4, 23, v0
	v_add3_u32 v13, v13, v2, v4
	v_add_u32_e32 v12, 14, v13
	v_and_b32_e32 v1, 0x1fffff, v1
	v_add_u32_e32 v0, v1, v0
	v_mov_b32_e32 v1, v33
	v_cmp_ne_u32_e32 vcc, 0, v12
                                        ; implicit-def: $vgpr2
	s_and_saveexec_b64 s[26:27], vcc
	s_xor_b64 s[26:27], exec, s[26:27]
; %bb.3352:                             ;   in Loop: Header=BB6_138 Depth=3
	v_cmp_lt_u64_e32 vcc, s[88:89], v[0:1]
	v_add_u32_e32 v2, 15, v13
	v_cndmask_b32_e64 v4, 0, 1, vcc
	v_lshrrev_b64 v[0:1], v4, v[0:1]
	v_cndmask_b32_e32 v2, v12, v2, vcc
; %bb.3353:                             ;   in Loop: Header=BB6_138 Depth=3
	s_andn2_saveexec_b64 s[26:27], s[26:27]
; %bb.3354:                             ;   in Loop: Header=BB6_138 Depth=3
	v_bfe_u32 v2, v0, 23, 1
; %bb.3355:                             ;   in Loop: Header=BB6_138 Depth=3
	s_or_b64 exec, exec, s[26:27]
	v_lshrrev_b64 v[0:1], 21, v[0:1]
	v_cmp_gt_i32_e32 vcc, 32, v2
	v_cndmask_b32_e32 v1, 0, v1, vcc
	v_cndmask_b32_e32 v0, 3, v0, vcc
	v_cmp_eq_u64_e64 s[26:27], 0, v[0:1]
	v_min_i32_e32 v1, 31, v2
	v_lshlrev_b32_e32 v1, 2, v1
	v_cmp_eq_u32_e32 vcc, 0, v2
	v_and_b32_e32 v1, 0xfc, v1
	v_and_or_b32 v0, v0, 3, v1
	s_and_b64 s[26:27], vcc, s[26:27]
	v_cndmask_b32_e64 v0, v0, 0, s[26:27]
	v_or_b32_e32 v35, v0, v3
.LBB6_3356:                             ;   in Loop: Header=BB6_138 Depth=3
	s_or_b64 exec, exec, s[34:35]
                                        ; implicit-def: $vgpr3
.LBB6_3357:                             ;   in Loop: Header=BB6_138 Depth=3
	s_andn2_saveexec_b64 s[26:27], s[30:31]
; %bb.3358:                             ;   in Loop: Header=BB6_138 Depth=3
	v_or_b32_e32 v35, 0x7b, v3
; %bb.3359:                             ;   in Loop: Header=BB6_138 Depth=3
	s_or_b64 exec, exec, s[26:27]
                                        ; implicit-def: $vgpr2
                                        ; implicit-def: $vgpr0_vgpr1
.LBB6_3360:                             ;   in Loop: Header=BB6_138 Depth=3
	s_andn2_saveexec_b64 s[26:27], s[94:95]
	s_cbranch_execz .LBB6_3366
; %bb.3361:                             ;   in Loop: Header=BB6_138 Depth=3
	v_cmp_ne_u64_e32 vcc, 0, v[0:1]
                                        ; implicit-def: $vgpr35
	s_and_saveexec_b64 s[62:63], vcc
	s_xor_b64 s[94:95], exec, s[62:63]
; %bb.3362:                             ;   in Loop: Header=BB6_138 Depth=3
	v_or_b32_sdwa v35, v2, s44 dst_sel:DWORD dst_unused:UNUSED_PAD src0_sel:BYTE_3 src1_sel:DWORD
                                        ; implicit-def: $vgpr2
; %bb.3363:                             ;   in Loop: Header=BB6_138 Depth=3
	s_andn2_saveexec_b64 s[94:95], s[94:95]
; %bb.3364:                             ;   in Loop: Header=BB6_138 Depth=3
	v_cmp_lt_i32_e32 vcc, -1, v2
	v_bfrev_b32_e32 v0, 0.5
	v_mov_b32_e32 v1, 0x7c
	v_cndmask_b32_e32 v35, v0, v1, vcc
; %bb.3365:                             ;   in Loop: Header=BB6_138 Depth=3
	s_or_b64 exec, exec, s[94:95]
.LBB6_3366:                             ;   in Loop: Header=BB6_138 Depth=3
	s_or_b64 exec, exec, s[26:27]
	v_cmp_lt_u32_e32 vcc, s57, v8
	v_mov_b32_e32 v1, 0
	s_and_saveexec_b64 s[26:27], vcc
	s_cbranch_execz .LBB6_3374
; %bb.3367:                             ;   in Loop: Header=BB6_138 Depth=3
	v_lshrrev_b32_e32 v0, 24, v8
	v_cmp_ne_u32_e32 vcc, s97, v0
	v_bfrev_b32_e32 v1, 1
	s_and_saveexec_b64 s[94:95], vcc
	s_cbranch_execz .LBB6_3373
; %bb.3368:                             ;   in Loop: Header=BB6_138 Depth=3
	v_and_b32_e32 v1, 0x7c000000, v8
	v_bfe_u32 v2, v8, 24, 2
	v_cmp_ne_u32_e32 vcc, s68, v1
                                        ; implicit-def: $vgpr1
	s_and_saveexec_b64 s[62:63], vcc
	s_xor_b64 s[30:31], exec, s[62:63]
	s_cbranch_execz .LBB6_3370
; %bb.3369:                             ;   in Loop: Header=BB6_138 Depth=3
	v_ffbh_u32_e32 v1, v2
	v_min_u32_e32 v4, 32, v1
	v_subrev_u32_e32 v1, 29, v4
	v_lshlrev_b64 v[0:1], v1, v[0:1]
	v_bfe_u32 v3, v8, 26, 5
	v_sub_u32_e32 v1, 30, v4
	v_and_b32_e32 v0, 3, v0
	v_cmp_eq_u32_e32 vcc, 0, v3
	v_cndmask_b32_e32 v1, v3, v1, vcc
	v_cndmask_b32_e32 v0, v2, v0, vcc
	v_and_b32_e32 v2, 0x80000000, v8
	v_lshl_add_u32 v1, v1, 23, v2
	v_lshl_or_b32 v0, v0, 21, v1
	v_add_u32_e32 v1, 0x38000000, v0
                                        ; implicit-def: $vgpr2
.LBB6_3370:                             ;   in Loop: Header=BB6_138 Depth=3
	s_andn2_saveexec_b64 s[30:31], s[30:31]
; %bb.3371:                             ;   in Loop: Header=BB6_138 Depth=3
	v_cmp_lt_i32_e32 vcc, -1, v8
	v_mov_b32_e32 v0, 0xff800000
	v_mov_b32_e32 v1, 0x7f800000
	v_cndmask_b32_e32 v0, v0, v1, vcc
	v_cmp_eq_u32_e32 vcc, 0, v2
	v_mov_b32_e32 v1, 0x7f800001
	v_cndmask_b32_e32 v1, v1, v0, vcc
; %bb.3372:                             ;   in Loop: Header=BB6_138 Depth=3
	s_or_b64 exec, exec, s[30:31]
.LBB6_3373:                             ;   in Loop: Header=BB6_138 Depth=3
	s_or_b64 exec, exec, s[94:95]
.LBB6_3374:                             ;   in Loop: Header=BB6_138 Depth=3
	s_or_b64 exec, exec, s[26:27]
	v_mul_f32_e32 v2, v14, v1
	v_and_b32_e32 v12, 0x7f800000, v2
	v_mov_b32_e32 v13, v33
	v_cmp_ne_u64_e32 vcc, s[76:77], v[12:13]
	v_and_b32_e32 v0, 0x7fffff, v2
	v_mov_b32_e32 v1, v33
                                        ; implicit-def: $vgpr36
	s_and_saveexec_b64 s[26:27], vcc
	s_xor_b64 s[94:95], exec, s[26:27]
	s_cbranch_execz .LBB6_3388
; %bb.3375:                             ;   in Loop: Header=BB6_138 Depth=3
	v_and_b32_e32 v12, 0x7fffffff, v2
	v_mov_b32_e32 v13, v33
	v_cmp_gt_u64_e32 vcc, s[78:79], v[12:13]
	v_and_b32_sdwa v3, v2, s97 dst_sel:DWORD dst_unused:UNUSED_PAD src0_sel:BYTE_3 src1_sel:DWORD
                                        ; implicit-def: $vgpr36
	s_and_saveexec_b64 s[26:27], vcc
	s_xor_b64 s[30:31], exec, s[26:27]
	s_cbranch_execz .LBB6_3385
; %bb.3376:                             ;   in Loop: Header=BB6_138 Depth=3
	v_mov_b32_e32 v36, 0
	v_cmp_ne_u32_e32 vcc, 0, v2
	s_and_saveexec_b64 s[34:35], vcc
	s_cbranch_execz .LBB6_3384
; %bb.3377:                             ;   in Loop: Header=BB6_138 Depth=3
	v_bfe_u32 v12, v2, 23, 8
	v_cmp_gt_u32_e64 s[26:27], s47, v12
	v_sub_u32_e32 v2, 0x71, v12
	v_cmp_eq_u32_e32 vcc, 0, v12
	v_cndmask_b32_e64 v2, 0, v2, s[26:27]
	v_mov_b32_e32 v13, 0x70
	v_cndmask_b32_e32 v13, v2, v13, vcc
	v_add_u32_e32 v2, 21, v13
	v_or_b32_e32 v4, 0x800000, v0
	v_lshlrev_b64 v[36:37], v2, -1
	v_cndmask_b32_e32 v0, v4, v0, vcc
	v_add_u32_e32 v2, 20, v13
	v_bfi_b32 v36, v36, 0, v0
	v_lshlrev_b64 v[38:39], v2, 1
	v_lshrrev_b64 v[0:1], v13, v[0:1]
	v_bfi_b32 v37, v37, 0, 0
	v_cmp_eq_u64_e64 s[26:27], v[36:37], v[38:39]
	v_mov_b32_e32 v2, v1
	v_mov_b32_e32 v1, v0
	s_and_saveexec_b64 s[36:37], s[26:27]
; %bb.3378:                             ;   in Loop: Header=BB6_138 Depth=3
	v_bfe_u32 v1, v0, 21, 1
	v_add_co_u32_e64 v1, s[26:27], v0, v1
	v_add_co_u32_e64 v1, s[26:27], -1, v1
; %bb.3379:                             ;   in Loop: Header=BB6_138 Depth=3
	s_or_b64 exec, exec, s[36:37]
	v_add_u32_e32 v2, 0xffffff81, v12
	v_mov_b32_e32 v4, 0xffffff82
	v_cndmask_b32_e32 v2, v2, v4, vcc
	v_lshrrev_b32_e32 v4, 23, v0
	v_add3_u32 v13, v13, v2, v4
	v_add_u32_e32 v12, 14, v13
	v_and_b32_e32 v1, 0x1fffff, v1
	v_add_u32_e32 v0, v1, v0
	v_mov_b32_e32 v1, v33
	v_cmp_ne_u32_e32 vcc, 0, v12
                                        ; implicit-def: $vgpr2
	s_and_saveexec_b64 s[26:27], vcc
	s_xor_b64 s[26:27], exec, s[26:27]
; %bb.3380:                             ;   in Loop: Header=BB6_138 Depth=3
	v_cmp_lt_u64_e32 vcc, s[88:89], v[0:1]
	v_add_u32_e32 v2, 15, v13
	v_cndmask_b32_e64 v4, 0, 1, vcc
	v_lshrrev_b64 v[0:1], v4, v[0:1]
	v_cndmask_b32_e32 v2, v12, v2, vcc
; %bb.3381:                             ;   in Loop: Header=BB6_138 Depth=3
	s_andn2_saveexec_b64 s[26:27], s[26:27]
; %bb.3382:                             ;   in Loop: Header=BB6_138 Depth=3
	v_bfe_u32 v2, v0, 23, 1
; %bb.3383:                             ;   in Loop: Header=BB6_138 Depth=3
	s_or_b64 exec, exec, s[26:27]
	v_lshrrev_b64 v[0:1], 21, v[0:1]
	v_cmp_gt_i32_e32 vcc, 32, v2
	v_cndmask_b32_e32 v1, 0, v1, vcc
	v_cndmask_b32_e32 v0, 3, v0, vcc
	v_cmp_eq_u64_e64 s[26:27], 0, v[0:1]
	v_min_i32_e32 v1, 31, v2
	v_lshlrev_b32_e32 v1, 2, v1
	v_cmp_eq_u32_e32 vcc, 0, v2
	v_and_b32_e32 v1, 0xfc, v1
	v_and_or_b32 v0, v0, 3, v1
	s_and_b64 s[26:27], vcc, s[26:27]
	v_cndmask_b32_e64 v0, v0, 0, s[26:27]
	v_or_b32_e32 v36, v0, v3
.LBB6_3384:                             ;   in Loop: Header=BB6_138 Depth=3
	s_or_b64 exec, exec, s[34:35]
                                        ; implicit-def: $vgpr3
.LBB6_3385:                             ;   in Loop: Header=BB6_138 Depth=3
	s_andn2_saveexec_b64 s[26:27], s[30:31]
; %bb.3386:                             ;   in Loop: Header=BB6_138 Depth=3
	v_or_b32_e32 v36, 0x7b, v3
; %bb.3387:                             ;   in Loop: Header=BB6_138 Depth=3
	s_or_b64 exec, exec, s[26:27]
                                        ; implicit-def: $vgpr2
                                        ; implicit-def: $vgpr0_vgpr1
.LBB6_3388:                             ;   in Loop: Header=BB6_138 Depth=3
	s_andn2_saveexec_b64 s[26:27], s[94:95]
	s_cbranch_execz .LBB6_3394
; %bb.3389:                             ;   in Loop: Header=BB6_138 Depth=3
	v_cmp_ne_u64_e32 vcc, 0, v[0:1]
                                        ; implicit-def: $vgpr36
	s_and_saveexec_b64 s[62:63], vcc
	s_xor_b64 s[94:95], exec, s[62:63]
; %bb.3390:                             ;   in Loop: Header=BB6_138 Depth=3
	v_or_b32_sdwa v36, v2, s44 dst_sel:DWORD dst_unused:UNUSED_PAD src0_sel:BYTE_3 src1_sel:DWORD
                                        ; implicit-def: $vgpr2
; %bb.3391:                             ;   in Loop: Header=BB6_138 Depth=3
	s_andn2_saveexec_b64 s[94:95], s[94:95]
; %bb.3392:                             ;   in Loop: Header=BB6_138 Depth=3
	v_cmp_lt_i32_e32 vcc, -1, v2
	v_bfrev_b32_e32 v0, 0.5
	v_mov_b32_e32 v1, 0x7c
	v_cndmask_b32_e32 v36, v0, v1, vcc
; %bb.3393:                             ;   in Loop: Header=BB6_138 Depth=3
	s_or_b64 exec, exec, s[94:95]
.LBB6_3394:                             ;   in Loop: Header=BB6_138 Depth=3
	s_or_b64 exec, exec, s[26:27]
	v_mov_b32_e32 v0, v9
	v_mov_b32_e32 v1, v33
	v_cmp_ne_u16_sdwa s[62:63], v9, v33 src0_sel:BYTE_0 src1_sel:DWORD
	v_mov_b32_e32 v2, 0
	s_and_saveexec_b64 s[26:27], s[62:63]
	s_cbranch_execz .LBB6_3402
; %bb.3395:                             ;   in Loop: Header=BB6_138 Depth=3
	v_cmp_ne_u16_sdwa s[62:63], v9, s97 src0_sel:BYTE_0 src1_sel:DWORD
	v_bfrev_b32_e32 v2, 1
	s_and_saveexec_b64 s[94:95], s[62:63]
	s_cbranch_execz .LBB6_3401
; %bb.3396:                             ;   in Loop: Header=BB6_138 Depth=3
	v_and_b32_e32 v2, 0x7c, v9
	v_and_b32_e32 v3, 3, v9
	v_cmp_ne_u32_e32 vcc, s86, v2
                                        ; implicit-def: $vgpr2
	s_and_saveexec_b64 s[62:63], vcc
	s_xor_b64 s[30:31], exec, s[62:63]
	s_cbranch_execz .LBB6_3398
; %bb.3397:                             ;   in Loop: Header=BB6_138 Depth=3
	v_ffbh_u32_e32 v2, v3
	v_min_u32_e32 v12, 32, v2
	v_subrev_u32_e32 v2, 29, v12
	v_lshlrev_b64 v[1:2], v2, v[0:1]
	v_bfe_u32 v4, v9, 2, 5
	v_and_b32_e32 v1, 3, v1
	v_cmp_eq_u32_e32 vcc, 0, v4
	v_sub_u32_e32 v2, 30, v12
	v_cndmask_b32_e32 v1, v3, v1, vcc
	v_lshlrev_b32_e32 v3, 24, v9
	v_cndmask_b32_e32 v2, v4, v2, vcc
	v_and_b32_e32 v3, 0x80000000, v3
	v_lshl_add_u32 v2, v2, 23, v3
	v_lshl_or_b32 v1, v1, 21, v2
	v_add_u32_e32 v2, 0x38000000, v1
                                        ; implicit-def: $vgpr3
.LBB6_3398:                             ;   in Loop: Header=BB6_138 Depth=3
	s_andn2_saveexec_b64 s[30:31], s[30:31]
; %bb.3399:                             ;   in Loop: Header=BB6_138 Depth=3
	v_mov_b32_e32 v1, -1
	v_cmp_gt_i16_sdwa vcc, sext(v9), v1 src0_sel:BYTE_0 src1_sel:DWORD
	v_mov_b32_e32 v1, 0xff800000
	v_mov_b32_e32 v2, 0x7f800000
	v_cndmask_b32_e32 v1, v1, v2, vcc
	v_cmp_eq_u32_e32 vcc, 0, v3
	v_mov_b32_e32 v2, 0x7f800001
	v_cndmask_b32_e32 v2, v2, v1, vcc
; %bb.3400:                             ;   in Loop: Header=BB6_138 Depth=3
	s_or_b64 exec, exec, s[30:31]
.LBB6_3401:                             ;   in Loop: Header=BB6_138 Depth=3
	s_or_b64 exec, exec, s[94:95]
.LBB6_3402:                             ;   in Loop: Header=BB6_138 Depth=3
	s_or_b64 exec, exec, s[26:27]
	v_mul_f32_e32 v3, v14, v2
	v_and_b32_e32 v12, 0x7f800000, v3
	v_mov_b32_e32 v13, v33
	v_cmp_ne_u64_e32 vcc, s[76:77], v[12:13]
	v_and_b32_e32 v1, 0x7fffff, v3
	v_mov_b32_e32 v2, v33
                                        ; implicit-def: $vgpr37
	s_and_saveexec_b64 s[26:27], vcc
	s_xor_b64 s[94:95], exec, s[26:27]
	s_cbranch_execz .LBB6_3416
; %bb.3403:                             ;   in Loop: Header=BB6_138 Depth=3
	v_and_b32_e32 v12, 0x7fffffff, v3
	v_mov_b32_e32 v13, v33
	v_cmp_gt_u64_e32 vcc, s[78:79], v[12:13]
	v_and_b32_sdwa v12, v3, s97 dst_sel:DWORD dst_unused:UNUSED_PAD src0_sel:BYTE_3 src1_sel:DWORD
                                        ; implicit-def: $vgpr37
	s_and_saveexec_b64 s[26:27], vcc
	s_xor_b64 s[30:31], exec, s[26:27]
	s_cbranch_execz .LBB6_3413
; %bb.3404:                             ;   in Loop: Header=BB6_138 Depth=3
	v_mov_b32_e32 v37, 0
	v_cmp_ne_u32_e32 vcc, 0, v3
	s_and_saveexec_b64 s[34:35], vcc
	s_cbranch_execz .LBB6_3412
; %bb.3405:                             ;   in Loop: Header=BB6_138 Depth=3
	v_bfe_u32 v13, v3, 23, 8
	v_cmp_gt_u32_e64 s[26:27], s47, v13
	v_sub_u32_e32 v3, 0x71, v13
	v_cmp_eq_u32_e32 vcc, 0, v13
	v_cndmask_b32_e64 v3, 0, v3, s[26:27]
	v_mov_b32_e32 v20, 0x70
	v_cndmask_b32_e32 v37, v3, v20, vcc
	v_add_u32_e32 v3, 21, v37
	v_or_b32_e32 v4, 0x800000, v1
	v_lshlrev_b64 v[38:39], v3, -1
	v_cndmask_b32_e32 v1, v4, v1, vcc
	v_add_u32_e32 v3, 20, v37
	v_bfi_b32 v38, v38, 0, v1
	v_lshlrev_b64 v[48:49], v3, 1
	v_lshrrev_b64 v[1:2], v37, v[1:2]
	v_bfi_b32 v39, v39, 0, 0
	v_cmp_eq_u64_e64 s[26:27], v[38:39], v[48:49]
	v_mov_b32_e32 v3, v2
	v_mov_b32_e32 v2, v1
	s_and_saveexec_b64 s[36:37], s[26:27]
; %bb.3406:                             ;   in Loop: Header=BB6_138 Depth=3
	v_bfe_u32 v2, v1, 21, 1
	v_add_co_u32_e64 v2, s[26:27], v1, v2
	v_add_co_u32_e64 v2, s[26:27], -1, v2
; %bb.3407:                             ;   in Loop: Header=BB6_138 Depth=3
	s_or_b64 exec, exec, s[36:37]
	v_add_u32_e32 v3, 0xffffff81, v13
	v_mov_b32_e32 v4, 0xffffff82
	v_cndmask_b32_e32 v3, v3, v4, vcc
	v_lshrrev_b32_e32 v4, 23, v1
	v_add3_u32 v37, v37, v3, v4
	v_add_u32_e32 v13, 14, v37
	v_and_b32_e32 v2, 0x1fffff, v2
	v_add_u32_e32 v1, v2, v1
	v_mov_b32_e32 v2, v33
	v_cmp_ne_u32_e32 vcc, 0, v13
                                        ; implicit-def: $vgpr3
	s_and_saveexec_b64 s[26:27], vcc
	s_xor_b64 s[26:27], exec, s[26:27]
; %bb.3408:                             ;   in Loop: Header=BB6_138 Depth=3
	v_cmp_lt_u64_e32 vcc, s[88:89], v[1:2]
	v_add_u32_e32 v3, 15, v37
	v_cndmask_b32_e64 v4, 0, 1, vcc
	v_lshrrev_b64 v[1:2], v4, v[1:2]
	v_cndmask_b32_e32 v3, v13, v3, vcc
; %bb.3409:                             ;   in Loop: Header=BB6_138 Depth=3
	s_andn2_saveexec_b64 s[26:27], s[26:27]
; %bb.3410:                             ;   in Loop: Header=BB6_138 Depth=3
	v_bfe_u32 v3, v1, 23, 1
; %bb.3411:                             ;   in Loop: Header=BB6_138 Depth=3
	s_or_b64 exec, exec, s[26:27]
	v_lshrrev_b64 v[1:2], 21, v[1:2]
	v_cmp_gt_i32_e32 vcc, 32, v3
	v_cndmask_b32_e32 v2, 0, v2, vcc
	v_cndmask_b32_e32 v1, 3, v1, vcc
	v_cmp_eq_u64_e64 s[26:27], 0, v[1:2]
	v_min_i32_e32 v2, 31, v3
	v_lshlrev_b32_e32 v2, 2, v2
	v_cmp_eq_u32_e32 vcc, 0, v3
	v_and_b32_e32 v2, 0xfc, v2
	v_and_or_b32 v1, v1, 3, v2
	s_and_b64 s[26:27], vcc, s[26:27]
	v_cndmask_b32_e64 v1, v1, 0, s[26:27]
	v_or_b32_e32 v37, v1, v12
.LBB6_3412:                             ;   in Loop: Header=BB6_138 Depth=3
	s_or_b64 exec, exec, s[34:35]
                                        ; implicit-def: $vgpr12
.LBB6_3413:                             ;   in Loop: Header=BB6_138 Depth=3
	s_andn2_saveexec_b64 s[26:27], s[30:31]
; %bb.3414:                             ;   in Loop: Header=BB6_138 Depth=3
	v_or_b32_e32 v37, 0x7b, v12
; %bb.3415:                             ;   in Loop: Header=BB6_138 Depth=3
	s_or_b64 exec, exec, s[26:27]
                                        ; implicit-def: $vgpr3
                                        ; implicit-def: $vgpr1_vgpr2
.LBB6_3416:                             ;   in Loop: Header=BB6_138 Depth=3
	s_andn2_saveexec_b64 s[26:27], s[94:95]
	s_cbranch_execz .LBB6_3422
; %bb.3417:                             ;   in Loop: Header=BB6_138 Depth=3
	v_cmp_ne_u64_e32 vcc, 0, v[1:2]
                                        ; implicit-def: $vgpr37
	s_and_saveexec_b64 s[62:63], vcc
	s_xor_b64 s[94:95], exec, s[62:63]
; %bb.3418:                             ;   in Loop: Header=BB6_138 Depth=3
	v_or_b32_sdwa v37, v3, s44 dst_sel:DWORD dst_unused:UNUSED_PAD src0_sel:BYTE_3 src1_sel:DWORD
                                        ; implicit-def: $vgpr3
; %bb.3419:                             ;   in Loop: Header=BB6_138 Depth=3
	s_andn2_saveexec_b64 s[94:95], s[94:95]
; %bb.3420:                             ;   in Loop: Header=BB6_138 Depth=3
	v_cmp_lt_i32_e32 vcc, -1, v3
	v_bfrev_b32_e32 v1, 0.5
	v_mov_b32_e32 v2, 0x7c
	v_cndmask_b32_e32 v37, v1, v2, vcc
; %bb.3421:                             ;   in Loop: Header=BB6_138 Depth=3
	s_or_b64 exec, exec, s[94:95]
.LBB6_3422:                             ;   in Loop: Header=BB6_138 Depth=3
	s_or_b64 exec, exec, s[26:27]
	v_lshrrev_b16_e32 v1, 8, v0
	v_cmp_ne_u16_e32 vcc, 0, v1
	v_mov_b32_e32 v2, 0
	s_and_saveexec_b64 s[26:27], vcc
	s_cbranch_execz .LBB6_3430
; %bb.3423:                             ;   in Loop: Header=BB6_138 Depth=3
	v_cmp_ne_u16_e32 vcc, s97, v1
	v_bfrev_b32_e32 v2, 1
	s_and_saveexec_b64 s[94:95], vcc
	s_cbranch_execz .LBB6_3429
; %bb.3424:                             ;   in Loop: Header=BB6_138 Depth=3
	v_and_b32_e32 v2, 0x7c, v1
	v_and_b32_e32 v3, 3, v1
	v_cmp_ne_u32_e32 vcc, s86, v2
                                        ; implicit-def: $vgpr2
	s_and_saveexec_b64 s[62:63], vcc
	s_xor_b64 s[30:31], exec, s[62:63]
	s_cbranch_execz .LBB6_3426
; %bb.3425:                             ;   in Loop: Header=BB6_138 Depth=3
	v_ffbh_u32_e32 v12, v3
	v_min_u32_e32 v12, 32, v12
	v_mov_b32_e32 v2, v33
	v_subrev_u32_e32 v13, 29, v12
	v_bfe_u32 v4, v1, 2, 5
	v_lshlrev_b64 v[1:2], v13, v[1:2]
	v_sub_u32_e32 v2, 30, v12
	v_cmp_eq_u32_e32 vcc, 0, v4
	v_lshlrev_b32_e32 v0, 16, v0
	v_and_b32_e32 v1, 3, v1
	v_cndmask_b32_e32 v2, v4, v2, vcc
	v_and_b32_e32 v0, 0x80000000, v0
	v_cndmask_b32_e32 v1, v3, v1, vcc
	v_lshl_add_u32 v0, v2, 23, v0
	v_lshl_or_b32 v0, v1, 21, v0
	v_add_u32_e32 v2, 0x38000000, v0
                                        ; implicit-def: $vgpr3
                                        ; implicit-def: $vgpr0_vgpr1
.LBB6_3426:                             ;   in Loop: Header=BB6_138 Depth=3
	s_andn2_saveexec_b64 s[30:31], s[30:31]
; %bb.3427:                             ;   in Loop: Header=BB6_138 Depth=3
	v_cmp_lt_i16_e32 vcc, -1, v0
	v_mov_b32_e32 v0, 0xff800000
	v_mov_b32_e32 v1, 0x7f800000
	v_cndmask_b32_e32 v0, v0, v1, vcc
	v_cmp_eq_u32_e32 vcc, 0, v3
	v_mov_b32_e32 v1, 0x7f800001
	v_cndmask_b32_e32 v2, v1, v0, vcc
; %bb.3428:                             ;   in Loop: Header=BB6_138 Depth=3
	s_or_b64 exec, exec, s[30:31]
.LBB6_3429:                             ;   in Loop: Header=BB6_138 Depth=3
	s_or_b64 exec, exec, s[94:95]
.LBB6_3430:                             ;   in Loop: Header=BB6_138 Depth=3
	s_or_b64 exec, exec, s[26:27]
	v_mul_f32_e32 v2, v14, v2
	v_and_b32_e32 v12, 0x7f800000, v2
	v_mov_b32_e32 v13, v33
	v_cmp_ne_u64_e32 vcc, s[76:77], v[12:13]
	v_and_b32_e32 v0, 0x7fffff, v2
	v_mov_b32_e32 v1, v33
                                        ; implicit-def: $vgpr38
	s_and_saveexec_b64 s[26:27], vcc
	s_xor_b64 s[94:95], exec, s[26:27]
	s_cbranch_execz .LBB6_3444
; %bb.3431:                             ;   in Loop: Header=BB6_138 Depth=3
	v_and_b32_e32 v12, 0x7fffffff, v2
	v_mov_b32_e32 v13, v33
	v_cmp_gt_u64_e32 vcc, s[78:79], v[12:13]
	v_and_b32_sdwa v3, v2, s97 dst_sel:DWORD dst_unused:UNUSED_PAD src0_sel:BYTE_3 src1_sel:DWORD
                                        ; implicit-def: $vgpr38
	s_and_saveexec_b64 s[26:27], vcc
	s_xor_b64 s[30:31], exec, s[26:27]
	s_cbranch_execz .LBB6_3441
; %bb.3432:                             ;   in Loop: Header=BB6_138 Depth=3
	v_mov_b32_e32 v38, 0
	v_cmp_ne_u32_e32 vcc, 0, v2
	s_and_saveexec_b64 s[34:35], vcc
	s_cbranch_execz .LBB6_3440
; %bb.3433:                             ;   in Loop: Header=BB6_138 Depth=3
	v_bfe_u32 v12, v2, 23, 8
	v_cmp_gt_u32_e64 s[26:27], s47, v12
	v_sub_u32_e32 v2, 0x71, v12
	v_cmp_eq_u32_e32 vcc, 0, v12
	v_cndmask_b32_e64 v2, 0, v2, s[26:27]
	v_mov_b32_e32 v13, 0x70
	v_cndmask_b32_e32 v13, v2, v13, vcc
	v_add_u32_e32 v2, 21, v13
	v_or_b32_e32 v4, 0x800000, v0
	v_lshlrev_b64 v[38:39], v2, -1
	v_cndmask_b32_e32 v0, v4, v0, vcc
	v_add_u32_e32 v2, 20, v13
	v_bfi_b32 v38, v38, 0, v0
	v_lshlrev_b64 v[48:49], v2, 1
	v_lshrrev_b64 v[0:1], v13, v[0:1]
	v_bfi_b32 v39, v39, 0, 0
	v_cmp_eq_u64_e64 s[26:27], v[38:39], v[48:49]
	v_mov_b32_e32 v2, v1
	v_mov_b32_e32 v1, v0
	s_and_saveexec_b64 s[36:37], s[26:27]
; %bb.3434:                             ;   in Loop: Header=BB6_138 Depth=3
	v_bfe_u32 v1, v0, 21, 1
	v_add_co_u32_e64 v1, s[26:27], v0, v1
	v_add_co_u32_e64 v1, s[26:27], -1, v1
; %bb.3435:                             ;   in Loop: Header=BB6_138 Depth=3
	s_or_b64 exec, exec, s[36:37]
	v_add_u32_e32 v2, 0xffffff81, v12
	v_mov_b32_e32 v4, 0xffffff82
	v_cndmask_b32_e32 v2, v2, v4, vcc
	v_lshrrev_b32_e32 v4, 23, v0
	v_add3_u32 v13, v13, v2, v4
	v_add_u32_e32 v12, 14, v13
	v_and_b32_e32 v1, 0x1fffff, v1
	v_add_u32_e32 v0, v1, v0
	v_mov_b32_e32 v1, v33
	v_cmp_ne_u32_e32 vcc, 0, v12
                                        ; implicit-def: $vgpr2
	s_and_saveexec_b64 s[26:27], vcc
	s_xor_b64 s[26:27], exec, s[26:27]
; %bb.3436:                             ;   in Loop: Header=BB6_138 Depth=3
	v_cmp_lt_u64_e32 vcc, s[88:89], v[0:1]
	v_add_u32_e32 v2, 15, v13
	v_cndmask_b32_e64 v4, 0, 1, vcc
	v_lshrrev_b64 v[0:1], v4, v[0:1]
	v_cndmask_b32_e32 v2, v12, v2, vcc
; %bb.3437:                             ;   in Loop: Header=BB6_138 Depth=3
	s_andn2_saveexec_b64 s[26:27], s[26:27]
; %bb.3438:                             ;   in Loop: Header=BB6_138 Depth=3
	v_bfe_u32 v2, v0, 23, 1
; %bb.3439:                             ;   in Loop: Header=BB6_138 Depth=3
	s_or_b64 exec, exec, s[26:27]
	v_lshrrev_b64 v[0:1], 21, v[0:1]
	v_cmp_gt_i32_e32 vcc, 32, v2
	v_cndmask_b32_e32 v1, 0, v1, vcc
	v_cndmask_b32_e32 v0, 3, v0, vcc
	v_cmp_eq_u64_e64 s[26:27], 0, v[0:1]
	v_min_i32_e32 v1, 31, v2
	v_lshlrev_b32_e32 v1, 2, v1
	v_cmp_eq_u32_e32 vcc, 0, v2
	v_and_b32_e32 v1, 0xfc, v1
	v_and_or_b32 v0, v0, 3, v1
	s_and_b64 s[26:27], vcc, s[26:27]
	v_cndmask_b32_e64 v0, v0, 0, s[26:27]
	v_or_b32_e32 v38, v0, v3
.LBB6_3440:                             ;   in Loop: Header=BB6_138 Depth=3
	s_or_b64 exec, exec, s[34:35]
                                        ; implicit-def: $vgpr3
.LBB6_3441:                             ;   in Loop: Header=BB6_138 Depth=3
	s_andn2_saveexec_b64 s[26:27], s[30:31]
; %bb.3442:                             ;   in Loop: Header=BB6_138 Depth=3
	v_or_b32_e32 v38, 0x7b, v3
; %bb.3443:                             ;   in Loop: Header=BB6_138 Depth=3
	s_or_b64 exec, exec, s[26:27]
                                        ; implicit-def: $vgpr2
                                        ; implicit-def: $vgpr0_vgpr1
.LBB6_3444:                             ;   in Loop: Header=BB6_138 Depth=3
	s_andn2_saveexec_b64 s[26:27], s[94:95]
	s_cbranch_execz .LBB6_3450
; %bb.3445:                             ;   in Loop: Header=BB6_138 Depth=3
	v_cmp_ne_u64_e32 vcc, 0, v[0:1]
                                        ; implicit-def: $vgpr38
	s_and_saveexec_b64 s[62:63], vcc
	s_xor_b64 s[94:95], exec, s[62:63]
; %bb.3446:                             ;   in Loop: Header=BB6_138 Depth=3
	v_or_b32_sdwa v38, v2, s44 dst_sel:DWORD dst_unused:UNUSED_PAD src0_sel:BYTE_3 src1_sel:DWORD
                                        ; implicit-def: $vgpr2
; %bb.3447:                             ;   in Loop: Header=BB6_138 Depth=3
	s_andn2_saveexec_b64 s[94:95], s[94:95]
; %bb.3448:                             ;   in Loop: Header=BB6_138 Depth=3
	v_cmp_lt_i32_e32 vcc, -1, v2
	v_bfrev_b32_e32 v0, 0.5
	v_mov_b32_e32 v1, 0x7c
	v_cndmask_b32_e32 v38, v0, v1, vcc
; %bb.3449:                             ;   in Loop: Header=BB6_138 Depth=3
	s_or_b64 exec, exec, s[94:95]
.LBB6_3450:                             ;   in Loop: Header=BB6_138 Depth=3
	s_or_b64 exec, exec, s[26:27]
	v_lshrrev_b32_e32 v0, 16, v9
	v_cmp_ne_u16_sdwa s[62:63], v0, v33 src0_sel:BYTE_0 src1_sel:DWORD
	v_mov_b32_e32 v1, 0
	s_and_saveexec_b64 s[26:27], s[62:63]
	s_cbranch_execz .LBB6_3458
; %bb.3451:                             ;   in Loop: Header=BB6_138 Depth=3
	v_cmp_ne_u16_sdwa s[62:63], v0, s97 src0_sel:BYTE_0 src1_sel:DWORD
	v_bfrev_b32_e32 v1, 1
	s_and_saveexec_b64 s[94:95], s[62:63]
	s_cbranch_execz .LBB6_3457
; %bb.3452:                             ;   in Loop: Header=BB6_138 Depth=3
	v_and_b32_e32 v1, 0x7c0000, v9
	v_bfe_u32 v2, v9, 16, 2
	v_cmp_ne_u32_e32 vcc, s45, v1
                                        ; implicit-def: $vgpr1
	s_and_saveexec_b64 s[62:63], vcc
	s_xor_b64 s[30:31], exec, s[62:63]
	s_cbranch_execz .LBB6_3454
; %bb.3453:                             ;   in Loop: Header=BB6_138 Depth=3
	v_ffbh_u32_e32 v1, v2
	v_min_u32_e32 v4, 32, v1
	v_subrev_u32_e32 v1, 29, v4
	v_lshlrev_b64 v[0:1], v1, v[0:1]
	v_bfe_u32 v3, v9, 18, 5
	v_and_b32_e32 v0, 3, v0
	v_cmp_eq_u32_e32 vcc, 0, v3
	v_sub_u32_e32 v1, 30, v4
	v_cndmask_b32_e32 v0, v2, v0, vcc
	v_lshlrev_b32_e32 v2, 8, v9
	v_cndmask_b32_e32 v1, v3, v1, vcc
	v_and_b32_e32 v2, 0x80000000, v2
	v_lshl_add_u32 v1, v1, 23, v2
	v_lshl_or_b32 v0, v0, 21, v1
	v_add_u32_e32 v1, 0x38000000, v0
                                        ; implicit-def: $vgpr2
                                        ; implicit-def: $vgpr0
.LBB6_3454:                             ;   in Loop: Header=BB6_138 Depth=3
	s_andn2_saveexec_b64 s[30:31], s[30:31]
; %bb.3455:                             ;   in Loop: Header=BB6_138 Depth=3
	v_mov_b32_e32 v1, -1
	v_cmp_gt_i16_sdwa vcc, sext(v0), v1 src0_sel:BYTE_0 src1_sel:DWORD
	v_mov_b32_e32 v0, 0xff800000
	v_mov_b32_e32 v1, 0x7f800000
	v_cndmask_b32_e32 v0, v0, v1, vcc
	v_cmp_eq_u32_e32 vcc, 0, v2
	v_mov_b32_e32 v1, 0x7f800001
	v_cndmask_b32_e32 v1, v1, v0, vcc
; %bb.3456:                             ;   in Loop: Header=BB6_138 Depth=3
	s_or_b64 exec, exec, s[30:31]
.LBB6_3457:                             ;   in Loop: Header=BB6_138 Depth=3
	s_or_b64 exec, exec, s[94:95]
.LBB6_3458:                             ;   in Loop: Header=BB6_138 Depth=3
	s_or_b64 exec, exec, s[26:27]
	v_mul_f32_e32 v2, v14, v1
	v_and_b32_e32 v12, 0x7f800000, v2
	v_mov_b32_e32 v13, v33
	v_cmp_ne_u64_e32 vcc, s[76:77], v[12:13]
	v_and_b32_e32 v0, 0x7fffff, v2
	v_mov_b32_e32 v1, v33
                                        ; implicit-def: $vgpr39
	s_and_saveexec_b64 s[26:27], vcc
	s_xor_b64 s[94:95], exec, s[26:27]
	s_cbranch_execz .LBB6_3472
; %bb.3459:                             ;   in Loop: Header=BB6_138 Depth=3
	v_and_b32_e32 v12, 0x7fffffff, v2
	v_mov_b32_e32 v13, v33
	v_cmp_gt_u64_e32 vcc, s[78:79], v[12:13]
	v_and_b32_sdwa v3, v2, s97 dst_sel:DWORD dst_unused:UNUSED_PAD src0_sel:BYTE_3 src1_sel:DWORD
                                        ; implicit-def: $vgpr39
	s_and_saveexec_b64 s[26:27], vcc
	s_xor_b64 s[30:31], exec, s[26:27]
	s_cbranch_execz .LBB6_3469
; %bb.3460:                             ;   in Loop: Header=BB6_138 Depth=3
	v_mov_b32_e32 v39, 0
	v_cmp_ne_u32_e32 vcc, 0, v2
	s_and_saveexec_b64 s[34:35], vcc
	s_cbranch_execz .LBB6_3468
; %bb.3461:                             ;   in Loop: Header=BB6_138 Depth=3
	v_bfe_u32 v12, v2, 23, 8
	v_cmp_gt_u32_e64 s[26:27], s47, v12
	v_sub_u32_e32 v2, 0x71, v12
	v_cmp_eq_u32_e32 vcc, 0, v12
	v_cndmask_b32_e64 v2, 0, v2, s[26:27]
	v_mov_b32_e32 v13, 0x70
	v_cndmask_b32_e32 v13, v2, v13, vcc
	v_add_u32_e32 v2, 21, v13
	v_or_b32_e32 v4, 0x800000, v0
	v_lshlrev_b64 v[48:49], v2, -1
	v_cndmask_b32_e32 v0, v4, v0, vcc
	v_add_u32_e32 v2, 20, v13
	v_bfi_b32 v48, v48, 0, v0
	v_lshlrev_b64 v[50:51], v2, 1
	v_lshrrev_b64 v[0:1], v13, v[0:1]
	v_bfi_b32 v49, v49, 0, 0
	v_cmp_eq_u64_e64 s[26:27], v[48:49], v[50:51]
	v_mov_b32_e32 v2, v1
	v_mov_b32_e32 v1, v0
	s_and_saveexec_b64 s[36:37], s[26:27]
; %bb.3462:                             ;   in Loop: Header=BB6_138 Depth=3
	v_bfe_u32 v1, v0, 21, 1
	v_add_co_u32_e64 v1, s[26:27], v0, v1
	v_add_co_u32_e64 v1, s[26:27], -1, v1
; %bb.3463:                             ;   in Loop: Header=BB6_138 Depth=3
	s_or_b64 exec, exec, s[36:37]
	v_add_u32_e32 v2, 0xffffff81, v12
	v_mov_b32_e32 v4, 0xffffff82
	v_cndmask_b32_e32 v2, v2, v4, vcc
	v_lshrrev_b32_e32 v4, 23, v0
	v_add3_u32 v13, v13, v2, v4
	v_add_u32_e32 v12, 14, v13
	v_and_b32_e32 v1, 0x1fffff, v1
	v_add_u32_e32 v0, v1, v0
	v_mov_b32_e32 v1, v33
	v_cmp_ne_u32_e32 vcc, 0, v12
                                        ; implicit-def: $vgpr2
	s_and_saveexec_b64 s[26:27], vcc
	s_xor_b64 s[26:27], exec, s[26:27]
; %bb.3464:                             ;   in Loop: Header=BB6_138 Depth=3
	v_cmp_lt_u64_e32 vcc, s[88:89], v[0:1]
	v_add_u32_e32 v2, 15, v13
	v_cndmask_b32_e64 v4, 0, 1, vcc
	v_lshrrev_b64 v[0:1], v4, v[0:1]
	v_cndmask_b32_e32 v2, v12, v2, vcc
; %bb.3465:                             ;   in Loop: Header=BB6_138 Depth=3
	s_andn2_saveexec_b64 s[26:27], s[26:27]
; %bb.3466:                             ;   in Loop: Header=BB6_138 Depth=3
	v_bfe_u32 v2, v0, 23, 1
; %bb.3467:                             ;   in Loop: Header=BB6_138 Depth=3
	s_or_b64 exec, exec, s[26:27]
	v_lshrrev_b64 v[0:1], 21, v[0:1]
	v_cmp_gt_i32_e32 vcc, 32, v2
	v_cndmask_b32_e32 v1, 0, v1, vcc
	v_cndmask_b32_e32 v0, 3, v0, vcc
	v_cmp_eq_u64_e64 s[26:27], 0, v[0:1]
	v_min_i32_e32 v1, 31, v2
	v_lshlrev_b32_e32 v1, 2, v1
	v_cmp_eq_u32_e32 vcc, 0, v2
	v_and_b32_e32 v1, 0xfc, v1
	v_and_or_b32 v0, v0, 3, v1
	s_and_b64 s[26:27], vcc, s[26:27]
	v_cndmask_b32_e64 v0, v0, 0, s[26:27]
	v_or_b32_e32 v39, v0, v3
.LBB6_3468:                             ;   in Loop: Header=BB6_138 Depth=3
	s_or_b64 exec, exec, s[34:35]
                                        ; implicit-def: $vgpr3
.LBB6_3469:                             ;   in Loop: Header=BB6_138 Depth=3
	s_andn2_saveexec_b64 s[26:27], s[30:31]
; %bb.3470:                             ;   in Loop: Header=BB6_138 Depth=3
	v_or_b32_e32 v39, 0x7b, v3
; %bb.3471:                             ;   in Loop: Header=BB6_138 Depth=3
	s_or_b64 exec, exec, s[26:27]
                                        ; implicit-def: $vgpr2
                                        ; implicit-def: $vgpr0_vgpr1
.LBB6_3472:                             ;   in Loop: Header=BB6_138 Depth=3
	s_andn2_saveexec_b64 s[26:27], s[94:95]
	s_cbranch_execz .LBB6_3478
; %bb.3473:                             ;   in Loop: Header=BB6_138 Depth=3
	v_cmp_ne_u64_e32 vcc, 0, v[0:1]
                                        ; implicit-def: $vgpr39
	s_and_saveexec_b64 s[62:63], vcc
	s_xor_b64 s[94:95], exec, s[62:63]
; %bb.3474:                             ;   in Loop: Header=BB6_138 Depth=3
	v_or_b32_sdwa v39, v2, s44 dst_sel:DWORD dst_unused:UNUSED_PAD src0_sel:BYTE_3 src1_sel:DWORD
                                        ; implicit-def: $vgpr2
; %bb.3475:                             ;   in Loop: Header=BB6_138 Depth=3
	s_andn2_saveexec_b64 s[94:95], s[94:95]
; %bb.3476:                             ;   in Loop: Header=BB6_138 Depth=3
	v_cmp_lt_i32_e32 vcc, -1, v2
	v_bfrev_b32_e32 v0, 0.5
	v_mov_b32_e32 v1, 0x7c
	v_cndmask_b32_e32 v39, v0, v1, vcc
; %bb.3477:                             ;   in Loop: Header=BB6_138 Depth=3
	s_or_b64 exec, exec, s[94:95]
.LBB6_3478:                             ;   in Loop: Header=BB6_138 Depth=3
	s_or_b64 exec, exec, s[26:27]
	v_cmp_lt_u64_e32 vcc, s[56:57], v[8:9]
	v_mov_b32_e32 v1, 0
	s_and_saveexec_b64 s[26:27], vcc
	s_cbranch_execz .LBB6_3486
; %bb.3479:                             ;   in Loop: Header=BB6_138 Depth=3
	v_lshrrev_b32_e32 v0, 24, v9
	v_cmp_ne_u32_e32 vcc, s97, v0
	v_bfrev_b32_e32 v1, 1
	s_and_saveexec_b64 s[94:95], vcc
	s_cbranch_execz .LBB6_3485
; %bb.3480:                             ;   in Loop: Header=BB6_138 Depth=3
	v_and_b32_e32 v1, 0x7c000000, v9
	v_bfe_u32 v2, v9, 24, 2
	v_cmp_ne_u32_e32 vcc, s68, v1
                                        ; implicit-def: $vgpr1
	s_and_saveexec_b64 s[62:63], vcc
	s_xor_b64 s[30:31], exec, s[62:63]
	s_cbranch_execz .LBB6_3482
; %bb.3481:                             ;   in Loop: Header=BB6_138 Depth=3
	v_ffbh_u32_e32 v1, v2
	v_min_u32_e32 v4, 32, v1
	v_subrev_u32_e32 v1, 29, v4
	v_lshlrev_b64 v[0:1], v1, v[0:1]
	v_bfe_u32 v3, v9, 26, 5
	v_sub_u32_e32 v1, 30, v4
	v_and_b32_e32 v0, 3, v0
	v_cmp_eq_u32_e32 vcc, 0, v3
	v_cndmask_b32_e32 v1, v3, v1, vcc
	v_cndmask_b32_e32 v0, v2, v0, vcc
	v_and_b32_e32 v2, 0x80000000, v9
	v_lshl_add_u32 v1, v1, 23, v2
	v_lshl_or_b32 v0, v0, 21, v1
	v_add_u32_e32 v1, 0x38000000, v0
                                        ; implicit-def: $vgpr2
.LBB6_3482:                             ;   in Loop: Header=BB6_138 Depth=3
	s_andn2_saveexec_b64 s[30:31], s[30:31]
; %bb.3483:                             ;   in Loop: Header=BB6_138 Depth=3
	v_cmp_lt_i64_e32 vcc, -1, v[8:9]
	v_mov_b32_e32 v0, 0xff800000
	v_mov_b32_e32 v1, 0x7f800000
	v_cndmask_b32_e32 v0, v0, v1, vcc
	v_cmp_eq_u32_e32 vcc, 0, v2
	v_mov_b32_e32 v1, 0x7f800001
	v_cndmask_b32_e32 v1, v1, v0, vcc
; %bb.3484:                             ;   in Loop: Header=BB6_138 Depth=3
	s_or_b64 exec, exec, s[30:31]
.LBB6_3485:                             ;   in Loop: Header=BB6_138 Depth=3
	s_or_b64 exec, exec, s[94:95]
.LBB6_3486:                             ;   in Loop: Header=BB6_138 Depth=3
	s_or_b64 exec, exec, s[26:27]
	v_mul_f32_e32 v2, v14, v1
	v_and_b32_e32 v8, 0x7f800000, v2
	v_mov_b32_e32 v9, v33
	v_cmp_ne_u64_e32 vcc, s[76:77], v[8:9]
	v_and_b32_e32 v0, 0x7fffff, v2
	v_mov_b32_e32 v1, v33
                                        ; implicit-def: $vgpr48
	s_and_saveexec_b64 s[26:27], vcc
	s_xor_b64 s[94:95], exec, s[26:27]
	s_cbranch_execz .LBB6_3500
; %bb.3487:                             ;   in Loop: Header=BB6_138 Depth=3
	v_and_b32_e32 v8, 0x7fffffff, v2
	v_mov_b32_e32 v9, v33
	v_cmp_gt_u64_e32 vcc, s[78:79], v[8:9]
	v_and_b32_sdwa v3, v2, s97 dst_sel:DWORD dst_unused:UNUSED_PAD src0_sel:BYTE_3 src1_sel:DWORD
                                        ; implicit-def: $vgpr48
	s_and_saveexec_b64 s[26:27], vcc
	s_xor_b64 s[30:31], exec, s[26:27]
	s_cbranch_execz .LBB6_3497
; %bb.3488:                             ;   in Loop: Header=BB6_138 Depth=3
	v_mov_b32_e32 v48, 0
	v_cmp_ne_u32_e32 vcc, 0, v2
	s_and_saveexec_b64 s[34:35], vcc
	s_cbranch_execz .LBB6_3496
; %bb.3489:                             ;   in Loop: Header=BB6_138 Depth=3
	v_bfe_u32 v8, v2, 23, 8
	v_cmp_gt_u32_e64 s[26:27], s47, v8
	v_sub_u32_e32 v2, 0x71, v8
	v_cmp_eq_u32_e32 vcc, 0, v8
	v_cndmask_b32_e64 v2, 0, v2, s[26:27]
	v_mov_b32_e32 v9, 0x70
	v_cndmask_b32_e32 v9, v2, v9, vcc
	v_add_u32_e32 v2, 21, v9
	v_or_b32_e32 v4, 0x800000, v0
	v_lshlrev_b64 v[12:13], v2, -1
	v_cndmask_b32_e32 v0, v4, v0, vcc
	v_add_u32_e32 v2, 20, v9
	v_bfi_b32 v12, v12, 0, v0
	v_lshlrev_b64 v[48:49], v2, 1
	v_lshrrev_b64 v[0:1], v9, v[0:1]
	v_bfi_b32 v13, v13, 0, 0
	v_cmp_eq_u64_e64 s[26:27], v[12:13], v[48:49]
	v_mov_b32_e32 v2, v1
	v_mov_b32_e32 v1, v0
	s_and_saveexec_b64 s[36:37], s[26:27]
; %bb.3490:                             ;   in Loop: Header=BB6_138 Depth=3
	v_bfe_u32 v1, v0, 21, 1
	v_add_co_u32_e64 v1, s[26:27], v0, v1
	v_add_co_u32_e64 v1, s[26:27], -1, v1
; %bb.3491:                             ;   in Loop: Header=BB6_138 Depth=3
	s_or_b64 exec, exec, s[36:37]
	v_add_u32_e32 v2, 0xffffff81, v8
	v_mov_b32_e32 v4, 0xffffff82
	v_cndmask_b32_e32 v2, v2, v4, vcc
	v_lshrrev_b32_e32 v4, 23, v0
	v_add3_u32 v9, v9, v2, v4
	v_add_u32_e32 v8, 14, v9
	v_and_b32_e32 v1, 0x1fffff, v1
	v_add_u32_e32 v0, v1, v0
	v_mov_b32_e32 v1, v33
	v_cmp_ne_u32_e32 vcc, 0, v8
                                        ; implicit-def: $vgpr2
	s_and_saveexec_b64 s[26:27], vcc
	s_xor_b64 s[26:27], exec, s[26:27]
; %bb.3492:                             ;   in Loop: Header=BB6_138 Depth=3
	v_cmp_lt_u64_e32 vcc, s[88:89], v[0:1]
	v_add_u32_e32 v2, 15, v9
	v_cndmask_b32_e64 v4, 0, 1, vcc
	v_lshrrev_b64 v[0:1], v4, v[0:1]
	v_cndmask_b32_e32 v2, v8, v2, vcc
; %bb.3493:                             ;   in Loop: Header=BB6_138 Depth=3
	s_andn2_saveexec_b64 s[26:27], s[26:27]
; %bb.3494:                             ;   in Loop: Header=BB6_138 Depth=3
	v_bfe_u32 v2, v0, 23, 1
; %bb.3495:                             ;   in Loop: Header=BB6_138 Depth=3
	s_or_b64 exec, exec, s[26:27]
	v_lshrrev_b64 v[0:1], 21, v[0:1]
	v_cmp_gt_i32_e32 vcc, 32, v2
	v_cndmask_b32_e32 v1, 0, v1, vcc
	v_cndmask_b32_e32 v0, 3, v0, vcc
	v_cmp_eq_u64_e64 s[26:27], 0, v[0:1]
	v_min_i32_e32 v1, 31, v2
	v_lshlrev_b32_e32 v1, 2, v1
	v_cmp_eq_u32_e32 vcc, 0, v2
	v_and_b32_e32 v1, 0xfc, v1
	v_and_or_b32 v0, v0, 3, v1
	s_and_b64 s[26:27], vcc, s[26:27]
	v_cndmask_b32_e64 v0, v0, 0, s[26:27]
	v_or_b32_e32 v48, v0, v3
.LBB6_3496:                             ;   in Loop: Header=BB6_138 Depth=3
	s_or_b64 exec, exec, s[34:35]
                                        ; implicit-def: $vgpr3
.LBB6_3497:                             ;   in Loop: Header=BB6_138 Depth=3
	s_andn2_saveexec_b64 s[26:27], s[30:31]
; %bb.3498:                             ;   in Loop: Header=BB6_138 Depth=3
	v_or_b32_e32 v48, 0x7b, v3
; %bb.3499:                             ;   in Loop: Header=BB6_138 Depth=3
	s_or_b64 exec, exec, s[26:27]
                                        ; implicit-def: $vgpr2
                                        ; implicit-def: $vgpr0_vgpr1
.LBB6_3500:                             ;   in Loop: Header=BB6_138 Depth=3
	s_andn2_saveexec_b64 s[26:27], s[94:95]
	s_cbranch_execz .LBB6_3506
; %bb.3501:                             ;   in Loop: Header=BB6_138 Depth=3
	v_cmp_ne_u64_e32 vcc, 0, v[0:1]
                                        ; implicit-def: $vgpr48
	s_and_saveexec_b64 s[62:63], vcc
	s_xor_b64 s[94:95], exec, s[62:63]
; %bb.3502:                             ;   in Loop: Header=BB6_138 Depth=3
	v_or_b32_sdwa v48, v2, s44 dst_sel:DWORD dst_unused:UNUSED_PAD src0_sel:BYTE_3 src1_sel:DWORD
                                        ; implicit-def: $vgpr2
; %bb.3503:                             ;   in Loop: Header=BB6_138 Depth=3
	s_andn2_saveexec_b64 s[94:95], s[94:95]
; %bb.3504:                             ;   in Loop: Header=BB6_138 Depth=3
	v_cmp_lt_i32_e32 vcc, -1, v2
	v_bfrev_b32_e32 v0, 0.5
	v_mov_b32_e32 v1, 0x7c
	v_cndmask_b32_e32 v48, v0, v1, vcc
; %bb.3505:                             ;   in Loop: Header=BB6_138 Depth=3
	s_or_b64 exec, exec, s[94:95]
.LBB6_3506:                             ;   in Loop: Header=BB6_138 Depth=3
	s_or_b64 exec, exec, s[26:27]
	v_cmp_ne_u16_sdwa s[62:63], v10, v33 src0_sel:BYTE_0 src1_sel:DWORD
	v_mov_b32_e32 v0, 0
	s_and_saveexec_b64 s[26:27], s[62:63]
	s_cbranch_execz .LBB6_3514
; %bb.3507:                             ;   in Loop: Header=BB6_138 Depth=3
	v_cmp_ne_u16_sdwa s[62:63], sext(v10), s46 src0_sel:BYTE_0 src1_sel:DWORD
	v_bfrev_b32_e32 v0, 1
	s_and_saveexec_b64 s[94:95], s[62:63]
	s_cbranch_execz .LBB6_3513
; %bb.3508:                             ;   in Loop: Header=BB6_138 Depth=3
	v_and_b32_e32 v0, 0x7c, v10
	v_and_b32_e32 v1, 3, v10
	v_cmp_ne_u32_e32 vcc, s86, v0
                                        ; implicit-def: $vgpr0
	s_and_saveexec_b64 s[62:63], vcc
	s_xor_b64 s[30:31], exec, s[62:63]
	s_cbranch_execz .LBB6_3510
; %bb.3509:                             ;   in Loop: Header=BB6_138 Depth=3
	v_ffbh_u32_e32 v2, v1
	v_min_u32_e32 v4, 32, v2
	v_subrev_u32_e32 v2, 29, v4
	v_lshlrev_b64 v[2:3], v2, v[10:11]
	v_bfe_u32 v0, v10, 2, 5
	v_and_b32_e32 v2, 3, v2
	v_cmp_eq_u32_e32 vcc, 0, v0
	v_sub_u32_e32 v3, 30, v4
	v_cndmask_b32_e32 v1, v1, v2, vcc
	v_lshlrev_b32_e32 v2, 24, v10
	v_cndmask_b32_e32 v0, v0, v3, vcc
	v_and_b32_e32 v2, 0x80000000, v2
	v_lshl_add_u32 v0, v0, 23, v2
	v_lshl_or_b32 v0, v1, 21, v0
	v_add_u32_e32 v0, 0x38000000, v0
                                        ; implicit-def: $vgpr1
.LBB6_3510:                             ;   in Loop: Header=BB6_138 Depth=3
	s_andn2_saveexec_b64 s[30:31], s[30:31]
; %bb.3511:                             ;   in Loop: Header=BB6_138 Depth=3
	v_mov_b32_e32 v0, -1
	v_cmp_gt_i16_sdwa vcc, sext(v10), v0 src0_sel:BYTE_0 src1_sel:DWORD
	v_mov_b32_e32 v0, 0xff800000
	v_mov_b32_e32 v2, 0x7f800000
	v_cndmask_b32_e32 v0, v0, v2, vcc
	v_cmp_eq_u32_e32 vcc, 0, v1
	v_mov_b32_e32 v1, 0x7f800001
	v_cndmask_b32_e32 v0, v1, v0, vcc
; %bb.3512:                             ;   in Loop: Header=BB6_138 Depth=3
	s_or_b64 exec, exec, s[30:31]
.LBB6_3513:                             ;   in Loop: Header=BB6_138 Depth=3
	s_or_b64 exec, exec, s[94:95]
.LBB6_3514:                             ;   in Loop: Header=BB6_138 Depth=3
	s_or_b64 exec, exec, s[26:27]
	v_mul_f32_e32 v2, v14, v0
	v_and_b32_e32 v8, 0x7f800000, v2
	v_mov_b32_e32 v9, v33
	v_cmp_ne_u64_e32 vcc, s[76:77], v[8:9]
	v_and_b32_e32 v0, 0x7fffff, v2
	v_mov_b32_e32 v1, v33
                                        ; implicit-def: $vgpr49
	s_and_saveexec_b64 s[26:27], vcc
	s_xor_b64 s[94:95], exec, s[26:27]
	s_cbranch_execz .LBB6_3528
; %bb.3515:                             ;   in Loop: Header=BB6_138 Depth=3
	v_and_b32_e32 v8, 0x7fffffff, v2
	v_mov_b32_e32 v9, v33
	v_cmp_gt_u64_e32 vcc, s[78:79], v[8:9]
	v_and_b32_sdwa v3, v2, s97 dst_sel:DWORD dst_unused:UNUSED_PAD src0_sel:BYTE_3 src1_sel:DWORD
                                        ; implicit-def: $vgpr49
	s_and_saveexec_b64 s[26:27], vcc
	s_xor_b64 s[30:31], exec, s[26:27]
	s_cbranch_execz .LBB6_3525
; %bb.3516:                             ;   in Loop: Header=BB6_138 Depth=3
	v_mov_b32_e32 v49, 0
	v_cmp_ne_u32_e32 vcc, 0, v2
	s_and_saveexec_b64 s[34:35], vcc
	s_cbranch_execz .LBB6_3524
; %bb.3517:                             ;   in Loop: Header=BB6_138 Depth=3
	v_bfe_u32 v8, v2, 23, 8
	v_cmp_gt_u32_e64 s[26:27], s47, v8
	v_sub_u32_e32 v2, 0x71, v8
	v_cmp_eq_u32_e32 vcc, 0, v8
	v_cndmask_b32_e64 v2, 0, v2, s[26:27]
	v_mov_b32_e32 v9, 0x70
	v_cndmask_b32_e32 v9, v2, v9, vcc
	v_add_u32_e32 v2, 21, v9
	v_or_b32_e32 v4, 0x800000, v0
	v_lshlrev_b64 v[12:13], v2, -1
	v_cndmask_b32_e32 v0, v4, v0, vcc
	v_add_u32_e32 v2, 20, v9
	v_bfi_b32 v12, v12, 0, v0
	v_lshlrev_b64 v[49:50], v2, 1
	v_lshrrev_b64 v[0:1], v9, v[0:1]
	v_bfi_b32 v13, v13, 0, 0
	v_cmp_eq_u64_e64 s[26:27], v[12:13], v[49:50]
	v_mov_b32_e32 v2, v1
	v_mov_b32_e32 v1, v0
	s_and_saveexec_b64 s[36:37], s[26:27]
; %bb.3518:                             ;   in Loop: Header=BB6_138 Depth=3
	v_bfe_u32 v1, v0, 21, 1
	v_add_co_u32_e64 v1, s[26:27], v0, v1
	v_add_co_u32_e64 v1, s[26:27], -1, v1
; %bb.3519:                             ;   in Loop: Header=BB6_138 Depth=3
	s_or_b64 exec, exec, s[36:37]
	v_add_u32_e32 v2, 0xffffff81, v8
	v_mov_b32_e32 v4, 0xffffff82
	v_cndmask_b32_e32 v2, v2, v4, vcc
	v_lshrrev_b32_e32 v4, 23, v0
	v_add3_u32 v9, v9, v2, v4
	v_add_u32_e32 v8, 14, v9
	v_and_b32_e32 v1, 0x1fffff, v1
	v_add_u32_e32 v0, v1, v0
	v_mov_b32_e32 v1, v33
	v_cmp_ne_u32_e32 vcc, 0, v8
                                        ; implicit-def: $vgpr2
	s_and_saveexec_b64 s[26:27], vcc
	s_xor_b64 s[26:27], exec, s[26:27]
; %bb.3520:                             ;   in Loop: Header=BB6_138 Depth=3
	v_cmp_lt_u64_e32 vcc, s[88:89], v[0:1]
	v_add_u32_e32 v2, 15, v9
	v_cndmask_b32_e64 v4, 0, 1, vcc
	v_lshrrev_b64 v[0:1], v4, v[0:1]
	v_cndmask_b32_e32 v2, v8, v2, vcc
; %bb.3521:                             ;   in Loop: Header=BB6_138 Depth=3
	s_andn2_saveexec_b64 s[26:27], s[26:27]
; %bb.3522:                             ;   in Loop: Header=BB6_138 Depth=3
	v_bfe_u32 v2, v0, 23, 1
; %bb.3523:                             ;   in Loop: Header=BB6_138 Depth=3
	s_or_b64 exec, exec, s[26:27]
	v_lshrrev_b64 v[0:1], 21, v[0:1]
	v_cmp_gt_i32_e32 vcc, 32, v2
	v_cndmask_b32_e32 v1, 0, v1, vcc
	v_cndmask_b32_e32 v0, 3, v0, vcc
	v_cmp_eq_u64_e64 s[26:27], 0, v[0:1]
	v_min_i32_e32 v1, 31, v2
	v_lshlrev_b32_e32 v1, 2, v1
	v_cmp_eq_u32_e32 vcc, 0, v2
	v_and_b32_e32 v1, 0xfc, v1
	v_and_or_b32 v0, v0, 3, v1
	s_and_b64 s[26:27], vcc, s[26:27]
	v_cndmask_b32_e64 v0, v0, 0, s[26:27]
	v_or_b32_e32 v49, v0, v3
.LBB6_3524:                             ;   in Loop: Header=BB6_138 Depth=3
	s_or_b64 exec, exec, s[34:35]
                                        ; implicit-def: $vgpr3
.LBB6_3525:                             ;   in Loop: Header=BB6_138 Depth=3
	s_andn2_saveexec_b64 s[26:27], s[30:31]
; %bb.3526:                             ;   in Loop: Header=BB6_138 Depth=3
	v_or_b32_e32 v49, 0x7b, v3
; %bb.3527:                             ;   in Loop: Header=BB6_138 Depth=3
	s_or_b64 exec, exec, s[26:27]
                                        ; implicit-def: $vgpr2
                                        ; implicit-def: $vgpr0_vgpr1
.LBB6_3528:                             ;   in Loop: Header=BB6_138 Depth=3
	s_andn2_saveexec_b64 s[26:27], s[94:95]
	s_cbranch_execz .LBB6_3534
; %bb.3529:                             ;   in Loop: Header=BB6_138 Depth=3
	v_cmp_ne_u64_e32 vcc, 0, v[0:1]
                                        ; implicit-def: $vgpr49
	s_and_saveexec_b64 s[62:63], vcc
	s_xor_b64 s[94:95], exec, s[62:63]
; %bb.3530:                             ;   in Loop: Header=BB6_138 Depth=3
	v_or_b32_sdwa v49, v2, s44 dst_sel:DWORD dst_unused:UNUSED_PAD src0_sel:BYTE_3 src1_sel:DWORD
                                        ; implicit-def: $vgpr2
; %bb.3531:                             ;   in Loop: Header=BB6_138 Depth=3
	s_andn2_saveexec_b64 s[94:95], s[94:95]
; %bb.3532:                             ;   in Loop: Header=BB6_138 Depth=3
	v_cmp_lt_i32_e32 vcc, -1, v2
	v_bfrev_b32_e32 v0, 0.5
	v_mov_b32_e32 v1, 0x7c
	v_cndmask_b32_e32 v49, v0, v1, vcc
; %bb.3533:                             ;   in Loop: Header=BB6_138 Depth=3
	s_or_b64 exec, exec, s[94:95]
.LBB6_3534:                             ;   in Loop: Header=BB6_138 Depth=3
	s_or_b64 exec, exec, s[26:27]
	v_lshrrev_b16_e32 v0, 8, v10
	v_cmp_ne_u16_e32 vcc, 0, v0
	v_mov_b32_e32 v1, 0
	s_and_saveexec_b64 s[26:27], vcc
	s_cbranch_execz .LBB6_3542
; %bb.3535:                             ;   in Loop: Header=BB6_138 Depth=3
	v_cmp_ne_u16_e32 vcc, s97, v0
	v_bfrev_b32_e32 v1, 1
	s_and_saveexec_b64 s[94:95], vcc
	s_cbranch_execz .LBB6_3541
; %bb.3536:                             ;   in Loop: Header=BB6_138 Depth=3
	v_and_b32_e32 v1, 0x7c, v0
	v_and_b32_e32 v2, 3, v0
	v_cmp_ne_u32_e32 vcc, s86, v1
                                        ; implicit-def: $vgpr1
	s_and_saveexec_b64 s[62:63], vcc
	s_xor_b64 s[30:31], exec, s[62:63]
	s_cbranch_execz .LBB6_3538
; %bb.3537:                             ;   in Loop: Header=BB6_138 Depth=3
	v_ffbh_u32_e32 v4, v2
	v_min_u32_e32 v4, 32, v4
	v_mov_b32_e32 v1, v33
	v_subrev_u32_e32 v8, 29, v4
	v_bfe_u32 v3, v0, 2, 5
	v_lshlrev_b64 v[0:1], v8, v[0:1]
	v_cmp_eq_u32_e32 vcc, 0, v3
	v_and_b32_e32 v0, 3, v0
	v_sub_u32_e32 v1, 30, v4
	v_cndmask_b32_e32 v0, v2, v0, vcc
	v_lshlrev_b32_e32 v2, 16, v10
	v_cndmask_b32_e32 v1, v3, v1, vcc
	v_and_b32_e32 v2, 0x80000000, v2
	v_lshl_add_u32 v1, v1, 23, v2
	v_lshl_or_b32 v0, v0, 21, v1
	v_add_u32_e32 v1, 0x38000000, v0
                                        ; implicit-def: $vgpr2
.LBB6_3538:                             ;   in Loop: Header=BB6_138 Depth=3
	s_andn2_saveexec_b64 s[30:31], s[30:31]
; %bb.3539:                             ;   in Loop: Header=BB6_138 Depth=3
	v_cmp_lt_i16_e32 vcc, -1, v10
	v_mov_b32_e32 v0, 0xff800000
	v_mov_b32_e32 v1, 0x7f800000
	v_cndmask_b32_e32 v0, v0, v1, vcc
	v_cmp_eq_u32_e32 vcc, 0, v2
	v_mov_b32_e32 v1, 0x7f800001
	v_cndmask_b32_e32 v1, v1, v0, vcc
; %bb.3540:                             ;   in Loop: Header=BB6_138 Depth=3
	s_or_b64 exec, exec, s[30:31]
.LBB6_3541:                             ;   in Loop: Header=BB6_138 Depth=3
	s_or_b64 exec, exec, s[94:95]
.LBB6_3542:                             ;   in Loop: Header=BB6_138 Depth=3
	s_or_b64 exec, exec, s[26:27]
	v_mul_f32_e32 v2, v14, v1
	v_and_b32_e32 v8, 0x7f800000, v2
	v_mov_b32_e32 v9, v33
	v_cmp_ne_u64_e32 vcc, s[76:77], v[8:9]
	v_and_b32_e32 v0, 0x7fffff, v2
	v_mov_b32_e32 v1, v33
                                        ; implicit-def: $vgpr50
	s_and_saveexec_b64 s[26:27], vcc
	s_xor_b64 s[94:95], exec, s[26:27]
	s_cbranch_execz .LBB6_3556
; %bb.3543:                             ;   in Loop: Header=BB6_138 Depth=3
	v_and_b32_e32 v8, 0x7fffffff, v2
	v_mov_b32_e32 v9, v33
	v_cmp_gt_u64_e32 vcc, s[78:79], v[8:9]
	v_and_b32_sdwa v3, v2, s97 dst_sel:DWORD dst_unused:UNUSED_PAD src0_sel:BYTE_3 src1_sel:DWORD
                                        ; implicit-def: $vgpr50
	s_and_saveexec_b64 s[26:27], vcc
	s_xor_b64 s[30:31], exec, s[26:27]
	s_cbranch_execz .LBB6_3553
; %bb.3544:                             ;   in Loop: Header=BB6_138 Depth=3
	v_mov_b32_e32 v50, 0
	v_cmp_ne_u32_e32 vcc, 0, v2
	s_and_saveexec_b64 s[34:35], vcc
	s_cbranch_execz .LBB6_3552
; %bb.3545:                             ;   in Loop: Header=BB6_138 Depth=3
	v_bfe_u32 v8, v2, 23, 8
	v_cmp_gt_u32_e64 s[26:27], s47, v8
	v_sub_u32_e32 v2, 0x71, v8
	v_cmp_eq_u32_e32 vcc, 0, v8
	v_cndmask_b32_e64 v2, 0, v2, s[26:27]
	v_mov_b32_e32 v9, 0x70
	v_cndmask_b32_e32 v9, v2, v9, vcc
	v_add_u32_e32 v2, 21, v9
	v_or_b32_e32 v4, 0x800000, v0
	v_lshlrev_b64 v[12:13], v2, -1
	v_cndmask_b32_e32 v0, v4, v0, vcc
	v_add_u32_e32 v2, 20, v9
	v_bfi_b32 v12, v12, 0, v0
	v_lshlrev_b64 v[50:51], v2, 1
	v_lshrrev_b64 v[0:1], v9, v[0:1]
	v_bfi_b32 v13, v13, 0, 0
	v_cmp_eq_u64_e64 s[26:27], v[12:13], v[50:51]
	v_mov_b32_e32 v2, v1
	v_mov_b32_e32 v1, v0
	s_and_saveexec_b64 s[36:37], s[26:27]
; %bb.3546:                             ;   in Loop: Header=BB6_138 Depth=3
	v_bfe_u32 v1, v0, 21, 1
	v_add_co_u32_e64 v1, s[26:27], v0, v1
	v_add_co_u32_e64 v1, s[26:27], -1, v1
; %bb.3547:                             ;   in Loop: Header=BB6_138 Depth=3
	s_or_b64 exec, exec, s[36:37]
	v_add_u32_e32 v2, 0xffffff81, v8
	v_mov_b32_e32 v4, 0xffffff82
	v_cndmask_b32_e32 v2, v2, v4, vcc
	v_lshrrev_b32_e32 v4, 23, v0
	v_add3_u32 v9, v9, v2, v4
	v_add_u32_e32 v8, 14, v9
	v_and_b32_e32 v1, 0x1fffff, v1
	v_add_u32_e32 v0, v1, v0
	v_mov_b32_e32 v1, v33
	v_cmp_ne_u32_e32 vcc, 0, v8
                                        ; implicit-def: $vgpr2
	s_and_saveexec_b64 s[26:27], vcc
	s_xor_b64 s[26:27], exec, s[26:27]
; %bb.3548:                             ;   in Loop: Header=BB6_138 Depth=3
	v_cmp_lt_u64_e32 vcc, s[88:89], v[0:1]
	v_add_u32_e32 v2, 15, v9
	v_cndmask_b32_e64 v4, 0, 1, vcc
	v_lshrrev_b64 v[0:1], v4, v[0:1]
	v_cndmask_b32_e32 v2, v8, v2, vcc
; %bb.3549:                             ;   in Loop: Header=BB6_138 Depth=3
	s_andn2_saveexec_b64 s[26:27], s[26:27]
; %bb.3550:                             ;   in Loop: Header=BB6_138 Depth=3
	v_bfe_u32 v2, v0, 23, 1
; %bb.3551:                             ;   in Loop: Header=BB6_138 Depth=3
	s_or_b64 exec, exec, s[26:27]
	v_lshrrev_b64 v[0:1], 21, v[0:1]
	v_cmp_gt_i32_e32 vcc, 32, v2
	v_cndmask_b32_e32 v1, 0, v1, vcc
	v_cndmask_b32_e32 v0, 3, v0, vcc
	v_cmp_eq_u64_e64 s[26:27], 0, v[0:1]
	v_min_i32_e32 v1, 31, v2
	v_lshlrev_b32_e32 v1, 2, v1
	v_cmp_eq_u32_e32 vcc, 0, v2
	v_and_b32_e32 v1, 0xfc, v1
	v_and_or_b32 v0, v0, 3, v1
	s_and_b64 s[26:27], vcc, s[26:27]
	v_cndmask_b32_e64 v0, v0, 0, s[26:27]
	v_or_b32_e32 v50, v0, v3
.LBB6_3552:                             ;   in Loop: Header=BB6_138 Depth=3
	s_or_b64 exec, exec, s[34:35]
                                        ; implicit-def: $vgpr3
.LBB6_3553:                             ;   in Loop: Header=BB6_138 Depth=3
	s_andn2_saveexec_b64 s[26:27], s[30:31]
; %bb.3554:                             ;   in Loop: Header=BB6_138 Depth=3
	v_or_b32_e32 v50, 0x7b, v3
; %bb.3555:                             ;   in Loop: Header=BB6_138 Depth=3
	s_or_b64 exec, exec, s[26:27]
                                        ; implicit-def: $vgpr2
                                        ; implicit-def: $vgpr0_vgpr1
.LBB6_3556:                             ;   in Loop: Header=BB6_138 Depth=3
	s_andn2_saveexec_b64 s[26:27], s[94:95]
	s_cbranch_execz .LBB6_3562
; %bb.3557:                             ;   in Loop: Header=BB6_138 Depth=3
	v_cmp_ne_u64_e32 vcc, 0, v[0:1]
                                        ; implicit-def: $vgpr50
	s_and_saveexec_b64 s[62:63], vcc
	s_xor_b64 s[94:95], exec, s[62:63]
; %bb.3558:                             ;   in Loop: Header=BB6_138 Depth=3
	v_or_b32_sdwa v50, v2, s44 dst_sel:DWORD dst_unused:UNUSED_PAD src0_sel:BYTE_3 src1_sel:DWORD
                                        ; implicit-def: $vgpr2
; %bb.3559:                             ;   in Loop: Header=BB6_138 Depth=3
	s_andn2_saveexec_b64 s[94:95], s[94:95]
; %bb.3560:                             ;   in Loop: Header=BB6_138 Depth=3
	v_cmp_lt_i32_e32 vcc, -1, v2
	v_bfrev_b32_e32 v0, 0.5
	v_mov_b32_e32 v1, 0x7c
	v_cndmask_b32_e32 v50, v0, v1, vcc
; %bb.3561:                             ;   in Loop: Header=BB6_138 Depth=3
	s_or_b64 exec, exec, s[94:95]
.LBB6_3562:                             ;   in Loop: Header=BB6_138 Depth=3
	s_or_b64 exec, exec, s[26:27]
	v_lshrrev_b32_e32 v0, 16, v10
	v_cmp_ne_u16_sdwa s[62:63], v0, v33 src0_sel:BYTE_0 src1_sel:DWORD
	v_mov_b32_e32 v1, 0
	s_and_saveexec_b64 s[26:27], s[62:63]
	s_cbranch_execz .LBB6_3570
; %bb.3563:                             ;   in Loop: Header=BB6_138 Depth=3
	v_cmp_ne_u16_sdwa s[62:63], v0, s97 src0_sel:BYTE_0 src1_sel:DWORD
	v_bfrev_b32_e32 v1, 1
	s_and_saveexec_b64 s[94:95], s[62:63]
	s_cbranch_execz .LBB6_3569
; %bb.3564:                             ;   in Loop: Header=BB6_138 Depth=3
	v_and_b32_e32 v1, 0x7c0000, v10
	v_bfe_u32 v2, v10, 16, 2
	v_cmp_ne_u32_e32 vcc, s45, v1
                                        ; implicit-def: $vgpr1
	s_and_saveexec_b64 s[62:63], vcc
	s_xor_b64 s[30:31], exec, s[62:63]
	s_cbranch_execz .LBB6_3566
; %bb.3565:                             ;   in Loop: Header=BB6_138 Depth=3
	v_ffbh_u32_e32 v1, v2
	v_min_u32_e32 v4, 32, v1
	v_subrev_u32_e32 v1, 29, v4
	v_lshlrev_b64 v[0:1], v1, v[0:1]
	v_bfe_u32 v3, v10, 18, 5
	v_and_b32_e32 v0, 3, v0
	v_cmp_eq_u32_e32 vcc, 0, v3
	v_sub_u32_e32 v1, 30, v4
	v_cndmask_b32_e32 v0, v2, v0, vcc
	v_lshlrev_b32_e32 v2, 8, v10
	v_cndmask_b32_e32 v1, v3, v1, vcc
	v_and_b32_e32 v2, 0x80000000, v2
	v_lshl_add_u32 v1, v1, 23, v2
	v_lshl_or_b32 v0, v0, 21, v1
	v_add_u32_e32 v1, 0x38000000, v0
                                        ; implicit-def: $vgpr2
                                        ; implicit-def: $vgpr0
.LBB6_3566:                             ;   in Loop: Header=BB6_138 Depth=3
	s_andn2_saveexec_b64 s[30:31], s[30:31]
; %bb.3567:                             ;   in Loop: Header=BB6_138 Depth=3
	v_mov_b32_e32 v1, -1
	v_cmp_gt_i16_sdwa vcc, sext(v0), v1 src0_sel:BYTE_0 src1_sel:DWORD
	v_mov_b32_e32 v0, 0xff800000
	v_mov_b32_e32 v1, 0x7f800000
	v_cndmask_b32_e32 v0, v0, v1, vcc
	v_cmp_eq_u32_e32 vcc, 0, v2
	v_mov_b32_e32 v1, 0x7f800001
	v_cndmask_b32_e32 v1, v1, v0, vcc
; %bb.3568:                             ;   in Loop: Header=BB6_138 Depth=3
	s_or_b64 exec, exec, s[30:31]
.LBB6_3569:                             ;   in Loop: Header=BB6_138 Depth=3
	s_or_b64 exec, exec, s[94:95]
.LBB6_3570:                             ;   in Loop: Header=BB6_138 Depth=3
	s_or_b64 exec, exec, s[26:27]
	v_mul_f32_e32 v2, v14, v1
	v_and_b32_e32 v8, 0x7f800000, v2
	v_mov_b32_e32 v9, v33
	v_cmp_ne_u64_e32 vcc, s[76:77], v[8:9]
	v_and_b32_e32 v0, 0x7fffff, v2
	v_mov_b32_e32 v1, v33
                                        ; implicit-def: $vgpr51
	s_and_saveexec_b64 s[26:27], vcc
	s_xor_b64 s[94:95], exec, s[26:27]
	s_cbranch_execz .LBB6_3584
; %bb.3571:                             ;   in Loop: Header=BB6_138 Depth=3
	v_and_b32_e32 v8, 0x7fffffff, v2
	v_mov_b32_e32 v9, v33
	v_cmp_gt_u64_e32 vcc, s[78:79], v[8:9]
	v_and_b32_sdwa v3, v2, s97 dst_sel:DWORD dst_unused:UNUSED_PAD src0_sel:BYTE_3 src1_sel:DWORD
                                        ; implicit-def: $vgpr51
	s_and_saveexec_b64 s[26:27], vcc
	s_xor_b64 s[30:31], exec, s[26:27]
	s_cbranch_execz .LBB6_3581
; %bb.3572:                             ;   in Loop: Header=BB6_138 Depth=3
	v_mov_b32_e32 v51, 0
	v_cmp_ne_u32_e32 vcc, 0, v2
	s_and_saveexec_b64 s[34:35], vcc
	s_cbranch_execz .LBB6_3580
; %bb.3573:                             ;   in Loop: Header=BB6_138 Depth=3
	v_bfe_u32 v8, v2, 23, 8
	v_cmp_gt_u32_e64 s[26:27], s47, v8
	v_sub_u32_e32 v2, 0x71, v8
	v_cmp_eq_u32_e32 vcc, 0, v8
	v_cndmask_b32_e64 v2, 0, v2, s[26:27]
	v_mov_b32_e32 v9, 0x70
	v_cndmask_b32_e32 v9, v2, v9, vcc
	v_add_u32_e32 v2, 21, v9
	v_or_b32_e32 v4, 0x800000, v0
	v_lshlrev_b64 v[12:13], v2, -1
	v_cndmask_b32_e32 v0, v4, v0, vcc
	v_add_u32_e32 v2, 20, v9
	v_bfi_b32 v12, v12, 0, v0
	v_lshlrev_b64 v[51:52], v2, 1
	v_lshrrev_b64 v[0:1], v9, v[0:1]
	v_bfi_b32 v13, v13, 0, 0
	v_cmp_eq_u64_e64 s[26:27], v[12:13], v[51:52]
	v_mov_b32_e32 v2, v1
	v_mov_b32_e32 v1, v0
	s_and_saveexec_b64 s[36:37], s[26:27]
; %bb.3574:                             ;   in Loop: Header=BB6_138 Depth=3
	v_bfe_u32 v1, v0, 21, 1
	v_add_co_u32_e64 v1, s[26:27], v0, v1
	v_add_co_u32_e64 v1, s[26:27], -1, v1
; %bb.3575:                             ;   in Loop: Header=BB6_138 Depth=3
	s_or_b64 exec, exec, s[36:37]
	v_add_u32_e32 v2, 0xffffff81, v8
	v_mov_b32_e32 v4, 0xffffff82
	v_cndmask_b32_e32 v2, v2, v4, vcc
	v_lshrrev_b32_e32 v4, 23, v0
	v_add3_u32 v9, v9, v2, v4
	v_add_u32_e32 v8, 14, v9
	v_and_b32_e32 v1, 0x1fffff, v1
	v_add_u32_e32 v0, v1, v0
	v_mov_b32_e32 v1, v33
	v_cmp_ne_u32_e32 vcc, 0, v8
                                        ; implicit-def: $vgpr2
	s_and_saveexec_b64 s[26:27], vcc
	s_xor_b64 s[26:27], exec, s[26:27]
; %bb.3576:                             ;   in Loop: Header=BB6_138 Depth=3
	v_cmp_lt_u64_e32 vcc, s[88:89], v[0:1]
	v_add_u32_e32 v2, 15, v9
	v_cndmask_b32_e64 v4, 0, 1, vcc
	v_lshrrev_b64 v[0:1], v4, v[0:1]
	v_cndmask_b32_e32 v2, v8, v2, vcc
; %bb.3577:                             ;   in Loop: Header=BB6_138 Depth=3
	s_andn2_saveexec_b64 s[26:27], s[26:27]
; %bb.3578:                             ;   in Loop: Header=BB6_138 Depth=3
	v_bfe_u32 v2, v0, 23, 1
; %bb.3579:                             ;   in Loop: Header=BB6_138 Depth=3
	s_or_b64 exec, exec, s[26:27]
	v_lshrrev_b64 v[0:1], 21, v[0:1]
	v_cmp_gt_i32_e32 vcc, 32, v2
	v_cndmask_b32_e32 v1, 0, v1, vcc
	v_cndmask_b32_e32 v0, 3, v0, vcc
	v_cmp_eq_u64_e64 s[26:27], 0, v[0:1]
	v_min_i32_e32 v1, 31, v2
	v_lshlrev_b32_e32 v1, 2, v1
	v_cmp_eq_u32_e32 vcc, 0, v2
	v_and_b32_e32 v1, 0xfc, v1
	v_and_or_b32 v0, v0, 3, v1
	s_and_b64 s[26:27], vcc, s[26:27]
	v_cndmask_b32_e64 v0, v0, 0, s[26:27]
	v_or_b32_e32 v51, v0, v3
.LBB6_3580:                             ;   in Loop: Header=BB6_138 Depth=3
	s_or_b64 exec, exec, s[34:35]
                                        ; implicit-def: $vgpr3
.LBB6_3581:                             ;   in Loop: Header=BB6_138 Depth=3
	s_andn2_saveexec_b64 s[26:27], s[30:31]
; %bb.3582:                             ;   in Loop: Header=BB6_138 Depth=3
	v_or_b32_e32 v51, 0x7b, v3
; %bb.3583:                             ;   in Loop: Header=BB6_138 Depth=3
	s_or_b64 exec, exec, s[26:27]
                                        ; implicit-def: $vgpr2
                                        ; implicit-def: $vgpr0_vgpr1
.LBB6_3584:                             ;   in Loop: Header=BB6_138 Depth=3
	s_andn2_saveexec_b64 s[26:27], s[94:95]
	s_cbranch_execz .LBB6_3590
; %bb.3585:                             ;   in Loop: Header=BB6_138 Depth=3
	v_cmp_ne_u64_e32 vcc, 0, v[0:1]
                                        ; implicit-def: $vgpr51
	s_and_saveexec_b64 s[62:63], vcc
	s_xor_b64 s[94:95], exec, s[62:63]
; %bb.3586:                             ;   in Loop: Header=BB6_138 Depth=3
	v_or_b32_sdwa v51, v2, s44 dst_sel:DWORD dst_unused:UNUSED_PAD src0_sel:BYTE_3 src1_sel:DWORD
                                        ; implicit-def: $vgpr2
; %bb.3587:                             ;   in Loop: Header=BB6_138 Depth=3
	s_andn2_saveexec_b64 s[94:95], s[94:95]
; %bb.3588:                             ;   in Loop: Header=BB6_138 Depth=3
	v_cmp_lt_i32_e32 vcc, -1, v2
	v_bfrev_b32_e32 v0, 0.5
	v_mov_b32_e32 v1, 0x7c
	v_cndmask_b32_e32 v51, v0, v1, vcc
; %bb.3589:                             ;   in Loop: Header=BB6_138 Depth=3
	s_or_b64 exec, exec, s[94:95]
.LBB6_3590:                             ;   in Loop: Header=BB6_138 Depth=3
	s_or_b64 exec, exec, s[26:27]
	v_cmp_lt_u32_e32 vcc, s57, v10
	v_mov_b32_e32 v1, 0
	s_and_saveexec_b64 s[26:27], vcc
	s_cbranch_execz .LBB6_3598
; %bb.3591:                             ;   in Loop: Header=BB6_138 Depth=3
	v_lshrrev_b32_e32 v0, 24, v10
	v_cmp_ne_u32_e32 vcc, s97, v0
	v_bfrev_b32_e32 v1, 1
	s_and_saveexec_b64 s[94:95], vcc
	s_cbranch_execz .LBB6_3597
; %bb.3592:                             ;   in Loop: Header=BB6_138 Depth=3
	v_and_b32_e32 v1, 0x7c000000, v10
	v_bfe_u32 v2, v10, 24, 2
	v_cmp_ne_u32_e32 vcc, s68, v1
                                        ; implicit-def: $vgpr1
	s_and_saveexec_b64 s[62:63], vcc
	s_xor_b64 s[30:31], exec, s[62:63]
	s_cbranch_execz .LBB6_3594
; %bb.3593:                             ;   in Loop: Header=BB6_138 Depth=3
	v_ffbh_u32_e32 v1, v2
	v_min_u32_e32 v4, 32, v1
	v_subrev_u32_e32 v1, 29, v4
	v_lshlrev_b64 v[0:1], v1, v[0:1]
	v_bfe_u32 v3, v10, 26, 5
	v_sub_u32_e32 v1, 30, v4
	v_and_b32_e32 v0, 3, v0
	v_cmp_eq_u32_e32 vcc, 0, v3
	v_cndmask_b32_e32 v1, v3, v1, vcc
	v_cndmask_b32_e32 v0, v2, v0, vcc
	v_and_b32_e32 v2, 0x80000000, v10
	v_lshl_add_u32 v1, v1, 23, v2
	v_lshl_or_b32 v0, v0, 21, v1
	v_add_u32_e32 v1, 0x38000000, v0
                                        ; implicit-def: $vgpr2
.LBB6_3594:                             ;   in Loop: Header=BB6_138 Depth=3
	s_andn2_saveexec_b64 s[30:31], s[30:31]
; %bb.3595:                             ;   in Loop: Header=BB6_138 Depth=3
	v_cmp_lt_i32_e32 vcc, -1, v10
	v_mov_b32_e32 v0, 0xff800000
	v_mov_b32_e32 v1, 0x7f800000
	v_cndmask_b32_e32 v0, v0, v1, vcc
	v_cmp_eq_u32_e32 vcc, 0, v2
	v_mov_b32_e32 v1, 0x7f800001
	v_cndmask_b32_e32 v1, v1, v0, vcc
; %bb.3596:                             ;   in Loop: Header=BB6_138 Depth=3
	s_or_b64 exec, exec, s[30:31]
.LBB6_3597:                             ;   in Loop: Header=BB6_138 Depth=3
	s_or_b64 exec, exec, s[94:95]
.LBB6_3598:                             ;   in Loop: Header=BB6_138 Depth=3
	s_or_b64 exec, exec, s[26:27]
	v_mul_f32_e32 v2, v14, v1
	v_and_b32_e32 v8, 0x7f800000, v2
	v_mov_b32_e32 v9, v33
	v_cmp_ne_u64_e32 vcc, s[76:77], v[8:9]
	v_and_b32_e32 v0, 0x7fffff, v2
	v_mov_b32_e32 v1, v33
                                        ; implicit-def: $vgpr52
	s_and_saveexec_b64 s[26:27], vcc
	s_xor_b64 s[94:95], exec, s[26:27]
	s_cbranch_execz .LBB6_3612
; %bb.3599:                             ;   in Loop: Header=BB6_138 Depth=3
	v_and_b32_e32 v8, 0x7fffffff, v2
	v_mov_b32_e32 v9, v33
	v_cmp_gt_u64_e32 vcc, s[78:79], v[8:9]
	v_and_b32_sdwa v3, v2, s97 dst_sel:DWORD dst_unused:UNUSED_PAD src0_sel:BYTE_3 src1_sel:DWORD
                                        ; implicit-def: $vgpr52
	s_and_saveexec_b64 s[26:27], vcc
	s_xor_b64 s[30:31], exec, s[26:27]
	s_cbranch_execz .LBB6_3609
; %bb.3600:                             ;   in Loop: Header=BB6_138 Depth=3
	v_mov_b32_e32 v52, 0
	v_cmp_ne_u32_e32 vcc, 0, v2
	s_and_saveexec_b64 s[34:35], vcc
	s_cbranch_execz .LBB6_3608
; %bb.3601:                             ;   in Loop: Header=BB6_138 Depth=3
	v_bfe_u32 v8, v2, 23, 8
	v_cmp_gt_u32_e64 s[26:27], s47, v8
	v_sub_u32_e32 v2, 0x71, v8
	v_cmp_eq_u32_e32 vcc, 0, v8
	v_cndmask_b32_e64 v2, 0, v2, s[26:27]
	v_mov_b32_e32 v9, 0x70
	v_cndmask_b32_e32 v9, v2, v9, vcc
	v_add_u32_e32 v2, 21, v9
	v_or_b32_e32 v4, 0x800000, v0
	v_lshlrev_b64 v[12:13], v2, -1
	v_cndmask_b32_e32 v0, v4, v0, vcc
	v_add_u32_e32 v2, 20, v9
	v_bfi_b32 v12, v12, 0, v0
	v_lshlrev_b64 v[52:53], v2, 1
	v_lshrrev_b64 v[0:1], v9, v[0:1]
	v_bfi_b32 v13, v13, 0, 0
	v_cmp_eq_u64_e64 s[26:27], v[12:13], v[52:53]
	v_mov_b32_e32 v2, v1
	v_mov_b32_e32 v1, v0
	s_and_saveexec_b64 s[36:37], s[26:27]
; %bb.3602:                             ;   in Loop: Header=BB6_138 Depth=3
	v_bfe_u32 v1, v0, 21, 1
	v_add_co_u32_e64 v1, s[26:27], v0, v1
	v_add_co_u32_e64 v1, s[26:27], -1, v1
; %bb.3603:                             ;   in Loop: Header=BB6_138 Depth=3
	s_or_b64 exec, exec, s[36:37]
	v_add_u32_e32 v2, 0xffffff81, v8
	v_mov_b32_e32 v4, 0xffffff82
	v_cndmask_b32_e32 v2, v2, v4, vcc
	v_lshrrev_b32_e32 v4, 23, v0
	v_add3_u32 v9, v9, v2, v4
	v_add_u32_e32 v8, 14, v9
	v_and_b32_e32 v1, 0x1fffff, v1
	v_add_u32_e32 v0, v1, v0
	v_mov_b32_e32 v1, v33
	v_cmp_ne_u32_e32 vcc, 0, v8
                                        ; implicit-def: $vgpr2
	s_and_saveexec_b64 s[26:27], vcc
	s_xor_b64 s[26:27], exec, s[26:27]
; %bb.3604:                             ;   in Loop: Header=BB6_138 Depth=3
	v_cmp_lt_u64_e32 vcc, s[88:89], v[0:1]
	v_add_u32_e32 v2, 15, v9
	v_cndmask_b32_e64 v4, 0, 1, vcc
	v_lshrrev_b64 v[0:1], v4, v[0:1]
	v_cndmask_b32_e32 v2, v8, v2, vcc
; %bb.3605:                             ;   in Loop: Header=BB6_138 Depth=3
	s_andn2_saveexec_b64 s[26:27], s[26:27]
; %bb.3606:                             ;   in Loop: Header=BB6_138 Depth=3
	v_bfe_u32 v2, v0, 23, 1
; %bb.3607:                             ;   in Loop: Header=BB6_138 Depth=3
	s_or_b64 exec, exec, s[26:27]
	v_lshrrev_b64 v[0:1], 21, v[0:1]
	v_cmp_gt_i32_e32 vcc, 32, v2
	v_cndmask_b32_e32 v1, 0, v1, vcc
	v_cndmask_b32_e32 v0, 3, v0, vcc
	v_cmp_eq_u64_e64 s[26:27], 0, v[0:1]
	v_min_i32_e32 v1, 31, v2
	v_lshlrev_b32_e32 v1, 2, v1
	v_cmp_eq_u32_e32 vcc, 0, v2
	v_and_b32_e32 v1, 0xfc, v1
	v_and_or_b32 v0, v0, 3, v1
	s_and_b64 s[26:27], vcc, s[26:27]
	v_cndmask_b32_e64 v0, v0, 0, s[26:27]
	v_or_b32_e32 v52, v0, v3
.LBB6_3608:                             ;   in Loop: Header=BB6_138 Depth=3
	s_or_b64 exec, exec, s[34:35]
                                        ; implicit-def: $vgpr3
.LBB6_3609:                             ;   in Loop: Header=BB6_138 Depth=3
	s_andn2_saveexec_b64 s[26:27], s[30:31]
; %bb.3610:                             ;   in Loop: Header=BB6_138 Depth=3
	v_or_b32_e32 v52, 0x7b, v3
; %bb.3611:                             ;   in Loop: Header=BB6_138 Depth=3
	s_or_b64 exec, exec, s[26:27]
                                        ; implicit-def: $vgpr2
                                        ; implicit-def: $vgpr0_vgpr1
.LBB6_3612:                             ;   in Loop: Header=BB6_138 Depth=3
	s_andn2_saveexec_b64 s[26:27], s[94:95]
	s_cbranch_execz .LBB6_3618
; %bb.3613:                             ;   in Loop: Header=BB6_138 Depth=3
	v_cmp_ne_u64_e32 vcc, 0, v[0:1]
                                        ; implicit-def: $vgpr52
	s_and_saveexec_b64 s[62:63], vcc
	s_xor_b64 s[94:95], exec, s[62:63]
; %bb.3614:                             ;   in Loop: Header=BB6_138 Depth=3
	v_or_b32_sdwa v52, v2, s44 dst_sel:DWORD dst_unused:UNUSED_PAD src0_sel:BYTE_3 src1_sel:DWORD
                                        ; implicit-def: $vgpr2
; %bb.3615:                             ;   in Loop: Header=BB6_138 Depth=3
	s_andn2_saveexec_b64 s[94:95], s[94:95]
; %bb.3616:                             ;   in Loop: Header=BB6_138 Depth=3
	v_cmp_lt_i32_e32 vcc, -1, v2
	v_bfrev_b32_e32 v0, 0.5
	v_mov_b32_e32 v1, 0x7c
	v_cndmask_b32_e32 v52, v0, v1, vcc
; %bb.3617:                             ;   in Loop: Header=BB6_138 Depth=3
	s_or_b64 exec, exec, s[94:95]
.LBB6_3618:                             ;   in Loop: Header=BB6_138 Depth=3
	s_or_b64 exec, exec, s[26:27]
	v_mov_b32_e32 v0, v11
	v_mov_b32_e32 v1, v33
	v_cmp_ne_u16_sdwa s[62:63], v11, v33 src0_sel:BYTE_0 src1_sel:DWORD
	v_mov_b32_e32 v2, 0
	s_and_saveexec_b64 s[26:27], s[62:63]
	s_cbranch_execz .LBB6_3626
; %bb.3619:                             ;   in Loop: Header=BB6_138 Depth=3
	v_cmp_ne_u16_sdwa s[62:63], v11, s97 src0_sel:BYTE_0 src1_sel:DWORD
	v_bfrev_b32_e32 v2, 1
	s_and_saveexec_b64 s[94:95], s[62:63]
	s_cbranch_execz .LBB6_3625
; %bb.3620:                             ;   in Loop: Header=BB6_138 Depth=3
	v_and_b32_e32 v2, 0x7c, v11
	v_and_b32_e32 v3, 3, v11
	v_cmp_ne_u32_e32 vcc, s86, v2
                                        ; implicit-def: $vgpr2
	s_and_saveexec_b64 s[62:63], vcc
	s_xor_b64 s[30:31], exec, s[62:63]
	s_cbranch_execz .LBB6_3622
; %bb.3621:                             ;   in Loop: Header=BB6_138 Depth=3
	v_ffbh_u32_e32 v2, v3
	v_min_u32_e32 v8, 32, v2
	v_subrev_u32_e32 v2, 29, v8
	v_lshlrev_b64 v[1:2], v2, v[0:1]
	v_bfe_u32 v4, v11, 2, 5
	v_and_b32_e32 v1, 3, v1
	v_cmp_eq_u32_e32 vcc, 0, v4
	v_sub_u32_e32 v2, 30, v8
	v_cndmask_b32_e32 v1, v3, v1, vcc
	v_lshlrev_b32_e32 v3, 24, v11
	v_cndmask_b32_e32 v2, v4, v2, vcc
	v_and_b32_e32 v3, 0x80000000, v3
	v_lshl_add_u32 v2, v2, 23, v3
	v_lshl_or_b32 v1, v1, 21, v2
	v_add_u32_e32 v2, 0x38000000, v1
                                        ; implicit-def: $vgpr3
.LBB6_3622:                             ;   in Loop: Header=BB6_138 Depth=3
	s_andn2_saveexec_b64 s[30:31], s[30:31]
; %bb.3623:                             ;   in Loop: Header=BB6_138 Depth=3
	v_mov_b32_e32 v1, -1
	v_cmp_gt_i16_sdwa vcc, sext(v11), v1 src0_sel:BYTE_0 src1_sel:DWORD
	v_mov_b32_e32 v1, 0xff800000
	v_mov_b32_e32 v2, 0x7f800000
	v_cndmask_b32_e32 v1, v1, v2, vcc
	v_cmp_eq_u32_e32 vcc, 0, v3
	v_mov_b32_e32 v2, 0x7f800001
	v_cndmask_b32_e32 v2, v2, v1, vcc
; %bb.3624:                             ;   in Loop: Header=BB6_138 Depth=3
	s_or_b64 exec, exec, s[30:31]
.LBB6_3625:                             ;   in Loop: Header=BB6_138 Depth=3
	s_or_b64 exec, exec, s[94:95]
.LBB6_3626:                             ;   in Loop: Header=BB6_138 Depth=3
	s_or_b64 exec, exec, s[26:27]
	v_mul_f32_e32 v9, v14, v2
	v_and_b32_e32 v2, 0x7f800000, v9
	v_mov_b32_e32 v3, v33
	v_cmp_ne_u64_e32 vcc, s[76:77], v[2:3]
	v_and_b32_e32 v1, 0x7fffff, v9
	v_mov_b32_e32 v2, v33
                                        ; implicit-def: $vgpr3
	s_and_saveexec_b64 s[26:27], vcc
	s_xor_b64 s[94:95], exec, s[26:27]
	s_cbranch_execz .LBB6_3640
; %bb.3627:                             ;   in Loop: Header=BB6_138 Depth=3
	v_and_b32_e32 v12, 0x7fffffff, v9
	v_mov_b32_e32 v13, v33
	v_cmp_gt_u64_e32 vcc, s[78:79], v[12:13]
	v_and_b32_sdwa v8, v9, s97 dst_sel:DWORD dst_unused:UNUSED_PAD src0_sel:BYTE_3 src1_sel:DWORD
                                        ; implicit-def: $vgpr3
	s_and_saveexec_b64 s[26:27], vcc
	s_xor_b64 s[30:31], exec, s[26:27]
	s_cbranch_execz .LBB6_3637
; %bb.3628:                             ;   in Loop: Header=BB6_138 Depth=3
	v_mov_b32_e32 v3, 0
	v_cmp_ne_u32_e32 vcc, 0, v9
	s_and_saveexec_b64 s[34:35], vcc
	s_cbranch_execz .LBB6_3636
; %bb.3629:                             ;   in Loop: Header=BB6_138 Depth=3
	v_bfe_u32 v9, v9, 23, 8
	v_cmp_gt_u32_e64 s[26:27], s47, v9
	v_sub_u32_e32 v3, 0x71, v9
	v_cmp_eq_u32_e32 vcc, 0, v9
	v_cndmask_b32_e64 v3, 0, v3, s[26:27]
	v_mov_b32_e32 v12, 0x70
	v_cndmask_b32_e32 v12, v3, v12, vcc
	v_add_u32_e32 v3, 21, v12
	v_or_b32_e32 v4, 0x800000, v1
	v_lshlrev_b64 v[53:54], v3, -1
	v_cndmask_b32_e32 v1, v4, v1, vcc
	v_add_u32_e32 v3, 20, v12
	v_bfi_b32 v53, v53, 0, v1
	v_lshlrev_b64 v[3:4], v3, 1
	v_lshrrev_b64 v[1:2], v12, v[1:2]
	v_bfi_b32 v54, v54, 0, 0
	v_cmp_eq_u64_e64 s[26:27], v[53:54], v[3:4]
	v_mov_b32_e32 v3, v2
	v_mov_b32_e32 v2, v1
	s_and_saveexec_b64 s[36:37], s[26:27]
; %bb.3630:                             ;   in Loop: Header=BB6_138 Depth=3
	v_bfe_u32 v2, v1, 21, 1
	v_add_co_u32_e64 v2, s[26:27], v1, v2
	v_add_co_u32_e64 v2, s[26:27], -1, v2
; %bb.3631:                             ;   in Loop: Header=BB6_138 Depth=3
	s_or_b64 exec, exec, s[36:37]
	v_add_u32_e32 v3, 0xffffff81, v9
	v_mov_b32_e32 v4, 0xffffff82
	v_cndmask_b32_e32 v3, v3, v4, vcc
	v_lshrrev_b32_e32 v4, 23, v1
	v_add3_u32 v12, v12, v3, v4
	v_add_u32_e32 v9, 14, v12
	v_and_b32_e32 v2, 0x1fffff, v2
	v_add_u32_e32 v1, v2, v1
	v_mov_b32_e32 v2, v33
	v_cmp_ne_u32_e32 vcc, 0, v9
                                        ; implicit-def: $vgpr3
	s_and_saveexec_b64 s[26:27], vcc
	s_xor_b64 s[26:27], exec, s[26:27]
; %bb.3632:                             ;   in Loop: Header=BB6_138 Depth=3
	v_cmp_lt_u64_e32 vcc, s[88:89], v[1:2]
	v_add_u32_e32 v3, 15, v12
	v_cndmask_b32_e64 v4, 0, 1, vcc
	v_lshrrev_b64 v[1:2], v4, v[1:2]
	v_cndmask_b32_e32 v3, v9, v3, vcc
; %bb.3633:                             ;   in Loop: Header=BB6_138 Depth=3
	s_andn2_saveexec_b64 s[26:27], s[26:27]
; %bb.3634:                             ;   in Loop: Header=BB6_138 Depth=3
	v_bfe_u32 v3, v1, 23, 1
; %bb.3635:                             ;   in Loop: Header=BB6_138 Depth=3
	s_or_b64 exec, exec, s[26:27]
	v_lshrrev_b64 v[1:2], 21, v[1:2]
	v_cmp_gt_i32_e32 vcc, 32, v3
	v_cndmask_b32_e32 v2, 0, v2, vcc
	v_cndmask_b32_e32 v1, 3, v1, vcc
	v_cmp_eq_u64_e64 s[26:27], 0, v[1:2]
	v_min_i32_e32 v2, 31, v3
	v_lshlrev_b32_e32 v2, 2, v2
	v_cmp_eq_u32_e32 vcc, 0, v3
	v_and_b32_e32 v2, 0xfc, v2
	v_and_or_b32 v1, v1, 3, v2
	s_and_b64 s[26:27], vcc, s[26:27]
	v_cndmask_b32_e64 v1, v1, 0, s[26:27]
	v_or_b32_e32 v3, v1, v8
.LBB6_3636:                             ;   in Loop: Header=BB6_138 Depth=3
	s_or_b64 exec, exec, s[34:35]
                                        ; implicit-def: $vgpr8
.LBB6_3637:                             ;   in Loop: Header=BB6_138 Depth=3
	s_andn2_saveexec_b64 s[26:27], s[30:31]
; %bb.3638:                             ;   in Loop: Header=BB6_138 Depth=3
	v_or_b32_e32 v3, 0x7b, v8
; %bb.3639:                             ;   in Loop: Header=BB6_138 Depth=3
	s_or_b64 exec, exec, s[26:27]
                                        ; implicit-def: $vgpr9
                                        ; implicit-def: $vgpr1_vgpr2
.LBB6_3640:                             ;   in Loop: Header=BB6_138 Depth=3
	s_andn2_saveexec_b64 s[26:27], s[94:95]
	s_cbranch_execz .LBB6_3646
; %bb.3641:                             ;   in Loop: Header=BB6_138 Depth=3
	v_cmp_ne_u64_e32 vcc, 0, v[1:2]
                                        ; implicit-def: $vgpr3
	s_and_saveexec_b64 s[62:63], vcc
	s_xor_b64 s[94:95], exec, s[62:63]
; %bb.3642:                             ;   in Loop: Header=BB6_138 Depth=3
	v_or_b32_sdwa v3, v9, s44 dst_sel:DWORD dst_unused:UNUSED_PAD src0_sel:BYTE_3 src1_sel:DWORD
                                        ; implicit-def: $vgpr9
; %bb.3643:                             ;   in Loop: Header=BB6_138 Depth=3
	s_andn2_saveexec_b64 s[94:95], s[94:95]
; %bb.3644:                             ;   in Loop: Header=BB6_138 Depth=3
	v_cmp_lt_i32_e32 vcc, -1, v9
	v_bfrev_b32_e32 v1, 0.5
	v_mov_b32_e32 v2, 0x7c
	v_cndmask_b32_e32 v3, v1, v2, vcc
; %bb.3645:                             ;   in Loop: Header=BB6_138 Depth=3
	s_or_b64 exec, exec, s[94:95]
.LBB6_3646:                             ;   in Loop: Header=BB6_138 Depth=3
	s_or_b64 exec, exec, s[26:27]
	v_lshrrev_b16_e32 v1, 8, v0
	v_cmp_ne_u16_e32 vcc, 0, v1
	v_mov_b32_e32 v2, 0
	s_and_saveexec_b64 s[26:27], vcc
	s_cbranch_execz .LBB6_3654
; %bb.3647:                             ;   in Loop: Header=BB6_138 Depth=3
	v_cmp_ne_u16_e32 vcc, s97, v1
	v_bfrev_b32_e32 v2, 1
	s_and_saveexec_b64 s[94:95], vcc
	s_cbranch_execz .LBB6_3653
; %bb.3648:                             ;   in Loop: Header=BB6_138 Depth=3
	v_and_b32_e32 v2, 0x7c, v1
	v_and_b32_e32 v8, 3, v1
	v_cmp_ne_u32_e32 vcc, s86, v2
                                        ; implicit-def: $vgpr2
	s_and_saveexec_b64 s[62:63], vcc
	s_xor_b64 s[30:31], exec, s[62:63]
	s_cbranch_execz .LBB6_3650
; %bb.3649:                             ;   in Loop: Header=BB6_138 Depth=3
	v_ffbh_u32_e32 v9, v8
	v_min_u32_e32 v9, 32, v9
	v_mov_b32_e32 v2, v33
	v_subrev_u32_e32 v12, 29, v9
	v_bfe_u32 v4, v1, 2, 5
	v_lshlrev_b64 v[1:2], v12, v[1:2]
	v_sub_u32_e32 v2, 30, v9
	v_cmp_eq_u32_e32 vcc, 0, v4
	v_lshlrev_b32_e32 v0, 16, v0
	v_and_b32_e32 v1, 3, v1
	v_cndmask_b32_e32 v2, v4, v2, vcc
	v_and_b32_e32 v0, 0x80000000, v0
	v_cndmask_b32_e32 v1, v8, v1, vcc
	v_lshl_add_u32 v0, v2, 23, v0
	v_lshl_or_b32 v0, v1, 21, v0
	v_add_u32_e32 v2, 0x38000000, v0
                                        ; implicit-def: $vgpr8
                                        ; implicit-def: $vgpr0_vgpr1
.LBB6_3650:                             ;   in Loop: Header=BB6_138 Depth=3
	s_andn2_saveexec_b64 s[30:31], s[30:31]
; %bb.3651:                             ;   in Loop: Header=BB6_138 Depth=3
	v_cmp_lt_i16_e32 vcc, -1, v0
	v_mov_b32_e32 v0, 0xff800000
	v_mov_b32_e32 v1, 0x7f800000
	v_cndmask_b32_e32 v0, v0, v1, vcc
	v_cmp_eq_u32_e32 vcc, 0, v8
	v_mov_b32_e32 v1, 0x7f800001
	v_cndmask_b32_e32 v2, v1, v0, vcc
; %bb.3652:                             ;   in Loop: Header=BB6_138 Depth=3
	s_or_b64 exec, exec, s[30:31]
.LBB6_3653:                             ;   in Loop: Header=BB6_138 Depth=3
	s_or_b64 exec, exec, s[94:95]
.LBB6_3654:                             ;   in Loop: Header=BB6_138 Depth=3
	s_or_b64 exec, exec, s[26:27]
	v_mul_f32_e32 v2, v14, v2
	v_and_b32_e32 v8, 0x7f800000, v2
	v_mov_b32_e32 v9, v33
	v_cmp_ne_u64_e32 vcc, s[76:77], v[8:9]
	v_and_b32_e32 v0, 0x7fffff, v2
	v_mov_b32_e32 v1, v33
                                        ; implicit-def: $vgpr53
	s_and_saveexec_b64 s[26:27], vcc
	s_xor_b64 s[94:95], exec, s[26:27]
	s_cbranch_execz .LBB6_3668
; %bb.3655:                             ;   in Loop: Header=BB6_138 Depth=3
	v_and_b32_e32 v8, 0x7fffffff, v2
	v_mov_b32_e32 v9, v33
	v_cmp_gt_u64_e32 vcc, s[78:79], v[8:9]
	v_and_b32_sdwa v8, v2, s97 dst_sel:DWORD dst_unused:UNUSED_PAD src0_sel:BYTE_3 src1_sel:DWORD
                                        ; implicit-def: $vgpr53
	s_and_saveexec_b64 s[26:27], vcc
	s_xor_b64 s[30:31], exec, s[26:27]
	s_cbranch_execz .LBB6_3665
; %bb.3656:                             ;   in Loop: Header=BB6_138 Depth=3
	v_mov_b32_e32 v53, 0
	v_cmp_ne_u32_e32 vcc, 0, v2
	s_and_saveexec_b64 s[34:35], vcc
	s_cbranch_execz .LBB6_3664
; %bb.3657:                             ;   in Loop: Header=BB6_138 Depth=3
	v_bfe_u32 v9, v2, 23, 8
	v_cmp_gt_u32_e64 s[26:27], s47, v9
	v_sub_u32_e32 v2, 0x71, v9
	v_cmp_eq_u32_e32 vcc, 0, v9
	v_cndmask_b32_e64 v2, 0, v2, s[26:27]
	v_mov_b32_e32 v12, 0x70
	v_cndmask_b32_e32 v12, v2, v12, vcc
	v_add_u32_e32 v2, 21, v12
	v_or_b32_e32 v4, 0x800000, v0
	v_lshlrev_b64 v[53:54], v2, -1
	v_cndmask_b32_e32 v0, v4, v0, vcc
	v_add_u32_e32 v2, 20, v12
	v_mov_b32_e32 v13, v21
	v_bfi_b32 v53, v53, 0, v0
	v_lshlrev_b64 v[20:21], v2, 1
	v_lshrrev_b64 v[0:1], v12, v[0:1]
	v_bfi_b32 v54, v54, 0, 0
	v_cmp_eq_u64_e64 s[26:27], v[53:54], v[20:21]
	v_mov_b32_e32 v2, v1
	v_mov_b32_e32 v1, v0
	s_and_saveexec_b64 s[36:37], s[26:27]
; %bb.3658:                             ;   in Loop: Header=BB6_138 Depth=3
	v_bfe_u32 v1, v0, 21, 1
	v_add_co_u32_e64 v1, s[26:27], v0, v1
	v_add_co_u32_e64 v1, s[26:27], -1, v1
; %bb.3659:                             ;   in Loop: Header=BB6_138 Depth=3
	s_or_b64 exec, exec, s[36:37]
	v_add_u32_e32 v2, 0xffffff81, v9
	v_mov_b32_e32 v4, 0xffffff82
	v_cndmask_b32_e32 v2, v2, v4, vcc
	v_lshrrev_b32_e32 v4, 23, v0
	v_add3_u32 v12, v12, v2, v4
	v_add_u32_e32 v9, 14, v12
	v_and_b32_e32 v1, 0x1fffff, v1
	v_add_u32_e32 v0, v1, v0
	v_mov_b32_e32 v1, v33
	v_cmp_ne_u32_e32 vcc, 0, v9
                                        ; implicit-def: $vgpr2
	s_and_saveexec_b64 s[26:27], vcc
	s_xor_b64 s[26:27], exec, s[26:27]
; %bb.3660:                             ;   in Loop: Header=BB6_138 Depth=3
	v_cmp_lt_u64_e32 vcc, s[88:89], v[0:1]
	v_add_u32_e32 v2, 15, v12
	v_cndmask_b32_e64 v4, 0, 1, vcc
	v_lshrrev_b64 v[0:1], v4, v[0:1]
	v_cndmask_b32_e32 v2, v9, v2, vcc
; %bb.3661:                             ;   in Loop: Header=BB6_138 Depth=3
	s_or_saveexec_b64 s[26:27], s[26:27]
	v_mov_b32_e32 v21, v13
	s_xor_b64 exec, exec, s[26:27]
; %bb.3662:                             ;   in Loop: Header=BB6_138 Depth=3
	v_bfe_u32 v2, v0, 23, 1
; %bb.3663:                             ;   in Loop: Header=BB6_138 Depth=3
	s_or_b64 exec, exec, s[26:27]
	v_lshrrev_b64 v[0:1], 21, v[0:1]
	v_cmp_gt_i32_e32 vcc, 32, v2
	v_cndmask_b32_e32 v1, 0, v1, vcc
	v_cndmask_b32_e32 v0, 3, v0, vcc
	v_cmp_eq_u64_e64 s[26:27], 0, v[0:1]
	v_min_i32_e32 v1, 31, v2
	v_lshlrev_b32_e32 v1, 2, v1
	v_cmp_eq_u32_e32 vcc, 0, v2
	v_and_b32_e32 v1, 0xfc, v1
	v_and_or_b32 v0, v0, 3, v1
	s_and_b64 s[26:27], vcc, s[26:27]
	v_cndmask_b32_e64 v0, v0, 0, s[26:27]
	v_or_b32_e32 v53, v0, v8
.LBB6_3664:                             ;   in Loop: Header=BB6_138 Depth=3
	s_or_b64 exec, exec, s[34:35]
                                        ; implicit-def: $vgpr8
.LBB6_3665:                             ;   in Loop: Header=BB6_138 Depth=3
	s_andn2_saveexec_b64 s[26:27], s[30:31]
; %bb.3666:                             ;   in Loop: Header=BB6_138 Depth=3
	v_or_b32_e32 v53, 0x7b, v8
; %bb.3667:                             ;   in Loop: Header=BB6_138 Depth=3
	s_or_b64 exec, exec, s[26:27]
                                        ; implicit-def: $vgpr2
                                        ; implicit-def: $vgpr0_vgpr1
.LBB6_3668:                             ;   in Loop: Header=BB6_138 Depth=3
	s_andn2_saveexec_b64 s[26:27], s[94:95]
	s_cbranch_execz .LBB6_3674
; %bb.3669:                             ;   in Loop: Header=BB6_138 Depth=3
	v_cmp_ne_u64_e32 vcc, 0, v[0:1]
                                        ; implicit-def: $vgpr53
	s_and_saveexec_b64 s[62:63], vcc
	s_xor_b64 s[94:95], exec, s[62:63]
; %bb.3670:                             ;   in Loop: Header=BB6_138 Depth=3
	v_or_b32_sdwa v53, v2, s44 dst_sel:DWORD dst_unused:UNUSED_PAD src0_sel:BYTE_3 src1_sel:DWORD
                                        ; implicit-def: $vgpr2
; %bb.3671:                             ;   in Loop: Header=BB6_138 Depth=3
	s_andn2_saveexec_b64 s[94:95], s[94:95]
; %bb.3672:                             ;   in Loop: Header=BB6_138 Depth=3
	v_cmp_lt_i32_e32 vcc, -1, v2
	v_bfrev_b32_e32 v0, 0.5
	v_mov_b32_e32 v1, 0x7c
	v_cndmask_b32_e32 v53, v0, v1, vcc
; %bb.3673:                             ;   in Loop: Header=BB6_138 Depth=3
	s_or_b64 exec, exec, s[94:95]
.LBB6_3674:                             ;   in Loop: Header=BB6_138 Depth=3
	s_or_b64 exec, exec, s[26:27]
	v_lshrrev_b32_e32 v0, 16, v11
	v_cmp_ne_u16_sdwa s[62:63], v0, v33 src0_sel:BYTE_0 src1_sel:DWORD
	v_mov_b32_e32 v1, 0
	s_and_saveexec_b64 s[26:27], s[62:63]
	s_cbranch_execz .LBB6_3682
; %bb.3675:                             ;   in Loop: Header=BB6_138 Depth=3
	v_cmp_ne_u16_sdwa s[62:63], v0, s97 src0_sel:BYTE_0 src1_sel:DWORD
	v_bfrev_b32_e32 v1, 1
	s_and_saveexec_b64 s[94:95], s[62:63]
	s_cbranch_execz .LBB6_3681
; %bb.3676:                             ;   in Loop: Header=BB6_138 Depth=3
	v_and_b32_e32 v1, 0x7c0000, v11
	v_bfe_u32 v2, v11, 16, 2
	v_cmp_ne_u32_e32 vcc, s45, v1
                                        ; implicit-def: $vgpr1
	s_and_saveexec_b64 s[62:63], vcc
	s_xor_b64 s[30:31], exec, s[62:63]
	s_cbranch_execz .LBB6_3678
; %bb.3677:                             ;   in Loop: Header=BB6_138 Depth=3
	v_ffbh_u32_e32 v1, v2
	v_min_u32_e32 v8, 32, v1
	v_subrev_u32_e32 v1, 29, v8
	v_lshlrev_b64 v[0:1], v1, v[0:1]
	v_bfe_u32 v4, v11, 18, 5
	v_and_b32_e32 v0, 3, v0
	v_cmp_eq_u32_e32 vcc, 0, v4
	v_sub_u32_e32 v1, 30, v8
	v_cndmask_b32_e32 v0, v2, v0, vcc
	v_lshlrev_b32_e32 v2, 8, v11
	v_cndmask_b32_e32 v1, v4, v1, vcc
	v_and_b32_e32 v2, 0x80000000, v2
	v_lshl_add_u32 v1, v1, 23, v2
	v_lshl_or_b32 v0, v0, 21, v1
	v_add_u32_e32 v1, 0x38000000, v0
                                        ; implicit-def: $vgpr2
                                        ; implicit-def: $vgpr0
.LBB6_3678:                             ;   in Loop: Header=BB6_138 Depth=3
	s_andn2_saveexec_b64 s[30:31], s[30:31]
; %bb.3679:                             ;   in Loop: Header=BB6_138 Depth=3
	v_mov_b32_e32 v1, -1
	v_cmp_gt_i16_sdwa vcc, sext(v0), v1 src0_sel:BYTE_0 src1_sel:DWORD
	v_mov_b32_e32 v0, 0xff800000
	v_mov_b32_e32 v1, 0x7f800000
	v_cndmask_b32_e32 v0, v0, v1, vcc
	v_cmp_eq_u32_e32 vcc, 0, v2
	v_mov_b32_e32 v1, 0x7f800001
	v_cndmask_b32_e32 v1, v1, v0, vcc
; %bb.3680:                             ;   in Loop: Header=BB6_138 Depth=3
	s_or_b64 exec, exec, s[30:31]
.LBB6_3681:                             ;   in Loop: Header=BB6_138 Depth=3
	s_or_b64 exec, exec, s[94:95]
.LBB6_3682:                             ;   in Loop: Header=BB6_138 Depth=3
	s_or_b64 exec, exec, s[26:27]
	v_mul_f32_e32 v2, v14, v1
	v_and_b32_e32 v8, 0x7f800000, v2
	v_mov_b32_e32 v9, v33
	v_cmp_ne_u64_e32 vcc, s[76:77], v[8:9]
	v_and_b32_e32 v0, 0x7fffff, v2
	v_mov_b32_e32 v1, v33
                                        ; implicit-def: $vgpr54
	s_and_saveexec_b64 s[26:27], vcc
	s_xor_b64 s[94:95], exec, s[26:27]
	s_cbranch_execz .LBB6_3696
; %bb.3683:                             ;   in Loop: Header=BB6_138 Depth=3
	v_and_b32_e32 v8, 0x7fffffff, v2
	v_mov_b32_e32 v9, v33
	v_cmp_gt_u64_e32 vcc, s[78:79], v[8:9]
	v_and_b32_sdwa v8, v2, s97 dst_sel:DWORD dst_unused:UNUSED_PAD src0_sel:BYTE_3 src1_sel:DWORD
                                        ; implicit-def: $vgpr54
	s_and_saveexec_b64 s[26:27], vcc
	s_xor_b64 s[30:31], exec, s[26:27]
	s_cbranch_execz .LBB6_3693
; %bb.3684:                             ;   in Loop: Header=BB6_138 Depth=3
	v_mov_b32_e32 v54, 0
	v_cmp_ne_u32_e32 vcc, 0, v2
	s_and_saveexec_b64 s[34:35], vcc
	s_cbranch_execz .LBB6_3692
; %bb.3685:                             ;   in Loop: Header=BB6_138 Depth=3
	v_bfe_u32 v9, v2, 23, 8
	v_cmp_gt_u32_e64 s[26:27], s47, v9
	v_sub_u32_e32 v2, 0x71, v9
	v_cmp_eq_u32_e32 vcc, 0, v9
	v_cndmask_b32_e64 v2, 0, v2, s[26:27]
	v_mov_b32_e32 v12, 0x70
	v_cndmask_b32_e32 v12, v2, v12, vcc
	v_add_u32_e32 v2, 21, v12
	v_mov_b32_e32 v15, v21
	v_or_b32_e32 v4, 0x800000, v0
	v_lshlrev_b64 v[20:21], v2, -1
	v_cndmask_b32_e32 v0, v4, v0, vcc
	v_add_u32_e32 v2, 20, v12
	v_mov_b32_e32 v13, v55
	v_bfi_b32 v20, v20, 0, v0
	v_lshlrev_b64 v[54:55], v2, 1
	v_lshrrev_b64 v[0:1], v12, v[0:1]
	v_bfi_b32 v21, v21, 0, 0
	v_cmp_eq_u64_e64 s[26:27], v[20:21], v[54:55]
	v_mov_b32_e32 v2, v1
	v_mov_b32_e32 v1, v0
	s_and_saveexec_b64 s[36:37], s[26:27]
; %bb.3686:                             ;   in Loop: Header=BB6_138 Depth=3
	v_bfe_u32 v1, v0, 21, 1
	v_add_co_u32_e64 v1, s[26:27], v0, v1
	v_add_co_u32_e64 v1, s[26:27], -1, v1
; %bb.3687:                             ;   in Loop: Header=BB6_138 Depth=3
	s_or_b64 exec, exec, s[36:37]
	v_add_u32_e32 v2, 0xffffff81, v9
	v_mov_b32_e32 v4, 0xffffff82
	v_cndmask_b32_e32 v2, v2, v4, vcc
	v_lshrrev_b32_e32 v4, 23, v0
	v_add3_u32 v12, v12, v2, v4
	v_add_u32_e32 v9, 14, v12
	v_and_b32_e32 v1, 0x1fffff, v1
	v_add_u32_e32 v0, v1, v0
	v_mov_b32_e32 v1, v33
	v_cmp_ne_u32_e32 vcc, 0, v9
                                        ; implicit-def: $vgpr2
	s_and_saveexec_b64 s[26:27], vcc
	s_xor_b64 s[26:27], exec, s[26:27]
; %bb.3688:                             ;   in Loop: Header=BB6_138 Depth=3
	v_cmp_lt_u64_e32 vcc, s[88:89], v[0:1]
	v_add_u32_e32 v2, 15, v12
	v_cndmask_b32_e64 v4, 0, 1, vcc
	v_lshrrev_b64 v[0:1], v4, v[0:1]
	v_cndmask_b32_e32 v2, v9, v2, vcc
; %bb.3689:                             ;   in Loop: Header=BB6_138 Depth=3
	s_or_saveexec_b64 s[26:27], s[26:27]
	v_mov_b32_e32 v55, v13
	v_mov_b32_e32 v21, v15
	s_xor_b64 exec, exec, s[26:27]
; %bb.3690:                             ;   in Loop: Header=BB6_138 Depth=3
	v_bfe_u32 v2, v0, 23, 1
; %bb.3691:                             ;   in Loop: Header=BB6_138 Depth=3
	s_or_b64 exec, exec, s[26:27]
	v_lshrrev_b64 v[0:1], 21, v[0:1]
	v_cmp_gt_i32_e32 vcc, 32, v2
	v_cndmask_b32_e32 v1, 0, v1, vcc
	v_cndmask_b32_e32 v0, 3, v0, vcc
	v_cmp_eq_u64_e64 s[26:27], 0, v[0:1]
	v_min_i32_e32 v1, 31, v2
	v_lshlrev_b32_e32 v1, 2, v1
	v_cmp_eq_u32_e32 vcc, 0, v2
	v_and_b32_e32 v1, 0xfc, v1
	v_and_or_b32 v0, v0, 3, v1
	s_and_b64 s[26:27], vcc, s[26:27]
	v_cndmask_b32_e64 v0, v0, 0, s[26:27]
	v_or_b32_e32 v54, v0, v8
.LBB6_3692:                             ;   in Loop: Header=BB6_138 Depth=3
	s_or_b64 exec, exec, s[34:35]
                                        ; implicit-def: $vgpr8
.LBB6_3693:                             ;   in Loop: Header=BB6_138 Depth=3
	s_andn2_saveexec_b64 s[26:27], s[30:31]
; %bb.3694:                             ;   in Loop: Header=BB6_138 Depth=3
	v_or_b32_e32 v54, 0x7b, v8
; %bb.3695:                             ;   in Loop: Header=BB6_138 Depth=3
	s_or_b64 exec, exec, s[26:27]
                                        ; implicit-def: $vgpr2
                                        ; implicit-def: $vgpr0_vgpr1
.LBB6_3696:                             ;   in Loop: Header=BB6_138 Depth=3
	s_andn2_saveexec_b64 s[26:27], s[94:95]
	s_cbranch_execz .LBB6_3702
; %bb.3697:                             ;   in Loop: Header=BB6_138 Depth=3
	v_cmp_ne_u64_e32 vcc, 0, v[0:1]
                                        ; implicit-def: $vgpr54
	s_and_saveexec_b64 s[62:63], vcc
	s_xor_b64 s[94:95], exec, s[62:63]
; %bb.3698:                             ;   in Loop: Header=BB6_138 Depth=3
	v_or_b32_sdwa v54, v2, s44 dst_sel:DWORD dst_unused:UNUSED_PAD src0_sel:BYTE_3 src1_sel:DWORD
                                        ; implicit-def: $vgpr2
; %bb.3699:                             ;   in Loop: Header=BB6_138 Depth=3
	s_andn2_saveexec_b64 s[94:95], s[94:95]
; %bb.3700:                             ;   in Loop: Header=BB6_138 Depth=3
	v_cmp_lt_i32_e32 vcc, -1, v2
	v_bfrev_b32_e32 v0, 0.5
	v_mov_b32_e32 v1, 0x7c
	v_cndmask_b32_e32 v54, v0, v1, vcc
; %bb.3701:                             ;   in Loop: Header=BB6_138 Depth=3
	s_or_b64 exec, exec, s[94:95]
.LBB6_3702:                             ;   in Loop: Header=BB6_138 Depth=3
	s_or_b64 exec, exec, s[26:27]
	v_cmp_lt_u64_e32 vcc, s[56:57], v[10:11]
	v_mov_b32_e32 v1, 0
	s_and_saveexec_b64 s[26:27], vcc
	s_cbranch_execz .LBB6_3710
; %bb.3703:                             ;   in Loop: Header=BB6_138 Depth=3
	v_lshrrev_b32_e32 v0, 24, v11
	v_cmp_ne_u32_e32 vcc, s97, v0
	v_bfrev_b32_e32 v1, 1
	s_and_saveexec_b64 s[94:95], vcc
	s_cbranch_execz .LBB6_3709
; %bb.3704:                             ;   in Loop: Header=BB6_138 Depth=3
	v_and_b32_e32 v1, 0x7c000000, v11
	v_bfe_u32 v2, v11, 24, 2
	v_cmp_ne_u32_e32 vcc, s68, v1
                                        ; implicit-def: $vgpr1
	s_and_saveexec_b64 s[62:63], vcc
	s_xor_b64 s[30:31], exec, s[62:63]
	s_cbranch_execz .LBB6_3706
; %bb.3705:                             ;   in Loop: Header=BB6_138 Depth=3
	v_ffbh_u32_e32 v1, v2
	v_min_u32_e32 v8, 32, v1
	v_subrev_u32_e32 v1, 29, v8
	v_lshlrev_b64 v[0:1], v1, v[0:1]
	v_bfe_u32 v4, v11, 26, 5
	v_sub_u32_e32 v1, 30, v8
	v_and_b32_e32 v0, 3, v0
	v_cmp_eq_u32_e32 vcc, 0, v4
	v_cndmask_b32_e32 v1, v4, v1, vcc
	v_cndmask_b32_e32 v0, v2, v0, vcc
	v_and_b32_e32 v2, 0x80000000, v11
	v_lshl_add_u32 v1, v1, 23, v2
	v_lshl_or_b32 v0, v0, 21, v1
	v_add_u32_e32 v1, 0x38000000, v0
                                        ; implicit-def: $vgpr2
                                        ; implicit-def: $vgpr10_vgpr11
.LBB6_3706:                             ;   in Loop: Header=BB6_138 Depth=3
	s_andn2_saveexec_b64 s[30:31], s[30:31]
; %bb.3707:                             ;   in Loop: Header=BB6_138 Depth=3
	v_cmp_lt_i64_e32 vcc, -1, v[10:11]
	v_mov_b32_e32 v0, 0xff800000
	v_mov_b32_e32 v1, 0x7f800000
	v_cndmask_b32_e32 v0, v0, v1, vcc
	v_cmp_eq_u32_e32 vcc, 0, v2
	v_mov_b32_e32 v1, 0x7f800001
	v_cndmask_b32_e32 v1, v1, v0, vcc
; %bb.3708:                             ;   in Loop: Header=BB6_138 Depth=3
	s_or_b64 exec, exec, s[30:31]
.LBB6_3709:                             ;   in Loop: Header=BB6_138 Depth=3
	s_or_b64 exec, exec, s[94:95]
.LBB6_3710:                             ;   in Loop: Header=BB6_138 Depth=3
	s_or_b64 exec, exec, s[26:27]
	v_mul_f32_e32 v9, v14, v1
	v_and_b32_e32 v1, 0x7f800000, v9
	v_mov_b32_e32 v2, v33
	v_cmp_ne_u64_e32 vcc, s[76:77], v[1:2]
	v_and_b32_e32 v0, 0x7fffff, v9
	v_mov_b32_e32 v1, v33
                                        ; implicit-def: $vgpr2
	s_and_saveexec_b64 s[26:27], vcc
	s_xor_b64 s[94:95], exec, s[26:27]
	s_cbranch_execz .LBB6_3724
; %bb.3711:                             ;   in Loop: Header=BB6_138 Depth=3
	v_and_b32_e32 v10, 0x7fffffff, v9
	v_mov_b32_e32 v11, v33
	v_cmp_gt_u64_e32 vcc, s[78:79], v[10:11]
	v_and_b32_sdwa v8, v9, s97 dst_sel:DWORD dst_unused:UNUSED_PAD src0_sel:BYTE_3 src1_sel:DWORD
                                        ; implicit-def: $vgpr2
	s_and_saveexec_b64 s[26:27], vcc
	s_xor_b64 s[30:31], exec, s[26:27]
	s_cbranch_execz .LBB6_3721
; %bb.3712:                             ;   in Loop: Header=BB6_138 Depth=3
	v_mov_b32_e32 v2, 0
	v_cmp_ne_u32_e32 vcc, 0, v9
	s_and_saveexec_b64 s[34:35], vcc
	s_cbranch_execz .LBB6_3720
; %bb.3713:                             ;   in Loop: Header=BB6_138 Depth=3
	v_bfe_u32 v9, v9, 23, 8
	v_cmp_gt_u32_e64 s[26:27], s47, v9
	v_sub_u32_e32 v2, 0x71, v9
	v_cmp_eq_u32_e32 vcc, 0, v9
	v_cndmask_b32_e64 v2, 0, v2, s[26:27]
	v_mov_b32_e32 v10, 0x70
	v_cndmask_b32_e32 v10, v2, v10, vcc
	v_add_u32_e32 v2, 21, v10
	v_or_b32_e32 v4, 0x800000, v0
	v_lshlrev_b64 v[11:12], v2, -1
	v_cndmask_b32_e32 v0, v4, v0, vcc
	v_add_u32_e32 v2, 20, v10
	v_bfi_b32 v11, v11, 0, v0
	v_lshlrev_b64 v[13:14], v2, 1
	v_lshrrev_b64 v[0:1], v10, v[0:1]
	v_bfi_b32 v12, v12, 0, 0
	v_cmp_eq_u64_e64 s[26:27], v[11:12], v[13:14]
	v_mov_b32_e32 v2, v1
	v_mov_b32_e32 v1, v0
	s_and_saveexec_b64 s[36:37], s[26:27]
; %bb.3714:                             ;   in Loop: Header=BB6_138 Depth=3
	v_bfe_u32 v1, v0, 21, 1
	v_add_co_u32_e64 v1, s[26:27], v0, v1
	v_add_co_u32_e64 v1, s[26:27], -1, v1
; %bb.3715:                             ;   in Loop: Header=BB6_138 Depth=3
	s_or_b64 exec, exec, s[36:37]
	v_add_u32_e32 v2, 0xffffff81, v9
	v_mov_b32_e32 v4, 0xffffff82
	v_cndmask_b32_e32 v2, v2, v4, vcc
	v_lshrrev_b32_e32 v4, 23, v0
	v_add3_u32 v10, v10, v2, v4
	v_add_u32_e32 v9, 14, v10
	v_and_b32_e32 v1, 0x1fffff, v1
	v_add_u32_e32 v0, v1, v0
	v_mov_b32_e32 v1, v33
	v_cmp_ne_u32_e32 vcc, 0, v9
                                        ; implicit-def: $vgpr2
	s_and_saveexec_b64 s[26:27], vcc
	s_xor_b64 s[26:27], exec, s[26:27]
; %bb.3716:                             ;   in Loop: Header=BB6_138 Depth=3
	v_cmp_lt_u64_e32 vcc, s[88:89], v[0:1]
	v_add_u32_e32 v2, 15, v10
	v_cndmask_b32_e64 v4, 0, 1, vcc
	v_lshrrev_b64 v[0:1], v4, v[0:1]
	v_cndmask_b32_e32 v2, v9, v2, vcc
; %bb.3717:                             ;   in Loop: Header=BB6_138 Depth=3
	s_andn2_saveexec_b64 s[26:27], s[26:27]
; %bb.3718:                             ;   in Loop: Header=BB6_138 Depth=3
	v_bfe_u32 v2, v0, 23, 1
; %bb.3719:                             ;   in Loop: Header=BB6_138 Depth=3
	s_or_b64 exec, exec, s[26:27]
	v_lshrrev_b64 v[0:1], 21, v[0:1]
	v_cmp_gt_i32_e32 vcc, 32, v2
	v_cndmask_b32_e32 v1, 0, v1, vcc
	v_cndmask_b32_e32 v0, 3, v0, vcc
	v_cmp_eq_u64_e64 s[26:27], 0, v[0:1]
	v_min_i32_e32 v1, 31, v2
	v_lshlrev_b32_e32 v1, 2, v1
	v_cmp_eq_u32_e32 vcc, 0, v2
	v_and_b32_e32 v1, 0xfc, v1
	v_and_or_b32 v0, v0, 3, v1
	s_and_b64 s[26:27], vcc, s[26:27]
	v_cndmask_b32_e64 v0, v0, 0, s[26:27]
	v_or_b32_e32 v2, v0, v8
.LBB6_3720:                             ;   in Loop: Header=BB6_138 Depth=3
	s_or_b64 exec, exec, s[34:35]
                                        ; implicit-def: $vgpr8
.LBB6_3721:                             ;   in Loop: Header=BB6_138 Depth=3
	s_andn2_saveexec_b64 s[26:27], s[30:31]
; %bb.3722:                             ;   in Loop: Header=BB6_138 Depth=3
	v_or_b32_e32 v2, 0x7b, v8
; %bb.3723:                             ;   in Loop: Header=BB6_138 Depth=3
	s_or_b64 exec, exec, s[26:27]
                                        ; implicit-def: $vgpr9
                                        ; implicit-def: $vgpr0_vgpr1
.LBB6_3724:                             ;   in Loop: Header=BB6_138 Depth=3
	s_andn2_saveexec_b64 s[26:27], s[94:95]
	s_cbranch_execz .LBB6_137
; %bb.3725:                             ;   in Loop: Header=BB6_138 Depth=3
	v_cmp_ne_u64_e32 vcc, 0, v[0:1]
                                        ; implicit-def: $vgpr2
	s_and_saveexec_b64 s[62:63], vcc
	s_xor_b64 s[94:95], exec, s[62:63]
; %bb.3726:                             ;   in Loop: Header=BB6_138 Depth=3
	v_or_b32_sdwa v2, v9, s44 dst_sel:DWORD dst_unused:UNUSED_PAD src0_sel:BYTE_3 src1_sel:DWORD
                                        ; implicit-def: $vgpr9
; %bb.3727:                             ;   in Loop: Header=BB6_138 Depth=3
	s_andn2_saveexec_b64 s[94:95], s[94:95]
	s_cbranch_execz .LBB6_136
; %bb.3728:                             ;   in Loop: Header=BB6_138 Depth=3
	v_cmp_lt_i32_e32 vcc, -1, v9
	v_bfrev_b32_e32 v0, 0.5
	v_mov_b32_e32 v1, 0x7c
	v_cndmask_b32_e32 v2, v0, v1, vcc
	s_branch .LBB6_136
.LBB6_3729:                             ;   in Loop: Header=BB6_57 Depth=2
	s_or_b64 exec, exec, s[28:29]
	buffer_load_dword v1, off, s[0:3], s33 offset:748 ; 4-byte Folded Reload
.LBB6_3730:                             ;   in Loop: Header=BB6_57 Depth=2
	s_or_b64 exec, exec, s[40:41]
	buffer_load_dword v0, off, s[0:3], s33 offset:724 ; 4-byte Folded Reload
	s_waitcnt vmcnt(1)
	v_lshlrev_b32_e32 v12, 13, v1
	s_mov_b64 s[26:27], 0
	v_mov_b32_e32 v5, 0
                                        ; implicit-def: $vgpr6
                                        ; implicit-def: $vgpr7
	s_waitcnt vmcnt(0)
	v_cmp_ne_u32_e32 vcc, v0, v12
	s_and_saveexec_b64 s[94:95], vcc
	s_cbranch_execz .LBB6_4192
; %bb.3731:                             ;   in Loop: Header=BB6_57 Depth=2
	buffer_load_dword v0, off, s[0:3], s33 offset:724 ; 4-byte Folded Reload
	buffer_load_dword v2, off, s[0:3], s33 offset:688 ; 4-byte Folded Reload
	s_waitcnt vmcnt(1)
	v_sub_u32_e32 v1, v0, v12
	v_lshlrev_b32_e32 v0, 6, v55
	s_waitcnt vmcnt(0)
	v_sub_u32_e32 v0, v2, v0
	v_ashrrev_i32_e32 v2, 31, v0
	v_lshrrev_b32_e32 v2, 26, v2
	v_add_u32_e32 v2, v0, v2
	v_ashrrev_i32_e32 v3, 6, v2
	v_and_b32_e32 v2, 0xffffffc0, v2
	v_sub_u32_e32 v4, v0, v2
	v_ashrrev_i32_e32 v2, 31, v1
	v_lshrrev_b32_e32 v2, 22, v2
	v_add_u32_e32 v2, v1, v2
	v_and_b32_e32 v5, 0xfffffc00, v2
	v_lshlrev_b32_e32 v0, 4, v4
	v_sub_u32_e32 v6, v1, v5
	v_lshl_add_u32 v0, v3, 10, v0
	v_ashrrev_i32_e32 v7, 10, v2
	v_cmp_lt_i32_e64 s[26:27], 15, v6
	v_sub_u32_e32 v13, v1, v0
	v_addc_co_u32_e64 v1, vcc, 0, v7, s[26:27]
	v_sub_u32_e32 v7, v1, v3
	v_cmp_lt_i32_e32 vcc, 15, v13
	s_and_saveexec_b64 s[30:31], vcc
	s_cbranch_execz .LBB6_4191
; %bb.3732:                             ;   in Loop: Header=BB6_57 Depth=2
	s_trap 2
	ds_read_b64 v[1:2], v0
	v_add_u32_e32 v14, v0, v12
	v_ashrrev_i32_e32 v15, 31, v14
	s_waitcnt lgkmcnt(0)
	v_readfirstlane_b32 s40, v1
	s_bfe_i32 s62, s40, 0x80000
	s_and_b32 s41, s40, 3
	s_bfe_u32 s28, s40, 0x50002
	s_and_b32 s29, s40, 0x7c
	s_cmpk_eq_i32 s29, 0x7c
	s_flbit_i32_b32 s29, s41
	s_cselect_b64 vcc, -1, 0
	s_min_u32 s29, s29, 32
	s_sub_i32 s63, s29, 29
	v_lshlrev_b64 v[0:1], s63, v[1:2]
	s_sub_i32 s29, 30, s29
	s_cmp_eq_u32 s28, 0
	v_and_b32_e32 v0, 3, v0
	s_cselect_b32 s63, s29, s28
	v_mov_b32_e32 v1, s41
	s_cselect_b64 s[28:29], -1, 0
	v_cndmask_b32_e64 v0, v1, v0, s[28:29]
	s_lshl_b32 s28, s40, 24
	s_and_b32 s28, s28, 0x80000000
	s_lshl_b32 s29, s63, 23
	s_add_i32 s29, s29, s28
	v_lshlrev_b32_e32 v0, 21, v0
	s_cmp_eq_u32 s41, 0
	s_sext_i32_i8 s40, s40
	v_or_b32_e32 v0, s29, v0
	s_cselect_b64 s[28:29], -1, 0
	s_cmp_gt_i32 s40, -1
	s_cselect_b64 s[40:41], -1, 0
	v_mov_b32_e32 v1, 0xff800000
	v_mov_b32_e32 v2, 0x7f800000
	v_cndmask_b32_e64 v1, v1, v2, s[40:41]
	v_mov_b32_e32 v2, 0x7f800001
	v_add_u32_e32 v0, 0x38000000, v0
	v_cndmask_b32_e64 v1, v2, v1, s[28:29]
	v_cndmask_b32_e32 v16, v0, v1, vcc
	s_mov_b64 s[40:41], 0
	s_and_b32 s50, s62, 0xff
	s_branch .LBB6_3735
.LBB6_3733:                             ;   in Loop: Header=BB6_3735 Depth=3
	s_or_b64 exec, exec, s[34:35]
.LBB6_3734:                             ;   in Loop: Header=BB6_3735 Depth=3
	s_or_b64 exec, exec, s[28:29]
	v_lshl_or_b32 v10, v23, 8, v22
	v_lshlrev_b32_e32 v11, 16, v24
	v_lshlrev_b32_e32 v8, 24, v8
	v_or3_b32 v18, v10, v11, v8
	v_lshl_or_b32 v8, v19, 8, v17
	v_lshlrev_b32_e32 v10, 16, v20
	v_lshlrev_b32_e32 v11, 24, v21
	v_or3_b32 v17, v8, v10, v11
	v_lshl_or_b32 v8, v25, 8, v9
	v_lshlrev_b32_e32 v9, 16, v26
	v_lshlrev_b32_e32 v10, 24, v27
	v_add_co_u32_e32 v0, vcc, v58, v14
	v_or3_b32 v19, v8, v9, v10
	v_lshlrev_b32_e32 v2, 24, v2
	v_lshlrev_b32_e32 v8, 16, v29
	v_lshl_or_b32 v3, v28, 8, v3
	v_addc_co_u32_e32 v1, vcc, v59, v15, vcc
	v_or3_b32 v20, v3, v8, v2
	global_store_dwordx4 v[0:1], v[17:20], off glc slc
	buffer_load_dword v1, off, s[0:3], s33 offset:444 ; 4-byte Folded Reload
	s_nop 0
	buffer_load_dword v0, off, s[0:3], s33 offset:284 ; 4-byte Folded Reload
	s_waitcnt vmcnt(1)
	v_sub_u32_e32 v13, v13, v1
	v_cmp_gt_i32_e32 vcc, 16, v13
	s_or_b64 s[40:41], vcc, s[40:41]
	v_add_co_u32_e32 v14, vcc, v14, v1
	s_waitcnt vmcnt(0)
	v_sub_u32_e32 v7, v7, v0
	v_addc_co_u32_e32 v15, vcc, 0, v15, vcc
	s_andn2_b64 exec, exec, s[40:41]
	s_cbranch_execz .LBB6_4190
.LBB6_3735:                             ;   Parent Loop BB6_47 Depth=1
                                        ;     Parent Loop BB6_57 Depth=2
                                        ; =>    This Inner Loop Header: Depth=3
	s_cmpk_lt_i32 s50, 0x80
	s_cbranch_scc1 .LBB6_3739
; %bb.3736:                             ;   in Loop: Header=BB6_3735 Depth=3
	s_and_b32 s62, 0xffff, s50
	s_mov_b64 s[28:29], -1
	s_cmpk_eq_i32 s62, 0x80
	s_cbranch_scc0 .LBB6_3738
; %bb.3737:                             ;   in Loop: Header=BB6_3735 Depth=3
	s_mov_b64 s[28:29], 0
.LBB6_3738:                             ;   in Loop: Header=BB6_3735 Depth=3
	s_brev_b32 s62, 1
	s_branch .LBB6_3741
.LBB6_3739:                             ;   in Loop: Header=BB6_3735 Depth=3
	s_mov_b64 s[28:29], 0
	s_brev_b32 s62, 1
	s_cbranch_execz .LBB6_3741
; %bb.3740:                             ;   in Loop: Header=BB6_3735 Depth=3
	s_and_b32 s28, 0xffff, s50
	s_cmp_lg_u32 s28, 0
	s_mov_b32 s62, 0
	s_cselect_b64 s[28:29], -1, 0
.LBB6_3741:                             ;   in Loop: Header=BB6_3735 Depth=3
	s_andn2_b64 vcc, exec, s[28:29]
	v_mov_b32_e32 v18, s62
	s_cbranch_vccnz .LBB6_3743
; %bb.3742:                             ;   in Loop: Header=BB6_3735 Depth=3
	v_mov_b32_e32 v18, v16
.LBB6_3743:                             ;   in Loop: Header=BB6_3735 Depth=3
	v_add_co_u32_e32 v0, vcc, v56, v14
	v_addc_co_u32_e32 v1, vcc, v57, v15, vcc
	global_load_dwordx4 v[8:11], v[0:1], off glc slc
	v_mov_b32_e32 v0, 0
	s_waitcnt vmcnt(0)
	v_cmp_ne_u16_sdwa s[62:63], v8, v33 src0_sel:BYTE_0 src1_sel:DWORD
	s_and_saveexec_b64 s[28:29], s[62:63]
	s_cbranch_execz .LBB6_3751
; %bb.3744:                             ;   in Loop: Header=BB6_3735 Depth=3
	v_cmp_ne_u16_sdwa s[62:63], sext(v8), s46 src0_sel:BYTE_0 src1_sel:DWORD
	v_bfrev_b32_e32 v0, 1
	s_and_saveexec_b64 s[34:35], s[62:63]
	s_cbranch_execz .LBB6_3750
; %bb.3745:                             ;   in Loop: Header=BB6_3735 Depth=3
	v_and_b32_e32 v0, 0x7c, v8
	v_and_b32_e32 v1, 3, v8
	v_cmp_ne_u32_e32 vcc, s86, v0
                                        ; implicit-def: $vgpr0
	s_and_saveexec_b64 s[62:63], vcc
	s_xor_b64 s[36:37], exec, s[62:63]
	s_cbranch_execz .LBB6_3747
; %bb.3746:                             ;   in Loop: Header=BB6_3735 Depth=3
	v_ffbh_u32_e32 v2, v1
	v_min_u32_e32 v17, 32, v2
	v_subrev_u32_e32 v2, 29, v17
	v_lshlrev_b64 v[2:3], v2, v[8:9]
	v_bfe_u32 v0, v8, 2, 5
	v_and_b32_e32 v2, 3, v2
	v_cmp_eq_u32_e32 vcc, 0, v0
	v_sub_u32_e32 v3, 30, v17
	v_cndmask_b32_e32 v1, v1, v2, vcc
	v_lshlrev_b32_e32 v2, 24, v8
	v_cndmask_b32_e32 v0, v0, v3, vcc
	v_and_b32_e32 v2, 0x80000000, v2
	v_lshl_add_u32 v0, v0, 23, v2
	v_lshl_or_b32 v0, v1, 21, v0
	v_add_u32_e32 v0, 0x38000000, v0
                                        ; implicit-def: $vgpr1
.LBB6_3747:                             ;   in Loop: Header=BB6_3735 Depth=3
	s_andn2_saveexec_b64 s[36:37], s[36:37]
; %bb.3748:                             ;   in Loop: Header=BB6_3735 Depth=3
	v_mov_b32_e32 v0, -1
	v_cmp_gt_i16_sdwa vcc, sext(v8), v0 src0_sel:BYTE_0 src1_sel:DWORD
	v_mov_b32_e32 v0, 0xff800000
	v_mov_b32_e32 v2, 0x7f800000
	v_cndmask_b32_e32 v0, v0, v2, vcc
	v_cmp_eq_u32_e32 vcc, 0, v1
	v_mov_b32_e32 v1, 0x7f800001
	v_cndmask_b32_e32 v0, v1, v0, vcc
; %bb.3749:                             ;   in Loop: Header=BB6_3735 Depth=3
	s_or_b64 exec, exec, s[36:37]
.LBB6_3750:                             ;   in Loop: Header=BB6_3735 Depth=3
	s_or_b64 exec, exec, s[34:35]
.LBB6_3751:                             ;   in Loop: Header=BB6_3735 Depth=3
	s_or_b64 exec, exec, s[28:29]
	v_mul_f32_e32 v2, v18, v0
	v_and_b32_e32 v19, 0x7f800000, v2
	v_mov_b32_e32 v20, v33
	v_cmp_ne_u64_e32 vcc, s[76:77], v[19:20]
	v_and_b32_e32 v0, 0x7fffff, v2
	v_mov_b32_e32 v1, v33
                                        ; implicit-def: $vgpr17
	s_and_saveexec_b64 s[28:29], vcc
	s_xor_b64 s[34:35], exec, s[28:29]
	s_cbranch_execz .LBB6_3765
; %bb.3752:                             ;   in Loop: Header=BB6_3735 Depth=3
	v_and_b32_e32 v19, 0x7fffffff, v2
	v_mov_b32_e32 v20, v33
	v_cmp_gt_u64_e32 vcc, s[78:79], v[19:20]
	v_and_b32_sdwa v3, v2, s97 dst_sel:DWORD dst_unused:UNUSED_PAD src0_sel:BYTE_3 src1_sel:DWORD
                                        ; implicit-def: $vgpr17
	s_and_saveexec_b64 s[28:29], vcc
	s_xor_b64 s[36:37], exec, s[28:29]
	s_cbranch_execz .LBB6_3762
; %bb.3753:                             ;   in Loop: Header=BB6_3735 Depth=3
	v_mov_b32_e32 v17, 0
	v_cmp_ne_u32_e32 vcc, 0, v2
	s_and_saveexec_b64 s[38:39], vcc
	s_cbranch_execz .LBB6_3761
; %bb.3754:                             ;   in Loop: Header=BB6_3735 Depth=3
	v_bfe_u32 v17, v2, 23, 8
	v_cmp_gt_u32_e64 s[28:29], s47, v17
	v_sub_u32_e32 v2, 0x71, v17
	v_cmp_eq_u32_e32 vcc, 0, v17
	v_cndmask_b32_e64 v2, 0, v2, s[28:29]
	v_mov_b32_e32 v19, 0x70
	v_cndmask_b32_e32 v19, v2, v19, vcc
	v_or_b32_e32 v20, 0x800000, v0
	v_add_u32_e32 v2, 21, v19
	v_cndmask_b32_e32 v0, v20, v0, vcc
	v_lshlrev_b64 v[20:21], v2, -1
	v_add_u32_e32 v2, 20, v19
	v_bfi_b32 v20, v20, 0, v0
	v_lshlrev_b64 v[22:23], v2, 1
	v_lshrrev_b64 v[0:1], v19, v[0:1]
	v_bfi_b32 v21, v21, 0, 0
	v_cmp_eq_u64_e64 s[28:29], v[20:21], v[22:23]
	v_mov_b32_e32 v2, v1
	v_mov_b32_e32 v1, v0
	s_and_saveexec_b64 s[48:49], s[28:29]
; %bb.3755:                             ;   in Loop: Header=BB6_3735 Depth=3
	v_bfe_u32 v1, v0, 21, 1
	v_add_co_u32_e64 v1, s[28:29], v0, v1
	v_add_co_u32_e64 v1, s[28:29], -1, v1
; %bb.3756:                             ;   in Loop: Header=BB6_3735 Depth=3
	s_or_b64 exec, exec, s[48:49]
	v_add_u32_e32 v2, 0xffffff81, v17
	v_mov_b32_e32 v17, 0xffffff82
	v_cndmask_b32_e32 v2, v2, v17, vcc
	v_lshrrev_b32_e32 v17, 23, v0
	v_add3_u32 v19, v19, v2, v17
	v_add_u32_e32 v17, 14, v19
	v_and_b32_e32 v1, 0x1fffff, v1
	v_add_u32_e32 v0, v1, v0
	v_mov_b32_e32 v1, v33
	v_cmp_ne_u32_e32 vcc, 0, v17
                                        ; implicit-def: $vgpr2
	s_and_saveexec_b64 s[28:29], vcc
	s_xor_b64 s[28:29], exec, s[28:29]
; %bb.3757:                             ;   in Loop: Header=BB6_3735 Depth=3
	v_cmp_lt_u64_e32 vcc, s[88:89], v[0:1]
	v_add_u32_e32 v2, 15, v19
	v_cndmask_b32_e32 v2, v17, v2, vcc
	v_cndmask_b32_e64 v17, 0, 1, vcc
	v_lshrrev_b64 v[0:1], v17, v[0:1]
; %bb.3758:                             ;   in Loop: Header=BB6_3735 Depth=3
	s_andn2_saveexec_b64 s[28:29], s[28:29]
; %bb.3759:                             ;   in Loop: Header=BB6_3735 Depth=3
	v_bfe_u32 v2, v0, 23, 1
; %bb.3760:                             ;   in Loop: Header=BB6_3735 Depth=3
	s_or_b64 exec, exec, s[28:29]
	v_lshrrev_b64 v[0:1], 21, v[0:1]
	v_cmp_gt_i32_e32 vcc, 32, v2
	v_cndmask_b32_e32 v1, 0, v1, vcc
	v_cndmask_b32_e32 v0, 3, v0, vcc
	v_cmp_eq_u64_e64 s[28:29], 0, v[0:1]
	v_min_i32_e32 v1, 31, v2
	v_lshlrev_b32_e32 v1, 2, v1
	v_cmp_eq_u32_e32 vcc, 0, v2
	v_and_b32_e32 v1, 0xfc, v1
	v_and_or_b32 v0, v0, 3, v1
	s_and_b64 s[28:29], vcc, s[28:29]
	v_cndmask_b32_e64 v0, v0, 0, s[28:29]
	v_or_b32_e32 v17, v0, v3
.LBB6_3761:                             ;   in Loop: Header=BB6_3735 Depth=3
	s_or_b64 exec, exec, s[38:39]
                                        ; implicit-def: $vgpr3
.LBB6_3762:                             ;   in Loop: Header=BB6_3735 Depth=3
	s_andn2_saveexec_b64 s[28:29], s[36:37]
; %bb.3763:                             ;   in Loop: Header=BB6_3735 Depth=3
	v_or_b32_e32 v17, 0x7b, v3
; %bb.3764:                             ;   in Loop: Header=BB6_3735 Depth=3
	s_or_b64 exec, exec, s[28:29]
                                        ; implicit-def: $vgpr2
                                        ; implicit-def: $vgpr0_vgpr1
.LBB6_3765:                             ;   in Loop: Header=BB6_3735 Depth=3
	s_andn2_saveexec_b64 s[28:29], s[34:35]
	s_cbranch_execz .LBB6_3771
; %bb.3766:                             ;   in Loop: Header=BB6_3735 Depth=3
	v_cmp_ne_u64_e32 vcc, 0, v[0:1]
                                        ; implicit-def: $vgpr17
	s_and_saveexec_b64 s[62:63], vcc
	s_xor_b64 vcc, exec, s[62:63]
; %bb.3767:                             ;   in Loop: Header=BB6_3735 Depth=3
	v_or_b32_sdwa v17, v2, s44 dst_sel:DWORD dst_unused:UNUSED_PAD src0_sel:BYTE_3 src1_sel:DWORD
                                        ; implicit-def: $vgpr2
; %bb.3768:                             ;   in Loop: Header=BB6_3735 Depth=3
	s_andn2_saveexec_b64 s[34:35], vcc
; %bb.3769:                             ;   in Loop: Header=BB6_3735 Depth=3
	v_cmp_lt_i32_e32 vcc, -1, v2
	v_bfrev_b32_e32 v0, 0.5
	v_mov_b32_e32 v1, 0x7c
	v_cndmask_b32_e32 v17, v0, v1, vcc
; %bb.3770:                             ;   in Loop: Header=BB6_3735 Depth=3
	s_or_b64 exec, exec, s[34:35]
.LBB6_3771:                             ;   in Loop: Header=BB6_3735 Depth=3
	s_or_b64 exec, exec, s[28:29]
	v_lshrrev_b16_e32 v0, 8, v8
	v_cmp_ne_u16_e32 vcc, 0, v0
	v_mov_b32_e32 v1, 0
	s_and_saveexec_b64 s[28:29], vcc
	s_cbranch_execz .LBB6_3779
; %bb.3772:                             ;   in Loop: Header=BB6_3735 Depth=3
	v_cmp_ne_u16_e32 vcc, s97, v0
	v_bfrev_b32_e32 v1, 1
	s_and_saveexec_b64 s[34:35], vcc
	s_cbranch_execz .LBB6_3778
; %bb.3773:                             ;   in Loop: Header=BB6_3735 Depth=3
	v_and_b32_e32 v1, 0x7c, v0
	v_and_b32_e32 v2, 3, v0
	v_cmp_ne_u32_e32 vcc, s86, v1
                                        ; implicit-def: $vgpr1
	s_and_saveexec_b64 s[62:63], vcc
	s_xor_b64 s[36:37], exec, s[62:63]
	s_cbranch_execz .LBB6_3775
; %bb.3774:                             ;   in Loop: Header=BB6_3735 Depth=3
	v_ffbh_u32_e32 v19, v2
	v_min_u32_e32 v19, 32, v19
	v_mov_b32_e32 v1, v33
	v_subrev_u32_e32 v20, 29, v19
	v_bfe_u32 v3, v0, 2, 5
	v_lshlrev_b64 v[0:1], v20, v[0:1]
	v_cmp_eq_u32_e32 vcc, 0, v3
	v_and_b32_e32 v0, 3, v0
	v_sub_u32_e32 v1, 30, v19
	v_cndmask_b32_e32 v0, v2, v0, vcc
	v_lshlrev_b32_e32 v2, 16, v8
	v_cndmask_b32_e32 v1, v3, v1, vcc
	v_and_b32_e32 v2, 0x80000000, v2
	v_lshl_add_u32 v1, v1, 23, v2
	v_lshl_or_b32 v0, v0, 21, v1
	v_add_u32_e32 v1, 0x38000000, v0
                                        ; implicit-def: $vgpr2
.LBB6_3775:                             ;   in Loop: Header=BB6_3735 Depth=3
	s_andn2_saveexec_b64 s[36:37], s[36:37]
; %bb.3776:                             ;   in Loop: Header=BB6_3735 Depth=3
	v_cmp_lt_i16_e32 vcc, -1, v8
	v_mov_b32_e32 v0, 0xff800000
	v_mov_b32_e32 v1, 0x7f800000
	v_cndmask_b32_e32 v0, v0, v1, vcc
	v_cmp_eq_u32_e32 vcc, 0, v2
	v_mov_b32_e32 v1, 0x7f800001
	v_cndmask_b32_e32 v1, v1, v0, vcc
; %bb.3777:                             ;   in Loop: Header=BB6_3735 Depth=3
	s_or_b64 exec, exec, s[36:37]
.LBB6_3778:                             ;   in Loop: Header=BB6_3735 Depth=3
	s_or_b64 exec, exec, s[34:35]
.LBB6_3779:                             ;   in Loop: Header=BB6_3735 Depth=3
	s_or_b64 exec, exec, s[28:29]
	v_mul_f32_e32 v2, v18, v1
	v_and_b32_e32 v19, 0x7f800000, v2
	v_mov_b32_e32 v20, v33
	v_cmp_ne_u64_e32 vcc, s[76:77], v[19:20]
	v_and_b32_e32 v0, 0x7fffff, v2
	v_mov_b32_e32 v1, v33
                                        ; implicit-def: $vgpr19
	s_and_saveexec_b64 s[28:29], vcc
	s_xor_b64 s[34:35], exec, s[28:29]
	s_cbranch_execz .LBB6_3793
; %bb.3780:                             ;   in Loop: Header=BB6_3735 Depth=3
	v_and_b32_e32 v19, 0x7fffffff, v2
	v_mov_b32_e32 v20, v33
	v_cmp_gt_u64_e32 vcc, s[78:79], v[19:20]
	v_and_b32_sdwa v3, v2, s97 dst_sel:DWORD dst_unused:UNUSED_PAD src0_sel:BYTE_3 src1_sel:DWORD
                                        ; implicit-def: $vgpr19
	s_and_saveexec_b64 s[28:29], vcc
	s_xor_b64 s[36:37], exec, s[28:29]
	s_cbranch_execz .LBB6_3790
; %bb.3781:                             ;   in Loop: Header=BB6_3735 Depth=3
	v_mov_b32_e32 v19, 0
	v_cmp_ne_u32_e32 vcc, 0, v2
	s_and_saveexec_b64 s[38:39], vcc
	s_cbranch_execz .LBB6_3789
; %bb.3782:                             ;   in Loop: Header=BB6_3735 Depth=3
	v_bfe_u32 v19, v2, 23, 8
	v_cmp_gt_u32_e64 s[28:29], s47, v19
	v_sub_u32_e32 v2, 0x71, v19
	v_cmp_eq_u32_e32 vcc, 0, v19
	v_cndmask_b32_e64 v2, 0, v2, s[28:29]
	v_mov_b32_e32 v20, 0x70
	v_cndmask_b32_e32 v20, v2, v20, vcc
	v_or_b32_e32 v21, 0x800000, v0
	v_add_u32_e32 v2, 21, v20
	v_cndmask_b32_e32 v0, v21, v0, vcc
	v_lshlrev_b64 v[21:22], v2, -1
	v_add_u32_e32 v2, 20, v20
	v_bfi_b32 v21, v21, 0, v0
	v_lshlrev_b64 v[23:24], v2, 1
	v_lshrrev_b64 v[0:1], v20, v[0:1]
	v_bfi_b32 v22, v22, 0, 0
	v_cmp_eq_u64_e64 s[28:29], v[21:22], v[23:24]
	v_mov_b32_e32 v2, v1
	v_mov_b32_e32 v1, v0
	s_and_saveexec_b64 s[48:49], s[28:29]
; %bb.3783:                             ;   in Loop: Header=BB6_3735 Depth=3
	v_bfe_u32 v1, v0, 21, 1
	v_add_co_u32_e64 v1, s[28:29], v0, v1
	v_add_co_u32_e64 v1, s[28:29], -1, v1
; %bb.3784:                             ;   in Loop: Header=BB6_3735 Depth=3
	s_or_b64 exec, exec, s[48:49]
	v_add_u32_e32 v2, 0xffffff81, v19
	v_mov_b32_e32 v19, 0xffffff82
	v_cndmask_b32_e32 v2, v2, v19, vcc
	v_lshrrev_b32_e32 v19, 23, v0
	v_add3_u32 v20, v20, v2, v19
	v_add_u32_e32 v19, 14, v20
	v_and_b32_e32 v1, 0x1fffff, v1
	v_add_u32_e32 v0, v1, v0
	v_mov_b32_e32 v1, v33
	v_cmp_ne_u32_e32 vcc, 0, v19
                                        ; implicit-def: $vgpr2
	s_and_saveexec_b64 s[28:29], vcc
	s_xor_b64 s[28:29], exec, s[28:29]
; %bb.3785:                             ;   in Loop: Header=BB6_3735 Depth=3
	v_cmp_lt_u64_e32 vcc, s[88:89], v[0:1]
	v_add_u32_e32 v2, 15, v20
	v_cndmask_b32_e32 v2, v19, v2, vcc
	v_cndmask_b32_e64 v19, 0, 1, vcc
	v_lshrrev_b64 v[0:1], v19, v[0:1]
; %bb.3786:                             ;   in Loop: Header=BB6_3735 Depth=3
	s_andn2_saveexec_b64 s[28:29], s[28:29]
; %bb.3787:                             ;   in Loop: Header=BB6_3735 Depth=3
	v_bfe_u32 v2, v0, 23, 1
; %bb.3788:                             ;   in Loop: Header=BB6_3735 Depth=3
	s_or_b64 exec, exec, s[28:29]
	v_lshrrev_b64 v[0:1], 21, v[0:1]
	v_cmp_gt_i32_e32 vcc, 32, v2
	v_cndmask_b32_e32 v1, 0, v1, vcc
	v_cndmask_b32_e32 v0, 3, v0, vcc
	v_cmp_eq_u64_e64 s[28:29], 0, v[0:1]
	v_min_i32_e32 v1, 31, v2
	v_lshlrev_b32_e32 v1, 2, v1
	v_cmp_eq_u32_e32 vcc, 0, v2
	v_and_b32_e32 v1, 0xfc, v1
	v_and_or_b32 v0, v0, 3, v1
	s_and_b64 s[28:29], vcc, s[28:29]
	v_cndmask_b32_e64 v0, v0, 0, s[28:29]
	v_or_b32_e32 v19, v0, v3
.LBB6_3789:                             ;   in Loop: Header=BB6_3735 Depth=3
	s_or_b64 exec, exec, s[38:39]
                                        ; implicit-def: $vgpr3
.LBB6_3790:                             ;   in Loop: Header=BB6_3735 Depth=3
	s_andn2_saveexec_b64 s[28:29], s[36:37]
; %bb.3791:                             ;   in Loop: Header=BB6_3735 Depth=3
	v_or_b32_e32 v19, 0x7b, v3
; %bb.3792:                             ;   in Loop: Header=BB6_3735 Depth=3
	s_or_b64 exec, exec, s[28:29]
                                        ; implicit-def: $vgpr2
                                        ; implicit-def: $vgpr0_vgpr1
.LBB6_3793:                             ;   in Loop: Header=BB6_3735 Depth=3
	s_andn2_saveexec_b64 s[28:29], s[34:35]
	s_cbranch_execz .LBB6_3799
; %bb.3794:                             ;   in Loop: Header=BB6_3735 Depth=3
	v_cmp_ne_u64_e32 vcc, 0, v[0:1]
                                        ; implicit-def: $vgpr19
	s_and_saveexec_b64 s[62:63], vcc
	s_xor_b64 vcc, exec, s[62:63]
; %bb.3795:                             ;   in Loop: Header=BB6_3735 Depth=3
	v_or_b32_sdwa v19, v2, s44 dst_sel:DWORD dst_unused:UNUSED_PAD src0_sel:BYTE_3 src1_sel:DWORD
                                        ; implicit-def: $vgpr2
; %bb.3796:                             ;   in Loop: Header=BB6_3735 Depth=3
	s_andn2_saveexec_b64 s[34:35], vcc
; %bb.3797:                             ;   in Loop: Header=BB6_3735 Depth=3
	v_cmp_lt_i32_e32 vcc, -1, v2
	v_bfrev_b32_e32 v0, 0.5
	v_mov_b32_e32 v1, 0x7c
	v_cndmask_b32_e32 v19, v0, v1, vcc
; %bb.3798:                             ;   in Loop: Header=BB6_3735 Depth=3
	s_or_b64 exec, exec, s[34:35]
.LBB6_3799:                             ;   in Loop: Header=BB6_3735 Depth=3
	s_or_b64 exec, exec, s[28:29]
	v_lshrrev_b32_e32 v0, 16, v8
	v_cmp_ne_u16_sdwa s[62:63], v0, v33 src0_sel:BYTE_0 src1_sel:DWORD
	v_mov_b32_e32 v1, 0
	s_and_saveexec_b64 s[28:29], s[62:63]
	s_cbranch_execz .LBB6_3807
; %bb.3800:                             ;   in Loop: Header=BB6_3735 Depth=3
	v_cmp_ne_u16_sdwa s[62:63], v0, s97 src0_sel:BYTE_0 src1_sel:DWORD
	v_bfrev_b32_e32 v1, 1
	s_and_saveexec_b64 s[34:35], s[62:63]
	s_cbranch_execz .LBB6_3806
; %bb.3801:                             ;   in Loop: Header=BB6_3735 Depth=3
	v_and_b32_e32 v1, 0x7c0000, v8
	v_bfe_u32 v2, v8, 16, 2
	v_cmp_ne_u32_e32 vcc, s45, v1
                                        ; implicit-def: $vgpr1
	s_and_saveexec_b64 s[62:63], vcc
	s_xor_b64 s[36:37], exec, s[62:63]
	s_cbranch_execz .LBB6_3803
; %bb.3802:                             ;   in Loop: Header=BB6_3735 Depth=3
	v_ffbh_u32_e32 v1, v2
	v_min_u32_e32 v20, 32, v1
	v_subrev_u32_e32 v1, 29, v20
	v_lshlrev_b64 v[0:1], v1, v[0:1]
	v_bfe_u32 v3, v8, 18, 5
	v_and_b32_e32 v0, 3, v0
	v_cmp_eq_u32_e32 vcc, 0, v3
	v_sub_u32_e32 v1, 30, v20
	v_cndmask_b32_e32 v0, v2, v0, vcc
	v_lshlrev_b32_e32 v2, 8, v8
	v_cndmask_b32_e32 v1, v3, v1, vcc
	v_and_b32_e32 v2, 0x80000000, v2
	v_lshl_add_u32 v1, v1, 23, v2
	v_lshl_or_b32 v0, v0, 21, v1
	v_add_u32_e32 v1, 0x38000000, v0
                                        ; implicit-def: $vgpr2
                                        ; implicit-def: $vgpr0
.LBB6_3803:                             ;   in Loop: Header=BB6_3735 Depth=3
	s_andn2_saveexec_b64 s[36:37], s[36:37]
; %bb.3804:                             ;   in Loop: Header=BB6_3735 Depth=3
	v_mov_b32_e32 v1, -1
	v_cmp_gt_i16_sdwa vcc, sext(v0), v1 src0_sel:BYTE_0 src1_sel:DWORD
	v_mov_b32_e32 v0, 0xff800000
	v_mov_b32_e32 v1, 0x7f800000
	v_cndmask_b32_e32 v0, v0, v1, vcc
	v_cmp_eq_u32_e32 vcc, 0, v2
	v_mov_b32_e32 v1, 0x7f800001
	v_cndmask_b32_e32 v1, v1, v0, vcc
; %bb.3805:                             ;   in Loop: Header=BB6_3735 Depth=3
	s_or_b64 exec, exec, s[36:37]
.LBB6_3806:                             ;   in Loop: Header=BB6_3735 Depth=3
	s_or_b64 exec, exec, s[34:35]
.LBB6_3807:                             ;   in Loop: Header=BB6_3735 Depth=3
	s_or_b64 exec, exec, s[28:29]
	v_mul_f32_e32 v2, v18, v1
	v_and_b32_e32 v20, 0x7f800000, v2
	v_mov_b32_e32 v21, v33
	v_cmp_ne_u64_e32 vcc, s[76:77], v[20:21]
	v_and_b32_e32 v0, 0x7fffff, v2
	v_mov_b32_e32 v1, v33
                                        ; implicit-def: $vgpr20
	s_and_saveexec_b64 s[28:29], vcc
	s_xor_b64 s[34:35], exec, s[28:29]
	s_cbranch_execz .LBB6_3821
; %bb.3808:                             ;   in Loop: Header=BB6_3735 Depth=3
	v_and_b32_e32 v20, 0x7fffffff, v2
	v_mov_b32_e32 v21, v33
	v_cmp_gt_u64_e32 vcc, s[78:79], v[20:21]
	v_and_b32_sdwa v3, v2, s97 dst_sel:DWORD dst_unused:UNUSED_PAD src0_sel:BYTE_3 src1_sel:DWORD
                                        ; implicit-def: $vgpr20
	s_and_saveexec_b64 s[28:29], vcc
	s_xor_b64 s[36:37], exec, s[28:29]
	s_cbranch_execz .LBB6_3818
; %bb.3809:                             ;   in Loop: Header=BB6_3735 Depth=3
	v_mov_b32_e32 v20, 0
	v_cmp_ne_u32_e32 vcc, 0, v2
	s_and_saveexec_b64 s[38:39], vcc
	s_cbranch_execz .LBB6_3817
; %bb.3810:                             ;   in Loop: Header=BB6_3735 Depth=3
	v_bfe_u32 v20, v2, 23, 8
	v_cmp_gt_u32_e64 s[28:29], s47, v20
	v_sub_u32_e32 v2, 0x71, v20
	v_cmp_eq_u32_e32 vcc, 0, v20
	v_cndmask_b32_e64 v2, 0, v2, s[28:29]
	v_mov_b32_e32 v21, 0x70
	v_cndmask_b32_e32 v21, v2, v21, vcc
	v_or_b32_e32 v22, 0x800000, v0
	v_add_u32_e32 v2, 21, v21
	v_cndmask_b32_e32 v0, v22, v0, vcc
	v_lshlrev_b64 v[22:23], v2, -1
	v_add_u32_e32 v2, 20, v21
	v_bfi_b32 v22, v22, 0, v0
	v_lshlrev_b64 v[24:25], v2, 1
	v_lshrrev_b64 v[0:1], v21, v[0:1]
	v_bfi_b32 v23, v23, 0, 0
	v_cmp_eq_u64_e64 s[28:29], v[22:23], v[24:25]
	v_mov_b32_e32 v2, v1
	v_mov_b32_e32 v1, v0
	s_and_saveexec_b64 s[48:49], s[28:29]
; %bb.3811:                             ;   in Loop: Header=BB6_3735 Depth=3
	v_bfe_u32 v1, v0, 21, 1
	v_add_co_u32_e64 v1, s[28:29], v0, v1
	v_add_co_u32_e64 v1, s[28:29], -1, v1
; %bb.3812:                             ;   in Loop: Header=BB6_3735 Depth=3
	s_or_b64 exec, exec, s[48:49]
	v_add_u32_e32 v2, 0xffffff81, v20
	v_mov_b32_e32 v20, 0xffffff82
	v_cndmask_b32_e32 v2, v2, v20, vcc
	v_lshrrev_b32_e32 v20, 23, v0
	v_add3_u32 v21, v21, v2, v20
	v_add_u32_e32 v20, 14, v21
	v_and_b32_e32 v1, 0x1fffff, v1
	v_add_u32_e32 v0, v1, v0
	v_mov_b32_e32 v1, v33
	v_cmp_ne_u32_e32 vcc, 0, v20
                                        ; implicit-def: $vgpr2
	s_and_saveexec_b64 s[28:29], vcc
	s_xor_b64 s[28:29], exec, s[28:29]
; %bb.3813:                             ;   in Loop: Header=BB6_3735 Depth=3
	v_cmp_lt_u64_e32 vcc, s[88:89], v[0:1]
	v_add_u32_e32 v2, 15, v21
	v_cndmask_b32_e32 v2, v20, v2, vcc
	v_cndmask_b32_e64 v20, 0, 1, vcc
	v_lshrrev_b64 v[0:1], v20, v[0:1]
; %bb.3814:                             ;   in Loop: Header=BB6_3735 Depth=3
	s_andn2_saveexec_b64 s[28:29], s[28:29]
; %bb.3815:                             ;   in Loop: Header=BB6_3735 Depth=3
	v_bfe_u32 v2, v0, 23, 1
; %bb.3816:                             ;   in Loop: Header=BB6_3735 Depth=3
	s_or_b64 exec, exec, s[28:29]
	v_lshrrev_b64 v[0:1], 21, v[0:1]
	v_cmp_gt_i32_e32 vcc, 32, v2
	v_cndmask_b32_e32 v1, 0, v1, vcc
	v_cndmask_b32_e32 v0, 3, v0, vcc
	v_cmp_eq_u64_e64 s[28:29], 0, v[0:1]
	v_min_i32_e32 v1, 31, v2
	v_lshlrev_b32_e32 v1, 2, v1
	v_cmp_eq_u32_e32 vcc, 0, v2
	v_and_b32_e32 v1, 0xfc, v1
	v_and_or_b32 v0, v0, 3, v1
	s_and_b64 s[28:29], vcc, s[28:29]
	v_cndmask_b32_e64 v0, v0, 0, s[28:29]
	v_or_b32_e32 v20, v0, v3
.LBB6_3817:                             ;   in Loop: Header=BB6_3735 Depth=3
	s_or_b64 exec, exec, s[38:39]
                                        ; implicit-def: $vgpr3
.LBB6_3818:                             ;   in Loop: Header=BB6_3735 Depth=3
	s_andn2_saveexec_b64 s[28:29], s[36:37]
; %bb.3819:                             ;   in Loop: Header=BB6_3735 Depth=3
	v_or_b32_e32 v20, 0x7b, v3
; %bb.3820:                             ;   in Loop: Header=BB6_3735 Depth=3
	s_or_b64 exec, exec, s[28:29]
                                        ; implicit-def: $vgpr2
                                        ; implicit-def: $vgpr0_vgpr1
.LBB6_3821:                             ;   in Loop: Header=BB6_3735 Depth=3
	s_andn2_saveexec_b64 s[28:29], s[34:35]
	s_cbranch_execz .LBB6_3827
; %bb.3822:                             ;   in Loop: Header=BB6_3735 Depth=3
	v_cmp_ne_u64_e32 vcc, 0, v[0:1]
                                        ; implicit-def: $vgpr20
	s_and_saveexec_b64 s[62:63], vcc
	s_xor_b64 vcc, exec, s[62:63]
; %bb.3823:                             ;   in Loop: Header=BB6_3735 Depth=3
	v_or_b32_sdwa v20, v2, s44 dst_sel:DWORD dst_unused:UNUSED_PAD src0_sel:BYTE_3 src1_sel:DWORD
                                        ; implicit-def: $vgpr2
; %bb.3824:                             ;   in Loop: Header=BB6_3735 Depth=3
	s_andn2_saveexec_b64 s[34:35], vcc
; %bb.3825:                             ;   in Loop: Header=BB6_3735 Depth=3
	v_cmp_lt_i32_e32 vcc, -1, v2
	v_bfrev_b32_e32 v0, 0.5
	v_mov_b32_e32 v1, 0x7c
	v_cndmask_b32_e32 v20, v0, v1, vcc
; %bb.3826:                             ;   in Loop: Header=BB6_3735 Depth=3
	s_or_b64 exec, exec, s[34:35]
.LBB6_3827:                             ;   in Loop: Header=BB6_3735 Depth=3
	s_or_b64 exec, exec, s[28:29]
	v_cmp_lt_u32_e32 vcc, s57, v8
	v_mov_b32_e32 v1, 0
	s_and_saveexec_b64 s[28:29], vcc
	s_cbranch_execz .LBB6_3835
; %bb.3828:                             ;   in Loop: Header=BB6_3735 Depth=3
	v_lshrrev_b32_e32 v0, 24, v8
	v_cmp_ne_u32_e32 vcc, s97, v0
	v_bfrev_b32_e32 v1, 1
	s_and_saveexec_b64 s[34:35], vcc
	s_cbranch_execz .LBB6_3834
; %bb.3829:                             ;   in Loop: Header=BB6_3735 Depth=3
	v_and_b32_e32 v1, 0x7c000000, v8
	v_bfe_u32 v2, v8, 24, 2
	v_cmp_ne_u32_e32 vcc, s68, v1
                                        ; implicit-def: $vgpr1
	s_and_saveexec_b64 s[62:63], vcc
	s_xor_b64 s[36:37], exec, s[62:63]
	s_cbranch_execz .LBB6_3831
; %bb.3830:                             ;   in Loop: Header=BB6_3735 Depth=3
	v_ffbh_u32_e32 v1, v2
	v_min_u32_e32 v21, 32, v1
	v_subrev_u32_e32 v1, 29, v21
	v_lshlrev_b64 v[0:1], v1, v[0:1]
	v_bfe_u32 v3, v8, 26, 5
	v_sub_u32_e32 v1, 30, v21
	v_and_b32_e32 v0, 3, v0
	v_cmp_eq_u32_e32 vcc, 0, v3
	v_cndmask_b32_e32 v1, v3, v1, vcc
	v_cndmask_b32_e32 v0, v2, v0, vcc
	v_and_b32_e32 v2, 0x80000000, v8
	v_lshl_add_u32 v1, v1, 23, v2
	v_lshl_or_b32 v0, v0, 21, v1
	v_add_u32_e32 v1, 0x38000000, v0
                                        ; implicit-def: $vgpr2
.LBB6_3831:                             ;   in Loop: Header=BB6_3735 Depth=3
	s_andn2_saveexec_b64 s[36:37], s[36:37]
; %bb.3832:                             ;   in Loop: Header=BB6_3735 Depth=3
	v_cmp_lt_i32_e32 vcc, -1, v8
	v_mov_b32_e32 v0, 0xff800000
	v_mov_b32_e32 v1, 0x7f800000
	v_cndmask_b32_e32 v0, v0, v1, vcc
	v_cmp_eq_u32_e32 vcc, 0, v2
	v_mov_b32_e32 v1, 0x7f800001
	v_cndmask_b32_e32 v1, v1, v0, vcc
; %bb.3833:                             ;   in Loop: Header=BB6_3735 Depth=3
	s_or_b64 exec, exec, s[36:37]
.LBB6_3834:                             ;   in Loop: Header=BB6_3735 Depth=3
	s_or_b64 exec, exec, s[34:35]
.LBB6_3835:                             ;   in Loop: Header=BB6_3735 Depth=3
	s_or_b64 exec, exec, s[28:29]
	v_mul_f32_e32 v2, v18, v1
	v_and_b32_e32 v21, 0x7f800000, v2
	v_mov_b32_e32 v22, v33
	v_cmp_ne_u64_e32 vcc, s[76:77], v[21:22]
	v_and_b32_e32 v0, 0x7fffff, v2
	v_mov_b32_e32 v1, v33
                                        ; implicit-def: $vgpr21
	s_and_saveexec_b64 s[28:29], vcc
	s_xor_b64 s[34:35], exec, s[28:29]
	s_cbranch_execz .LBB6_3849
; %bb.3836:                             ;   in Loop: Header=BB6_3735 Depth=3
	v_and_b32_e32 v21, 0x7fffffff, v2
	v_mov_b32_e32 v22, v33
	v_cmp_gt_u64_e32 vcc, s[78:79], v[21:22]
	v_and_b32_sdwa v3, v2, s97 dst_sel:DWORD dst_unused:UNUSED_PAD src0_sel:BYTE_3 src1_sel:DWORD
                                        ; implicit-def: $vgpr21
	s_and_saveexec_b64 s[28:29], vcc
	s_xor_b64 s[36:37], exec, s[28:29]
	s_cbranch_execz .LBB6_3846
; %bb.3837:                             ;   in Loop: Header=BB6_3735 Depth=3
	v_mov_b32_e32 v21, 0
	v_cmp_ne_u32_e32 vcc, 0, v2
	s_and_saveexec_b64 s[38:39], vcc
	s_cbranch_execz .LBB6_3845
; %bb.3838:                             ;   in Loop: Header=BB6_3735 Depth=3
	v_bfe_u32 v21, v2, 23, 8
	v_cmp_gt_u32_e64 s[28:29], s47, v21
	v_sub_u32_e32 v2, 0x71, v21
	v_cmp_eq_u32_e32 vcc, 0, v21
	v_cndmask_b32_e64 v2, 0, v2, s[28:29]
	v_mov_b32_e32 v22, 0x70
	v_cndmask_b32_e32 v22, v2, v22, vcc
	v_or_b32_e32 v23, 0x800000, v0
	v_add_u32_e32 v2, 21, v22
	v_cndmask_b32_e32 v0, v23, v0, vcc
	v_lshlrev_b64 v[23:24], v2, -1
	v_add_u32_e32 v2, 20, v22
	v_bfi_b32 v23, v23, 0, v0
	v_lshlrev_b64 v[25:26], v2, 1
	v_lshrrev_b64 v[0:1], v22, v[0:1]
	v_bfi_b32 v24, v24, 0, 0
	v_cmp_eq_u64_e64 s[28:29], v[23:24], v[25:26]
	v_mov_b32_e32 v2, v1
	v_mov_b32_e32 v1, v0
	s_and_saveexec_b64 s[48:49], s[28:29]
; %bb.3839:                             ;   in Loop: Header=BB6_3735 Depth=3
	v_bfe_u32 v1, v0, 21, 1
	v_add_co_u32_e64 v1, s[28:29], v0, v1
	v_add_co_u32_e64 v1, s[28:29], -1, v1
; %bb.3840:                             ;   in Loop: Header=BB6_3735 Depth=3
	s_or_b64 exec, exec, s[48:49]
	v_add_u32_e32 v2, 0xffffff81, v21
	v_mov_b32_e32 v21, 0xffffff82
	v_cndmask_b32_e32 v2, v2, v21, vcc
	v_lshrrev_b32_e32 v21, 23, v0
	v_add3_u32 v22, v22, v2, v21
	v_add_u32_e32 v21, 14, v22
	v_and_b32_e32 v1, 0x1fffff, v1
	v_add_u32_e32 v0, v1, v0
	v_mov_b32_e32 v1, v33
	v_cmp_ne_u32_e32 vcc, 0, v21
                                        ; implicit-def: $vgpr2
	s_and_saveexec_b64 s[28:29], vcc
	s_xor_b64 s[28:29], exec, s[28:29]
; %bb.3841:                             ;   in Loop: Header=BB6_3735 Depth=3
	v_cmp_lt_u64_e32 vcc, s[88:89], v[0:1]
	v_add_u32_e32 v2, 15, v22
	v_cndmask_b32_e32 v2, v21, v2, vcc
	v_cndmask_b32_e64 v21, 0, 1, vcc
	v_lshrrev_b64 v[0:1], v21, v[0:1]
; %bb.3842:                             ;   in Loop: Header=BB6_3735 Depth=3
	s_andn2_saveexec_b64 s[28:29], s[28:29]
; %bb.3843:                             ;   in Loop: Header=BB6_3735 Depth=3
	v_bfe_u32 v2, v0, 23, 1
; %bb.3844:                             ;   in Loop: Header=BB6_3735 Depth=3
	s_or_b64 exec, exec, s[28:29]
	v_lshrrev_b64 v[0:1], 21, v[0:1]
	v_cmp_gt_i32_e32 vcc, 32, v2
	v_cndmask_b32_e32 v1, 0, v1, vcc
	v_cndmask_b32_e32 v0, 3, v0, vcc
	v_cmp_eq_u64_e64 s[28:29], 0, v[0:1]
	v_min_i32_e32 v1, 31, v2
	v_lshlrev_b32_e32 v1, 2, v1
	v_cmp_eq_u32_e32 vcc, 0, v2
	v_and_b32_e32 v1, 0xfc, v1
	v_and_or_b32 v0, v0, 3, v1
	s_and_b64 s[28:29], vcc, s[28:29]
	v_cndmask_b32_e64 v0, v0, 0, s[28:29]
	v_or_b32_e32 v21, v0, v3
.LBB6_3845:                             ;   in Loop: Header=BB6_3735 Depth=3
	s_or_b64 exec, exec, s[38:39]
                                        ; implicit-def: $vgpr3
.LBB6_3846:                             ;   in Loop: Header=BB6_3735 Depth=3
	s_andn2_saveexec_b64 s[28:29], s[36:37]
; %bb.3847:                             ;   in Loop: Header=BB6_3735 Depth=3
	v_or_b32_e32 v21, 0x7b, v3
; %bb.3848:                             ;   in Loop: Header=BB6_3735 Depth=3
	s_or_b64 exec, exec, s[28:29]
                                        ; implicit-def: $vgpr2
                                        ; implicit-def: $vgpr0_vgpr1
.LBB6_3849:                             ;   in Loop: Header=BB6_3735 Depth=3
	s_andn2_saveexec_b64 s[28:29], s[34:35]
	s_cbranch_execz .LBB6_3855
; %bb.3850:                             ;   in Loop: Header=BB6_3735 Depth=3
	v_cmp_ne_u64_e32 vcc, 0, v[0:1]
                                        ; implicit-def: $vgpr21
	s_and_saveexec_b64 s[62:63], vcc
	s_xor_b64 vcc, exec, s[62:63]
; %bb.3851:                             ;   in Loop: Header=BB6_3735 Depth=3
	v_or_b32_sdwa v21, v2, s44 dst_sel:DWORD dst_unused:UNUSED_PAD src0_sel:BYTE_3 src1_sel:DWORD
                                        ; implicit-def: $vgpr2
; %bb.3852:                             ;   in Loop: Header=BB6_3735 Depth=3
	s_andn2_saveexec_b64 s[34:35], vcc
; %bb.3853:                             ;   in Loop: Header=BB6_3735 Depth=3
	v_cmp_lt_i32_e32 vcc, -1, v2
	v_bfrev_b32_e32 v0, 0.5
	v_mov_b32_e32 v1, 0x7c
	v_cndmask_b32_e32 v21, v0, v1, vcc
; %bb.3854:                             ;   in Loop: Header=BB6_3735 Depth=3
	s_or_b64 exec, exec, s[34:35]
.LBB6_3855:                             ;   in Loop: Header=BB6_3735 Depth=3
	s_or_b64 exec, exec, s[28:29]
	v_mov_b32_e32 v0, v9
	v_mov_b32_e32 v1, v33
	v_cmp_ne_u16_sdwa s[62:63], v9, v33 src0_sel:BYTE_0 src1_sel:DWORD
	v_mov_b32_e32 v2, 0
	s_and_saveexec_b64 s[28:29], s[62:63]
	s_cbranch_execz .LBB6_3863
; %bb.3856:                             ;   in Loop: Header=BB6_3735 Depth=3
	v_cmp_ne_u16_sdwa s[62:63], v9, s97 src0_sel:BYTE_0 src1_sel:DWORD
	v_bfrev_b32_e32 v2, 1
	s_and_saveexec_b64 s[34:35], s[62:63]
	s_cbranch_execz .LBB6_3862
; %bb.3857:                             ;   in Loop: Header=BB6_3735 Depth=3
	v_and_b32_e32 v2, 0x7c, v9
	v_and_b32_e32 v3, 3, v9
	v_cmp_ne_u32_e32 vcc, s86, v2
                                        ; implicit-def: $vgpr2
	s_and_saveexec_b64 s[62:63], vcc
	s_xor_b64 s[36:37], exec, s[62:63]
	s_cbranch_execz .LBB6_3859
; %bb.3858:                             ;   in Loop: Header=BB6_3735 Depth=3
	v_ffbh_u32_e32 v2, v3
	v_min_u32_e32 v23, 32, v2
	v_subrev_u32_e32 v2, 29, v23
	v_lshlrev_b64 v[1:2], v2, v[0:1]
	v_bfe_u32 v22, v9, 2, 5
	v_and_b32_e32 v1, 3, v1
	v_cmp_eq_u32_e32 vcc, 0, v22
	v_sub_u32_e32 v2, 30, v23
	v_cndmask_b32_e32 v1, v3, v1, vcc
	v_lshlrev_b32_e32 v3, 24, v9
	v_cndmask_b32_e32 v2, v22, v2, vcc
	v_and_b32_e32 v3, 0x80000000, v3
	v_lshl_add_u32 v2, v2, 23, v3
	v_lshl_or_b32 v1, v1, 21, v2
	v_add_u32_e32 v2, 0x38000000, v1
                                        ; implicit-def: $vgpr3
.LBB6_3859:                             ;   in Loop: Header=BB6_3735 Depth=3
	s_andn2_saveexec_b64 s[36:37], s[36:37]
; %bb.3860:                             ;   in Loop: Header=BB6_3735 Depth=3
	v_mov_b32_e32 v1, -1
	v_cmp_gt_i16_sdwa vcc, sext(v9), v1 src0_sel:BYTE_0 src1_sel:DWORD
	v_mov_b32_e32 v1, 0xff800000
	v_mov_b32_e32 v2, 0x7f800000
	v_cndmask_b32_e32 v1, v1, v2, vcc
	v_cmp_eq_u32_e32 vcc, 0, v3
	v_mov_b32_e32 v2, 0x7f800001
	v_cndmask_b32_e32 v2, v2, v1, vcc
; %bb.3861:                             ;   in Loop: Header=BB6_3735 Depth=3
	s_or_b64 exec, exec, s[36:37]
.LBB6_3862:                             ;   in Loop: Header=BB6_3735 Depth=3
	s_or_b64 exec, exec, s[34:35]
.LBB6_3863:                             ;   in Loop: Header=BB6_3735 Depth=3
	s_or_b64 exec, exec, s[28:29]
	v_mul_f32_e32 v3, v18, v2
	v_and_b32_e32 v22, 0x7f800000, v3
	v_mov_b32_e32 v23, v33
	v_cmp_ne_u64_e32 vcc, s[76:77], v[22:23]
	v_and_b32_e32 v1, 0x7fffff, v3
	v_mov_b32_e32 v2, v33
                                        ; implicit-def: $vgpr22
	s_and_saveexec_b64 s[28:29], vcc
	s_xor_b64 s[34:35], exec, s[28:29]
	s_cbranch_execz .LBB6_3877
; %bb.3864:                             ;   in Loop: Header=BB6_3735 Depth=3
	v_and_b32_e32 v22, 0x7fffffff, v3
	v_mov_b32_e32 v23, v33
	v_cmp_gt_u64_e32 vcc, s[78:79], v[22:23]
	v_and_b32_sdwa v23, v3, s97 dst_sel:DWORD dst_unused:UNUSED_PAD src0_sel:BYTE_3 src1_sel:DWORD
                                        ; implicit-def: $vgpr22
	s_and_saveexec_b64 s[28:29], vcc
	s_xor_b64 s[36:37], exec, s[28:29]
	s_cbranch_execz .LBB6_3874
; %bb.3865:                             ;   in Loop: Header=BB6_3735 Depth=3
	v_mov_b32_e32 v22, 0
	v_cmp_ne_u32_e32 vcc, 0, v3
	s_and_saveexec_b64 s[38:39], vcc
	s_cbranch_execz .LBB6_3873
; %bb.3866:                             ;   in Loop: Header=BB6_3735 Depth=3
	v_bfe_u32 v22, v3, 23, 8
	v_cmp_gt_u32_e64 s[28:29], s47, v22
	v_sub_u32_e32 v3, 0x71, v22
	v_cmp_eq_u32_e32 vcc, 0, v22
	v_cndmask_b32_e64 v3, 0, v3, s[28:29]
	v_mov_b32_e32 v24, 0x70
	v_cndmask_b32_e32 v24, v3, v24, vcc
	v_or_b32_e32 v25, 0x800000, v1
	v_add_u32_e32 v3, 21, v24
	v_cndmask_b32_e32 v1, v25, v1, vcc
	v_lshlrev_b64 v[25:26], v3, -1
	v_add_u32_e32 v3, 20, v24
	v_bfi_b32 v25, v25, 0, v1
	v_lshlrev_b64 v[27:28], v3, 1
	v_lshrrev_b64 v[1:2], v24, v[1:2]
	v_bfi_b32 v26, v26, 0, 0
	v_cmp_eq_u64_e64 s[28:29], v[25:26], v[27:28]
	v_mov_b32_e32 v3, v2
	v_mov_b32_e32 v2, v1
	s_and_saveexec_b64 s[48:49], s[28:29]
; %bb.3867:                             ;   in Loop: Header=BB6_3735 Depth=3
	v_bfe_u32 v2, v1, 21, 1
	v_add_co_u32_e64 v2, s[28:29], v1, v2
	v_add_co_u32_e64 v2, s[28:29], -1, v2
; %bb.3868:                             ;   in Loop: Header=BB6_3735 Depth=3
	s_or_b64 exec, exec, s[48:49]
	v_add_u32_e32 v3, 0xffffff81, v22
	v_mov_b32_e32 v22, 0xffffff82
	v_cndmask_b32_e32 v3, v3, v22, vcc
	v_lshrrev_b32_e32 v22, 23, v1
	v_add3_u32 v24, v24, v3, v22
	v_add_u32_e32 v22, 14, v24
	v_and_b32_e32 v2, 0x1fffff, v2
	v_add_u32_e32 v1, v2, v1
	v_mov_b32_e32 v2, v33
	v_cmp_ne_u32_e32 vcc, 0, v22
                                        ; implicit-def: $vgpr3
	s_and_saveexec_b64 s[28:29], vcc
	s_xor_b64 s[28:29], exec, s[28:29]
; %bb.3869:                             ;   in Loop: Header=BB6_3735 Depth=3
	v_cmp_lt_u64_e32 vcc, s[88:89], v[1:2]
	v_add_u32_e32 v3, 15, v24
	v_cndmask_b32_e32 v3, v22, v3, vcc
	v_cndmask_b32_e64 v22, 0, 1, vcc
	v_lshrrev_b64 v[1:2], v22, v[1:2]
; %bb.3870:                             ;   in Loop: Header=BB6_3735 Depth=3
	s_andn2_saveexec_b64 s[28:29], s[28:29]
; %bb.3871:                             ;   in Loop: Header=BB6_3735 Depth=3
	v_bfe_u32 v3, v1, 23, 1
; %bb.3872:                             ;   in Loop: Header=BB6_3735 Depth=3
	s_or_b64 exec, exec, s[28:29]
	v_lshrrev_b64 v[1:2], 21, v[1:2]
	v_cmp_gt_i32_e32 vcc, 32, v3
	v_cndmask_b32_e32 v2, 0, v2, vcc
	v_cndmask_b32_e32 v1, 3, v1, vcc
	v_cmp_eq_u64_e64 s[28:29], 0, v[1:2]
	v_min_i32_e32 v2, 31, v3
	v_lshlrev_b32_e32 v2, 2, v2
	v_cmp_eq_u32_e32 vcc, 0, v3
	v_and_b32_e32 v2, 0xfc, v2
	v_and_or_b32 v1, v1, 3, v2
	s_and_b64 s[28:29], vcc, s[28:29]
	v_cndmask_b32_e64 v1, v1, 0, s[28:29]
	v_or_b32_e32 v22, v1, v23
.LBB6_3873:                             ;   in Loop: Header=BB6_3735 Depth=3
	s_or_b64 exec, exec, s[38:39]
                                        ; implicit-def: $vgpr23
.LBB6_3874:                             ;   in Loop: Header=BB6_3735 Depth=3
	s_andn2_saveexec_b64 s[28:29], s[36:37]
; %bb.3875:                             ;   in Loop: Header=BB6_3735 Depth=3
	v_or_b32_e32 v22, 0x7b, v23
; %bb.3876:                             ;   in Loop: Header=BB6_3735 Depth=3
	s_or_b64 exec, exec, s[28:29]
                                        ; implicit-def: $vgpr3
                                        ; implicit-def: $vgpr1_vgpr2
.LBB6_3877:                             ;   in Loop: Header=BB6_3735 Depth=3
	s_andn2_saveexec_b64 s[28:29], s[34:35]
	s_cbranch_execz .LBB6_3883
; %bb.3878:                             ;   in Loop: Header=BB6_3735 Depth=3
	v_cmp_ne_u64_e32 vcc, 0, v[1:2]
                                        ; implicit-def: $vgpr22
	s_and_saveexec_b64 s[62:63], vcc
	s_xor_b64 vcc, exec, s[62:63]
; %bb.3879:                             ;   in Loop: Header=BB6_3735 Depth=3
	v_or_b32_sdwa v22, v3, s44 dst_sel:DWORD dst_unused:UNUSED_PAD src0_sel:BYTE_3 src1_sel:DWORD
                                        ; implicit-def: $vgpr3
; %bb.3880:                             ;   in Loop: Header=BB6_3735 Depth=3
	s_andn2_saveexec_b64 s[34:35], vcc
; %bb.3881:                             ;   in Loop: Header=BB6_3735 Depth=3
	v_cmp_lt_i32_e32 vcc, -1, v3
	v_bfrev_b32_e32 v1, 0.5
	v_mov_b32_e32 v2, 0x7c
	v_cndmask_b32_e32 v22, v1, v2, vcc
; %bb.3882:                             ;   in Loop: Header=BB6_3735 Depth=3
	s_or_b64 exec, exec, s[34:35]
.LBB6_3883:                             ;   in Loop: Header=BB6_3735 Depth=3
	s_or_b64 exec, exec, s[28:29]
	v_lshrrev_b16_e32 v1, 8, v0
	v_cmp_ne_u16_e32 vcc, 0, v1
	v_mov_b32_e32 v2, 0
	s_and_saveexec_b64 s[28:29], vcc
	s_cbranch_execz .LBB6_3891
; %bb.3884:                             ;   in Loop: Header=BB6_3735 Depth=3
	v_cmp_ne_u16_e32 vcc, s97, v1
	v_bfrev_b32_e32 v2, 1
	s_and_saveexec_b64 s[34:35], vcc
	s_cbranch_execz .LBB6_3890
; %bb.3885:                             ;   in Loop: Header=BB6_3735 Depth=3
	v_and_b32_e32 v2, 0x7c, v1
	v_and_b32_e32 v3, 3, v1
	v_cmp_ne_u32_e32 vcc, s86, v2
                                        ; implicit-def: $vgpr2
	s_and_saveexec_b64 s[62:63], vcc
	s_xor_b64 s[36:37], exec, s[62:63]
	s_cbranch_execz .LBB6_3887
; %bb.3886:                             ;   in Loop: Header=BB6_3735 Depth=3
	v_ffbh_u32_e32 v24, v3
	v_min_u32_e32 v24, 32, v24
	v_mov_b32_e32 v2, v33
	v_subrev_u32_e32 v25, 29, v24
	v_bfe_u32 v23, v1, 2, 5
	v_lshlrev_b64 v[1:2], v25, v[1:2]
	v_sub_u32_e32 v2, 30, v24
	v_cmp_eq_u32_e32 vcc, 0, v23
	v_lshlrev_b32_e32 v0, 16, v0
	v_and_b32_e32 v1, 3, v1
	v_cndmask_b32_e32 v2, v23, v2, vcc
	v_and_b32_e32 v0, 0x80000000, v0
	v_cndmask_b32_e32 v1, v3, v1, vcc
	v_lshl_add_u32 v0, v2, 23, v0
	v_lshl_or_b32 v0, v1, 21, v0
	v_add_u32_e32 v2, 0x38000000, v0
                                        ; implicit-def: $vgpr3
                                        ; implicit-def: $vgpr0_vgpr1
.LBB6_3887:                             ;   in Loop: Header=BB6_3735 Depth=3
	s_andn2_saveexec_b64 s[36:37], s[36:37]
; %bb.3888:                             ;   in Loop: Header=BB6_3735 Depth=3
	v_cmp_lt_i16_e32 vcc, -1, v0
	v_mov_b32_e32 v0, 0xff800000
	v_mov_b32_e32 v1, 0x7f800000
	v_cndmask_b32_e32 v0, v0, v1, vcc
	v_cmp_eq_u32_e32 vcc, 0, v3
	v_mov_b32_e32 v1, 0x7f800001
	v_cndmask_b32_e32 v2, v1, v0, vcc
; %bb.3889:                             ;   in Loop: Header=BB6_3735 Depth=3
	s_or_b64 exec, exec, s[36:37]
.LBB6_3890:                             ;   in Loop: Header=BB6_3735 Depth=3
	s_or_b64 exec, exec, s[34:35]
.LBB6_3891:                             ;   in Loop: Header=BB6_3735 Depth=3
	s_or_b64 exec, exec, s[28:29]
	v_mul_f32_e32 v2, v18, v2
	v_and_b32_e32 v23, 0x7f800000, v2
	v_mov_b32_e32 v24, v33
	v_cmp_ne_u64_e32 vcc, s[76:77], v[23:24]
	v_and_b32_e32 v0, 0x7fffff, v2
	v_mov_b32_e32 v1, v33
                                        ; implicit-def: $vgpr23
	s_and_saveexec_b64 s[28:29], vcc
	s_xor_b64 s[34:35], exec, s[28:29]
	s_cbranch_execz .LBB6_3905
; %bb.3892:                             ;   in Loop: Header=BB6_3735 Depth=3
	v_and_b32_e32 v23, 0x7fffffff, v2
	v_mov_b32_e32 v24, v33
	v_cmp_gt_u64_e32 vcc, s[78:79], v[23:24]
	v_and_b32_sdwa v3, v2, s97 dst_sel:DWORD dst_unused:UNUSED_PAD src0_sel:BYTE_3 src1_sel:DWORD
                                        ; implicit-def: $vgpr23
	s_and_saveexec_b64 s[28:29], vcc
	s_xor_b64 s[36:37], exec, s[28:29]
	s_cbranch_execz .LBB6_3902
; %bb.3893:                             ;   in Loop: Header=BB6_3735 Depth=3
	v_mov_b32_e32 v23, 0
	v_cmp_ne_u32_e32 vcc, 0, v2
	s_and_saveexec_b64 s[38:39], vcc
	s_cbranch_execz .LBB6_3901
; %bb.3894:                             ;   in Loop: Header=BB6_3735 Depth=3
	v_bfe_u32 v23, v2, 23, 8
	v_cmp_gt_u32_e64 s[28:29], s47, v23
	v_sub_u32_e32 v2, 0x71, v23
	v_cmp_eq_u32_e32 vcc, 0, v23
	v_cndmask_b32_e64 v2, 0, v2, s[28:29]
	v_mov_b32_e32 v24, 0x70
	v_cndmask_b32_e32 v24, v2, v24, vcc
	v_or_b32_e32 v25, 0x800000, v0
	v_add_u32_e32 v2, 21, v24
	v_cndmask_b32_e32 v0, v25, v0, vcc
	v_lshlrev_b64 v[25:26], v2, -1
	v_add_u32_e32 v2, 20, v24
	v_bfi_b32 v25, v25, 0, v0
	v_lshlrev_b64 v[27:28], v2, 1
	v_lshrrev_b64 v[0:1], v24, v[0:1]
	v_bfi_b32 v26, v26, 0, 0
	v_cmp_eq_u64_e64 s[28:29], v[25:26], v[27:28]
	v_mov_b32_e32 v2, v1
	v_mov_b32_e32 v1, v0
	s_and_saveexec_b64 s[48:49], s[28:29]
; %bb.3895:                             ;   in Loop: Header=BB6_3735 Depth=3
	v_bfe_u32 v1, v0, 21, 1
	v_add_co_u32_e64 v1, s[28:29], v0, v1
	v_add_co_u32_e64 v1, s[28:29], -1, v1
; %bb.3896:                             ;   in Loop: Header=BB6_3735 Depth=3
	s_or_b64 exec, exec, s[48:49]
	v_add_u32_e32 v2, 0xffffff81, v23
	v_mov_b32_e32 v23, 0xffffff82
	v_cndmask_b32_e32 v2, v2, v23, vcc
	v_lshrrev_b32_e32 v23, 23, v0
	v_add3_u32 v24, v24, v2, v23
	v_add_u32_e32 v23, 14, v24
	v_and_b32_e32 v1, 0x1fffff, v1
	v_add_u32_e32 v0, v1, v0
	v_mov_b32_e32 v1, v33
	v_cmp_ne_u32_e32 vcc, 0, v23
                                        ; implicit-def: $vgpr2
	s_and_saveexec_b64 s[28:29], vcc
	s_xor_b64 s[28:29], exec, s[28:29]
; %bb.3897:                             ;   in Loop: Header=BB6_3735 Depth=3
	v_cmp_lt_u64_e32 vcc, s[88:89], v[0:1]
	v_add_u32_e32 v2, 15, v24
	v_cndmask_b32_e32 v2, v23, v2, vcc
	v_cndmask_b32_e64 v23, 0, 1, vcc
	v_lshrrev_b64 v[0:1], v23, v[0:1]
; %bb.3898:                             ;   in Loop: Header=BB6_3735 Depth=3
	s_andn2_saveexec_b64 s[28:29], s[28:29]
; %bb.3899:                             ;   in Loop: Header=BB6_3735 Depth=3
	v_bfe_u32 v2, v0, 23, 1
; %bb.3900:                             ;   in Loop: Header=BB6_3735 Depth=3
	s_or_b64 exec, exec, s[28:29]
	v_lshrrev_b64 v[0:1], 21, v[0:1]
	v_cmp_gt_i32_e32 vcc, 32, v2
	v_cndmask_b32_e32 v1, 0, v1, vcc
	v_cndmask_b32_e32 v0, 3, v0, vcc
	v_cmp_eq_u64_e64 s[28:29], 0, v[0:1]
	v_min_i32_e32 v1, 31, v2
	v_lshlrev_b32_e32 v1, 2, v1
	v_cmp_eq_u32_e32 vcc, 0, v2
	v_and_b32_e32 v1, 0xfc, v1
	v_and_or_b32 v0, v0, 3, v1
	s_and_b64 s[28:29], vcc, s[28:29]
	v_cndmask_b32_e64 v0, v0, 0, s[28:29]
	v_or_b32_e32 v23, v0, v3
.LBB6_3901:                             ;   in Loop: Header=BB6_3735 Depth=3
	s_or_b64 exec, exec, s[38:39]
                                        ; implicit-def: $vgpr3
.LBB6_3902:                             ;   in Loop: Header=BB6_3735 Depth=3
	s_andn2_saveexec_b64 s[28:29], s[36:37]
; %bb.3903:                             ;   in Loop: Header=BB6_3735 Depth=3
	v_or_b32_e32 v23, 0x7b, v3
; %bb.3904:                             ;   in Loop: Header=BB6_3735 Depth=3
	s_or_b64 exec, exec, s[28:29]
                                        ; implicit-def: $vgpr2
                                        ; implicit-def: $vgpr0_vgpr1
.LBB6_3905:                             ;   in Loop: Header=BB6_3735 Depth=3
	s_andn2_saveexec_b64 s[28:29], s[34:35]
	s_cbranch_execz .LBB6_3911
; %bb.3906:                             ;   in Loop: Header=BB6_3735 Depth=3
	v_cmp_ne_u64_e32 vcc, 0, v[0:1]
                                        ; implicit-def: $vgpr23
	s_and_saveexec_b64 s[62:63], vcc
	s_xor_b64 vcc, exec, s[62:63]
; %bb.3907:                             ;   in Loop: Header=BB6_3735 Depth=3
	v_or_b32_sdwa v23, v2, s44 dst_sel:DWORD dst_unused:UNUSED_PAD src0_sel:BYTE_3 src1_sel:DWORD
                                        ; implicit-def: $vgpr2
; %bb.3908:                             ;   in Loop: Header=BB6_3735 Depth=3
	s_andn2_saveexec_b64 s[34:35], vcc
; %bb.3909:                             ;   in Loop: Header=BB6_3735 Depth=3
	v_cmp_lt_i32_e32 vcc, -1, v2
	v_bfrev_b32_e32 v0, 0.5
	v_mov_b32_e32 v1, 0x7c
	v_cndmask_b32_e32 v23, v0, v1, vcc
; %bb.3910:                             ;   in Loop: Header=BB6_3735 Depth=3
	s_or_b64 exec, exec, s[34:35]
.LBB6_3911:                             ;   in Loop: Header=BB6_3735 Depth=3
	s_or_b64 exec, exec, s[28:29]
	v_lshrrev_b32_e32 v0, 16, v9
	v_cmp_ne_u16_sdwa s[62:63], v0, v33 src0_sel:BYTE_0 src1_sel:DWORD
	v_mov_b32_e32 v1, 0
	s_and_saveexec_b64 s[28:29], s[62:63]
	s_cbranch_execz .LBB6_3919
; %bb.3912:                             ;   in Loop: Header=BB6_3735 Depth=3
	v_cmp_ne_u16_sdwa s[62:63], v0, s97 src0_sel:BYTE_0 src1_sel:DWORD
	v_bfrev_b32_e32 v1, 1
	s_and_saveexec_b64 s[34:35], s[62:63]
	s_cbranch_execz .LBB6_3918
; %bb.3913:                             ;   in Loop: Header=BB6_3735 Depth=3
	v_and_b32_e32 v1, 0x7c0000, v9
	v_bfe_u32 v2, v9, 16, 2
	v_cmp_ne_u32_e32 vcc, s45, v1
                                        ; implicit-def: $vgpr1
	s_and_saveexec_b64 s[62:63], vcc
	s_xor_b64 s[36:37], exec, s[62:63]
	s_cbranch_execz .LBB6_3915
; %bb.3914:                             ;   in Loop: Header=BB6_3735 Depth=3
	v_ffbh_u32_e32 v1, v2
	v_min_u32_e32 v24, 32, v1
	v_subrev_u32_e32 v1, 29, v24
	v_lshlrev_b64 v[0:1], v1, v[0:1]
	v_bfe_u32 v3, v9, 18, 5
	v_and_b32_e32 v0, 3, v0
	v_cmp_eq_u32_e32 vcc, 0, v3
	v_sub_u32_e32 v1, 30, v24
	v_cndmask_b32_e32 v0, v2, v0, vcc
	v_lshlrev_b32_e32 v2, 8, v9
	v_cndmask_b32_e32 v1, v3, v1, vcc
	v_and_b32_e32 v2, 0x80000000, v2
	v_lshl_add_u32 v1, v1, 23, v2
	v_lshl_or_b32 v0, v0, 21, v1
	v_add_u32_e32 v1, 0x38000000, v0
                                        ; implicit-def: $vgpr2
                                        ; implicit-def: $vgpr0
.LBB6_3915:                             ;   in Loop: Header=BB6_3735 Depth=3
	s_andn2_saveexec_b64 s[36:37], s[36:37]
; %bb.3916:                             ;   in Loop: Header=BB6_3735 Depth=3
	v_mov_b32_e32 v1, -1
	v_cmp_gt_i16_sdwa vcc, sext(v0), v1 src0_sel:BYTE_0 src1_sel:DWORD
	v_mov_b32_e32 v0, 0xff800000
	v_mov_b32_e32 v1, 0x7f800000
	v_cndmask_b32_e32 v0, v0, v1, vcc
	v_cmp_eq_u32_e32 vcc, 0, v2
	v_mov_b32_e32 v1, 0x7f800001
	v_cndmask_b32_e32 v1, v1, v0, vcc
; %bb.3917:                             ;   in Loop: Header=BB6_3735 Depth=3
	s_or_b64 exec, exec, s[36:37]
.LBB6_3918:                             ;   in Loop: Header=BB6_3735 Depth=3
	s_or_b64 exec, exec, s[34:35]
.LBB6_3919:                             ;   in Loop: Header=BB6_3735 Depth=3
	s_or_b64 exec, exec, s[28:29]
	v_mul_f32_e32 v2, v18, v1
	v_and_b32_e32 v24, 0x7f800000, v2
	v_mov_b32_e32 v25, v33
	v_cmp_ne_u64_e32 vcc, s[76:77], v[24:25]
	v_and_b32_e32 v0, 0x7fffff, v2
	v_mov_b32_e32 v1, v33
                                        ; implicit-def: $vgpr24
	s_and_saveexec_b64 s[28:29], vcc
	s_xor_b64 s[34:35], exec, s[28:29]
	s_cbranch_execz .LBB6_3933
; %bb.3920:                             ;   in Loop: Header=BB6_3735 Depth=3
	v_and_b32_e32 v24, 0x7fffffff, v2
	v_mov_b32_e32 v25, v33
	v_cmp_gt_u64_e32 vcc, s[78:79], v[24:25]
	v_and_b32_sdwa v3, v2, s97 dst_sel:DWORD dst_unused:UNUSED_PAD src0_sel:BYTE_3 src1_sel:DWORD
                                        ; implicit-def: $vgpr24
	s_and_saveexec_b64 s[28:29], vcc
	s_xor_b64 s[36:37], exec, s[28:29]
	s_cbranch_execz .LBB6_3930
; %bb.3921:                             ;   in Loop: Header=BB6_3735 Depth=3
	v_mov_b32_e32 v24, 0
	v_cmp_ne_u32_e32 vcc, 0, v2
	s_and_saveexec_b64 s[38:39], vcc
	s_cbranch_execz .LBB6_3929
; %bb.3922:                             ;   in Loop: Header=BB6_3735 Depth=3
	v_bfe_u32 v24, v2, 23, 8
	v_cmp_gt_u32_e64 s[28:29], s47, v24
	v_sub_u32_e32 v2, 0x71, v24
	v_cmp_eq_u32_e32 vcc, 0, v24
	v_cndmask_b32_e64 v2, 0, v2, s[28:29]
	v_mov_b32_e32 v25, 0x70
	v_cndmask_b32_e32 v25, v2, v25, vcc
	v_or_b32_e32 v26, 0x800000, v0
	v_add_u32_e32 v2, 21, v25
	v_cndmask_b32_e32 v0, v26, v0, vcc
	v_lshlrev_b64 v[26:27], v2, -1
	v_add_u32_e32 v2, 20, v25
	v_bfi_b32 v26, v26, 0, v0
	v_lshlrev_b64 v[28:29], v2, 1
	v_lshrrev_b64 v[0:1], v25, v[0:1]
	v_bfi_b32 v27, v27, 0, 0
	v_cmp_eq_u64_e64 s[28:29], v[26:27], v[28:29]
	v_mov_b32_e32 v2, v1
	v_mov_b32_e32 v1, v0
	s_and_saveexec_b64 s[48:49], s[28:29]
; %bb.3923:                             ;   in Loop: Header=BB6_3735 Depth=3
	v_bfe_u32 v1, v0, 21, 1
	v_add_co_u32_e64 v1, s[28:29], v0, v1
	v_add_co_u32_e64 v1, s[28:29], -1, v1
; %bb.3924:                             ;   in Loop: Header=BB6_3735 Depth=3
	s_or_b64 exec, exec, s[48:49]
	v_add_u32_e32 v2, 0xffffff81, v24
	v_mov_b32_e32 v24, 0xffffff82
	v_cndmask_b32_e32 v2, v2, v24, vcc
	v_lshrrev_b32_e32 v24, 23, v0
	v_add3_u32 v25, v25, v2, v24
	v_add_u32_e32 v24, 14, v25
	v_and_b32_e32 v1, 0x1fffff, v1
	v_add_u32_e32 v0, v1, v0
	v_mov_b32_e32 v1, v33
	v_cmp_ne_u32_e32 vcc, 0, v24
                                        ; implicit-def: $vgpr2
	s_and_saveexec_b64 s[28:29], vcc
	s_xor_b64 s[28:29], exec, s[28:29]
; %bb.3925:                             ;   in Loop: Header=BB6_3735 Depth=3
	v_cmp_lt_u64_e32 vcc, s[88:89], v[0:1]
	v_add_u32_e32 v2, 15, v25
	v_cndmask_b32_e32 v2, v24, v2, vcc
	v_cndmask_b32_e64 v24, 0, 1, vcc
	v_lshrrev_b64 v[0:1], v24, v[0:1]
; %bb.3926:                             ;   in Loop: Header=BB6_3735 Depth=3
	s_andn2_saveexec_b64 s[28:29], s[28:29]
; %bb.3927:                             ;   in Loop: Header=BB6_3735 Depth=3
	v_bfe_u32 v2, v0, 23, 1
; %bb.3928:                             ;   in Loop: Header=BB6_3735 Depth=3
	s_or_b64 exec, exec, s[28:29]
	v_lshrrev_b64 v[0:1], 21, v[0:1]
	v_cmp_gt_i32_e32 vcc, 32, v2
	v_cndmask_b32_e32 v1, 0, v1, vcc
	v_cndmask_b32_e32 v0, 3, v0, vcc
	v_cmp_eq_u64_e64 s[28:29], 0, v[0:1]
	v_min_i32_e32 v1, 31, v2
	v_lshlrev_b32_e32 v1, 2, v1
	v_cmp_eq_u32_e32 vcc, 0, v2
	v_and_b32_e32 v1, 0xfc, v1
	v_and_or_b32 v0, v0, 3, v1
	s_and_b64 s[28:29], vcc, s[28:29]
	v_cndmask_b32_e64 v0, v0, 0, s[28:29]
	v_or_b32_e32 v24, v0, v3
.LBB6_3929:                             ;   in Loop: Header=BB6_3735 Depth=3
	s_or_b64 exec, exec, s[38:39]
                                        ; implicit-def: $vgpr3
.LBB6_3930:                             ;   in Loop: Header=BB6_3735 Depth=3
	s_andn2_saveexec_b64 s[28:29], s[36:37]
; %bb.3931:                             ;   in Loop: Header=BB6_3735 Depth=3
	v_or_b32_e32 v24, 0x7b, v3
; %bb.3932:                             ;   in Loop: Header=BB6_3735 Depth=3
	s_or_b64 exec, exec, s[28:29]
                                        ; implicit-def: $vgpr2
                                        ; implicit-def: $vgpr0_vgpr1
.LBB6_3933:                             ;   in Loop: Header=BB6_3735 Depth=3
	s_andn2_saveexec_b64 s[28:29], s[34:35]
	s_cbranch_execz .LBB6_3939
; %bb.3934:                             ;   in Loop: Header=BB6_3735 Depth=3
	v_cmp_ne_u64_e32 vcc, 0, v[0:1]
                                        ; implicit-def: $vgpr24
	s_and_saveexec_b64 s[62:63], vcc
	s_xor_b64 vcc, exec, s[62:63]
; %bb.3935:                             ;   in Loop: Header=BB6_3735 Depth=3
	v_or_b32_sdwa v24, v2, s44 dst_sel:DWORD dst_unused:UNUSED_PAD src0_sel:BYTE_3 src1_sel:DWORD
                                        ; implicit-def: $vgpr2
; %bb.3936:                             ;   in Loop: Header=BB6_3735 Depth=3
	s_andn2_saveexec_b64 s[34:35], vcc
; %bb.3937:                             ;   in Loop: Header=BB6_3735 Depth=3
	v_cmp_lt_i32_e32 vcc, -1, v2
	v_bfrev_b32_e32 v0, 0.5
	v_mov_b32_e32 v1, 0x7c
	v_cndmask_b32_e32 v24, v0, v1, vcc
; %bb.3938:                             ;   in Loop: Header=BB6_3735 Depth=3
	s_or_b64 exec, exec, s[34:35]
.LBB6_3939:                             ;   in Loop: Header=BB6_3735 Depth=3
	s_or_b64 exec, exec, s[28:29]
	v_cmp_lt_u64_e32 vcc, s[56:57], v[8:9]
	v_mov_b32_e32 v1, 0
	s_and_saveexec_b64 s[28:29], vcc
	s_cbranch_execz .LBB6_3947
; %bb.3940:                             ;   in Loop: Header=BB6_3735 Depth=3
	v_lshrrev_b32_e32 v0, 24, v9
	v_cmp_ne_u32_e32 vcc, s97, v0
	v_bfrev_b32_e32 v1, 1
	s_and_saveexec_b64 s[34:35], vcc
	s_cbranch_execz .LBB6_3946
; %bb.3941:                             ;   in Loop: Header=BB6_3735 Depth=3
	v_and_b32_e32 v1, 0x7c000000, v9
	v_bfe_u32 v2, v9, 24, 2
	v_cmp_ne_u32_e32 vcc, s68, v1
                                        ; implicit-def: $vgpr1
	s_and_saveexec_b64 s[62:63], vcc
	s_xor_b64 s[36:37], exec, s[62:63]
	s_cbranch_execz .LBB6_3943
; %bb.3942:                             ;   in Loop: Header=BB6_3735 Depth=3
	v_ffbh_u32_e32 v1, v2
	v_min_u32_e32 v25, 32, v1
	v_subrev_u32_e32 v1, 29, v25
	v_lshlrev_b64 v[0:1], v1, v[0:1]
	v_bfe_u32 v3, v9, 26, 5
	v_sub_u32_e32 v1, 30, v25
	v_and_b32_e32 v0, 3, v0
	v_cmp_eq_u32_e32 vcc, 0, v3
	v_cndmask_b32_e32 v1, v3, v1, vcc
	v_cndmask_b32_e32 v0, v2, v0, vcc
	v_and_b32_e32 v2, 0x80000000, v9
	v_lshl_add_u32 v1, v1, 23, v2
	v_lshl_or_b32 v0, v0, 21, v1
	v_add_u32_e32 v1, 0x38000000, v0
                                        ; implicit-def: $vgpr2
.LBB6_3943:                             ;   in Loop: Header=BB6_3735 Depth=3
	s_andn2_saveexec_b64 s[36:37], s[36:37]
; %bb.3944:                             ;   in Loop: Header=BB6_3735 Depth=3
	v_cmp_lt_i64_e32 vcc, -1, v[8:9]
	v_mov_b32_e32 v0, 0xff800000
	v_mov_b32_e32 v1, 0x7f800000
	v_cndmask_b32_e32 v0, v0, v1, vcc
	v_cmp_eq_u32_e32 vcc, 0, v2
	v_mov_b32_e32 v1, 0x7f800001
	v_cndmask_b32_e32 v1, v1, v0, vcc
; %bb.3945:                             ;   in Loop: Header=BB6_3735 Depth=3
	s_or_b64 exec, exec, s[36:37]
.LBB6_3946:                             ;   in Loop: Header=BB6_3735 Depth=3
	s_or_b64 exec, exec, s[34:35]
.LBB6_3947:                             ;   in Loop: Header=BB6_3735 Depth=3
	s_or_b64 exec, exec, s[28:29]
	v_mul_f32_e32 v2, v18, v1
	v_and_b32_e32 v8, 0x7f800000, v2
	v_mov_b32_e32 v9, v33
	v_cmp_ne_u64_e32 vcc, s[76:77], v[8:9]
	v_and_b32_e32 v0, 0x7fffff, v2
	v_mov_b32_e32 v1, v33
                                        ; implicit-def: $vgpr8
	s_and_saveexec_b64 s[28:29], vcc
	s_xor_b64 s[34:35], exec, s[28:29]
	s_cbranch_execz .LBB6_3961
; %bb.3948:                             ;   in Loop: Header=BB6_3735 Depth=3
	v_and_b32_e32 v8, 0x7fffffff, v2
	v_mov_b32_e32 v9, v33
	v_cmp_gt_u64_e32 vcc, s[78:79], v[8:9]
	v_and_b32_sdwa v3, v2, s97 dst_sel:DWORD dst_unused:UNUSED_PAD src0_sel:BYTE_3 src1_sel:DWORD
                                        ; implicit-def: $vgpr8
	s_and_saveexec_b64 s[28:29], vcc
	s_xor_b64 s[36:37], exec, s[28:29]
	s_cbranch_execz .LBB6_3958
; %bb.3949:                             ;   in Loop: Header=BB6_3735 Depth=3
	v_mov_b32_e32 v8, 0
	v_cmp_ne_u32_e32 vcc, 0, v2
	s_and_saveexec_b64 s[38:39], vcc
	s_cbranch_execz .LBB6_3957
; %bb.3950:                             ;   in Loop: Header=BB6_3735 Depth=3
	v_bfe_u32 v8, v2, 23, 8
	v_cmp_gt_u32_e64 s[28:29], s47, v8
	v_sub_u32_e32 v2, 0x71, v8
	v_cmp_eq_u32_e32 vcc, 0, v8
	v_cndmask_b32_e64 v2, 0, v2, s[28:29]
	v_mov_b32_e32 v9, 0x70
	v_cndmask_b32_e32 v9, v2, v9, vcc
	v_or_b32_e32 v25, 0x800000, v0
	v_add_u32_e32 v2, 21, v9
	v_cndmask_b32_e32 v0, v25, v0, vcc
	v_lshlrev_b64 v[25:26], v2, -1
	v_add_u32_e32 v2, 20, v9
	v_bfi_b32 v25, v25, 0, v0
	v_lshlrev_b64 v[27:28], v2, 1
	v_lshrrev_b64 v[0:1], v9, v[0:1]
	v_bfi_b32 v26, v26, 0, 0
	v_cmp_eq_u64_e64 s[28:29], v[25:26], v[27:28]
	v_mov_b32_e32 v2, v1
	v_mov_b32_e32 v1, v0
	s_and_saveexec_b64 s[48:49], s[28:29]
; %bb.3951:                             ;   in Loop: Header=BB6_3735 Depth=3
	v_bfe_u32 v1, v0, 21, 1
	v_add_co_u32_e64 v1, s[28:29], v0, v1
	v_add_co_u32_e64 v1, s[28:29], -1, v1
; %bb.3952:                             ;   in Loop: Header=BB6_3735 Depth=3
	s_or_b64 exec, exec, s[48:49]
	v_add_u32_e32 v2, 0xffffff81, v8
	v_mov_b32_e32 v8, 0xffffff82
	v_cndmask_b32_e32 v2, v2, v8, vcc
	v_lshrrev_b32_e32 v8, 23, v0
	v_add3_u32 v9, v9, v2, v8
	v_add_u32_e32 v8, 14, v9
	v_and_b32_e32 v1, 0x1fffff, v1
	v_add_u32_e32 v0, v1, v0
	v_mov_b32_e32 v1, v33
	v_cmp_ne_u32_e32 vcc, 0, v8
                                        ; implicit-def: $vgpr2
	s_and_saveexec_b64 s[28:29], vcc
	s_xor_b64 s[28:29], exec, s[28:29]
; %bb.3953:                             ;   in Loop: Header=BB6_3735 Depth=3
	v_cmp_lt_u64_e32 vcc, s[88:89], v[0:1]
	v_add_u32_e32 v2, 15, v9
	v_cndmask_b32_e32 v2, v8, v2, vcc
	v_cndmask_b32_e64 v8, 0, 1, vcc
	v_lshrrev_b64 v[0:1], v8, v[0:1]
; %bb.3954:                             ;   in Loop: Header=BB6_3735 Depth=3
	s_andn2_saveexec_b64 s[28:29], s[28:29]
; %bb.3955:                             ;   in Loop: Header=BB6_3735 Depth=3
	v_bfe_u32 v2, v0, 23, 1
; %bb.3956:                             ;   in Loop: Header=BB6_3735 Depth=3
	s_or_b64 exec, exec, s[28:29]
	v_lshrrev_b64 v[0:1], 21, v[0:1]
	v_cmp_gt_i32_e32 vcc, 32, v2
	v_cndmask_b32_e32 v1, 0, v1, vcc
	v_cndmask_b32_e32 v0, 3, v0, vcc
	v_cmp_eq_u64_e64 s[28:29], 0, v[0:1]
	v_min_i32_e32 v1, 31, v2
	v_lshlrev_b32_e32 v1, 2, v1
	v_cmp_eq_u32_e32 vcc, 0, v2
	v_and_b32_e32 v1, 0xfc, v1
	v_and_or_b32 v0, v0, 3, v1
	s_and_b64 s[28:29], vcc, s[28:29]
	v_cndmask_b32_e64 v0, v0, 0, s[28:29]
	v_or_b32_e32 v8, v0, v3
.LBB6_3957:                             ;   in Loop: Header=BB6_3735 Depth=3
	s_or_b64 exec, exec, s[38:39]
                                        ; implicit-def: $vgpr3
.LBB6_3958:                             ;   in Loop: Header=BB6_3735 Depth=3
	s_andn2_saveexec_b64 s[28:29], s[36:37]
; %bb.3959:                             ;   in Loop: Header=BB6_3735 Depth=3
	v_or_b32_e32 v8, 0x7b, v3
; %bb.3960:                             ;   in Loop: Header=BB6_3735 Depth=3
	s_or_b64 exec, exec, s[28:29]
                                        ; implicit-def: $vgpr2
                                        ; implicit-def: $vgpr0_vgpr1
.LBB6_3961:                             ;   in Loop: Header=BB6_3735 Depth=3
	s_andn2_saveexec_b64 s[28:29], s[34:35]
	s_cbranch_execz .LBB6_3967
; %bb.3962:                             ;   in Loop: Header=BB6_3735 Depth=3
	v_cmp_ne_u64_e32 vcc, 0, v[0:1]
                                        ; implicit-def: $vgpr8
	s_and_saveexec_b64 s[62:63], vcc
	s_xor_b64 vcc, exec, s[62:63]
; %bb.3963:                             ;   in Loop: Header=BB6_3735 Depth=3
	v_or_b32_sdwa v8, v2, s44 dst_sel:DWORD dst_unused:UNUSED_PAD src0_sel:BYTE_3 src1_sel:DWORD
                                        ; implicit-def: $vgpr2
; %bb.3964:                             ;   in Loop: Header=BB6_3735 Depth=3
	s_andn2_saveexec_b64 s[34:35], vcc
; %bb.3965:                             ;   in Loop: Header=BB6_3735 Depth=3
	v_cmp_lt_i32_e32 vcc, -1, v2
	v_bfrev_b32_e32 v0, 0.5
	v_mov_b32_e32 v1, 0x7c
	v_cndmask_b32_e32 v8, v0, v1, vcc
; %bb.3966:                             ;   in Loop: Header=BB6_3735 Depth=3
	s_or_b64 exec, exec, s[34:35]
.LBB6_3967:                             ;   in Loop: Header=BB6_3735 Depth=3
	s_or_b64 exec, exec, s[28:29]
	v_cmp_ne_u16_sdwa s[62:63], v10, v33 src0_sel:BYTE_0 src1_sel:DWORD
	v_mov_b32_e32 v0, 0
	s_and_saveexec_b64 s[28:29], s[62:63]
	s_cbranch_execz .LBB6_3975
; %bb.3968:                             ;   in Loop: Header=BB6_3735 Depth=3
	v_cmp_ne_u16_sdwa s[62:63], sext(v10), s46 src0_sel:BYTE_0 src1_sel:DWORD
	v_bfrev_b32_e32 v0, 1
	s_and_saveexec_b64 s[34:35], s[62:63]
	s_cbranch_execz .LBB6_3974
; %bb.3969:                             ;   in Loop: Header=BB6_3735 Depth=3
	v_and_b32_e32 v0, 0x7c, v10
	v_and_b32_e32 v1, 3, v10
	v_cmp_ne_u32_e32 vcc, s86, v0
                                        ; implicit-def: $vgpr0
	s_and_saveexec_b64 s[62:63], vcc
	s_xor_b64 s[36:37], exec, s[62:63]
	s_cbranch_execz .LBB6_3971
; %bb.3970:                             ;   in Loop: Header=BB6_3735 Depth=3
	v_ffbh_u32_e32 v2, v1
	v_min_u32_e32 v9, 32, v2
	v_subrev_u32_e32 v2, 29, v9
	v_lshlrev_b64 v[2:3], v2, v[10:11]
	v_bfe_u32 v0, v10, 2, 5
	v_and_b32_e32 v2, 3, v2
	v_cmp_eq_u32_e32 vcc, 0, v0
	v_sub_u32_e32 v3, 30, v9
	v_cndmask_b32_e32 v1, v1, v2, vcc
	v_lshlrev_b32_e32 v2, 24, v10
	v_cndmask_b32_e32 v0, v0, v3, vcc
	v_and_b32_e32 v2, 0x80000000, v2
	v_lshl_add_u32 v0, v0, 23, v2
	v_lshl_or_b32 v0, v1, 21, v0
	v_add_u32_e32 v0, 0x38000000, v0
                                        ; implicit-def: $vgpr1
.LBB6_3971:                             ;   in Loop: Header=BB6_3735 Depth=3
	s_andn2_saveexec_b64 s[36:37], s[36:37]
; %bb.3972:                             ;   in Loop: Header=BB6_3735 Depth=3
	v_mov_b32_e32 v0, -1
	v_cmp_gt_i16_sdwa vcc, sext(v10), v0 src0_sel:BYTE_0 src1_sel:DWORD
	v_mov_b32_e32 v0, 0xff800000
	v_mov_b32_e32 v2, 0x7f800000
	v_cndmask_b32_e32 v0, v0, v2, vcc
	v_cmp_eq_u32_e32 vcc, 0, v1
	v_mov_b32_e32 v1, 0x7f800001
	v_cndmask_b32_e32 v0, v1, v0, vcc
; %bb.3973:                             ;   in Loop: Header=BB6_3735 Depth=3
	s_or_b64 exec, exec, s[36:37]
.LBB6_3974:                             ;   in Loop: Header=BB6_3735 Depth=3
	s_or_b64 exec, exec, s[34:35]
.LBB6_3975:                             ;   in Loop: Header=BB6_3735 Depth=3
	s_or_b64 exec, exec, s[28:29]
	v_mul_f32_e32 v2, v18, v0
	v_and_b32_e32 v25, 0x7f800000, v2
	v_mov_b32_e32 v26, v33
	v_cmp_ne_u64_e32 vcc, s[76:77], v[25:26]
	v_and_b32_e32 v0, 0x7fffff, v2
	v_mov_b32_e32 v1, v33
                                        ; implicit-def: $vgpr9
	s_and_saveexec_b64 s[28:29], vcc
	s_xor_b64 s[34:35], exec, s[28:29]
	s_cbranch_execz .LBB6_3989
; %bb.3976:                             ;   in Loop: Header=BB6_3735 Depth=3
	v_and_b32_e32 v25, 0x7fffffff, v2
	v_mov_b32_e32 v26, v33
	v_cmp_gt_u64_e32 vcc, s[78:79], v[25:26]
	v_and_b32_sdwa v3, v2, s97 dst_sel:DWORD dst_unused:UNUSED_PAD src0_sel:BYTE_3 src1_sel:DWORD
                                        ; implicit-def: $vgpr9
	s_and_saveexec_b64 s[28:29], vcc
	s_xor_b64 s[36:37], exec, s[28:29]
	s_cbranch_execz .LBB6_3986
; %bb.3977:                             ;   in Loop: Header=BB6_3735 Depth=3
	v_mov_b32_e32 v9, 0
	v_cmp_ne_u32_e32 vcc, 0, v2
	s_and_saveexec_b64 s[38:39], vcc
	s_cbranch_execz .LBB6_3985
; %bb.3978:                             ;   in Loop: Header=BB6_3735 Depth=3
	v_bfe_u32 v9, v2, 23, 8
	v_cmp_gt_u32_e64 s[28:29], s47, v9
	v_sub_u32_e32 v2, 0x71, v9
	v_cmp_eq_u32_e32 vcc, 0, v9
	v_cndmask_b32_e64 v2, 0, v2, s[28:29]
	v_mov_b32_e32 v25, 0x70
	v_cndmask_b32_e32 v25, v2, v25, vcc
	v_or_b32_e32 v26, 0x800000, v0
	v_add_u32_e32 v2, 21, v25
	v_cndmask_b32_e32 v0, v26, v0, vcc
	v_lshlrev_b64 v[26:27], v2, -1
	v_add_u32_e32 v2, 20, v25
	v_bfi_b32 v26, v26, 0, v0
	v_lshlrev_b64 v[28:29], v2, 1
	v_lshrrev_b64 v[0:1], v25, v[0:1]
	v_bfi_b32 v27, v27, 0, 0
	v_cmp_eq_u64_e64 s[28:29], v[26:27], v[28:29]
	v_mov_b32_e32 v2, v1
	v_mov_b32_e32 v1, v0
	s_and_saveexec_b64 s[48:49], s[28:29]
; %bb.3979:                             ;   in Loop: Header=BB6_3735 Depth=3
	v_bfe_u32 v1, v0, 21, 1
	v_add_co_u32_e64 v1, s[28:29], v0, v1
	v_add_co_u32_e64 v1, s[28:29], -1, v1
; %bb.3980:                             ;   in Loop: Header=BB6_3735 Depth=3
	s_or_b64 exec, exec, s[48:49]
	v_add_u32_e32 v2, 0xffffff81, v9
	v_mov_b32_e32 v9, 0xffffff82
	v_cndmask_b32_e32 v2, v2, v9, vcc
	v_lshrrev_b32_e32 v9, 23, v0
	v_add3_u32 v25, v25, v2, v9
	v_add_u32_e32 v9, 14, v25
	v_and_b32_e32 v1, 0x1fffff, v1
	v_add_u32_e32 v0, v1, v0
	v_mov_b32_e32 v1, v33
	v_cmp_ne_u32_e32 vcc, 0, v9
                                        ; implicit-def: $vgpr2
	s_and_saveexec_b64 s[28:29], vcc
	s_xor_b64 s[28:29], exec, s[28:29]
; %bb.3981:                             ;   in Loop: Header=BB6_3735 Depth=3
	v_cmp_lt_u64_e32 vcc, s[88:89], v[0:1]
	v_add_u32_e32 v2, 15, v25
	v_cndmask_b32_e32 v2, v9, v2, vcc
	v_cndmask_b32_e64 v9, 0, 1, vcc
	v_lshrrev_b64 v[0:1], v9, v[0:1]
; %bb.3982:                             ;   in Loop: Header=BB6_3735 Depth=3
	s_andn2_saveexec_b64 s[28:29], s[28:29]
; %bb.3983:                             ;   in Loop: Header=BB6_3735 Depth=3
	v_bfe_u32 v2, v0, 23, 1
; %bb.3984:                             ;   in Loop: Header=BB6_3735 Depth=3
	s_or_b64 exec, exec, s[28:29]
	v_lshrrev_b64 v[0:1], 21, v[0:1]
	v_cmp_gt_i32_e32 vcc, 32, v2
	v_cndmask_b32_e32 v1, 0, v1, vcc
	v_cndmask_b32_e32 v0, 3, v0, vcc
	v_cmp_eq_u64_e64 s[28:29], 0, v[0:1]
	v_min_i32_e32 v1, 31, v2
	v_lshlrev_b32_e32 v1, 2, v1
	v_cmp_eq_u32_e32 vcc, 0, v2
	v_and_b32_e32 v1, 0xfc, v1
	v_and_or_b32 v0, v0, 3, v1
	s_and_b64 s[28:29], vcc, s[28:29]
	v_cndmask_b32_e64 v0, v0, 0, s[28:29]
	v_or_b32_e32 v9, v0, v3
.LBB6_3985:                             ;   in Loop: Header=BB6_3735 Depth=3
	s_or_b64 exec, exec, s[38:39]
                                        ; implicit-def: $vgpr3
.LBB6_3986:                             ;   in Loop: Header=BB6_3735 Depth=3
	s_andn2_saveexec_b64 s[28:29], s[36:37]
; %bb.3987:                             ;   in Loop: Header=BB6_3735 Depth=3
	v_or_b32_e32 v9, 0x7b, v3
; %bb.3988:                             ;   in Loop: Header=BB6_3735 Depth=3
	s_or_b64 exec, exec, s[28:29]
                                        ; implicit-def: $vgpr2
                                        ; implicit-def: $vgpr0_vgpr1
.LBB6_3989:                             ;   in Loop: Header=BB6_3735 Depth=3
	s_andn2_saveexec_b64 s[28:29], s[34:35]
	s_cbranch_execz .LBB6_3995
; %bb.3990:                             ;   in Loop: Header=BB6_3735 Depth=3
	v_cmp_ne_u64_e32 vcc, 0, v[0:1]
                                        ; implicit-def: $vgpr9
	s_and_saveexec_b64 s[62:63], vcc
	s_xor_b64 vcc, exec, s[62:63]
; %bb.3991:                             ;   in Loop: Header=BB6_3735 Depth=3
	v_or_b32_sdwa v9, v2, s44 dst_sel:DWORD dst_unused:UNUSED_PAD src0_sel:BYTE_3 src1_sel:DWORD
                                        ; implicit-def: $vgpr2
; %bb.3992:                             ;   in Loop: Header=BB6_3735 Depth=3
	s_andn2_saveexec_b64 s[34:35], vcc
; %bb.3993:                             ;   in Loop: Header=BB6_3735 Depth=3
	v_cmp_lt_i32_e32 vcc, -1, v2
	v_bfrev_b32_e32 v0, 0.5
	v_mov_b32_e32 v1, 0x7c
	v_cndmask_b32_e32 v9, v0, v1, vcc
; %bb.3994:                             ;   in Loop: Header=BB6_3735 Depth=3
	s_or_b64 exec, exec, s[34:35]
.LBB6_3995:                             ;   in Loop: Header=BB6_3735 Depth=3
	s_or_b64 exec, exec, s[28:29]
	v_lshrrev_b16_e32 v0, 8, v10
	v_cmp_ne_u16_e32 vcc, 0, v0
	v_mov_b32_e32 v1, 0
	s_and_saveexec_b64 s[28:29], vcc
	s_cbranch_execz .LBB6_4003
; %bb.3996:                             ;   in Loop: Header=BB6_3735 Depth=3
	v_cmp_ne_u16_e32 vcc, s97, v0
	v_bfrev_b32_e32 v1, 1
	s_and_saveexec_b64 s[34:35], vcc
	s_cbranch_execz .LBB6_4002
; %bb.3997:                             ;   in Loop: Header=BB6_3735 Depth=3
	v_and_b32_e32 v1, 0x7c, v0
	v_and_b32_e32 v2, 3, v0
	v_cmp_ne_u32_e32 vcc, s86, v1
                                        ; implicit-def: $vgpr1
	s_and_saveexec_b64 s[62:63], vcc
	s_xor_b64 s[36:37], exec, s[62:63]
	s_cbranch_execz .LBB6_3999
; %bb.3998:                             ;   in Loop: Header=BB6_3735 Depth=3
	v_ffbh_u32_e32 v25, v2
	v_min_u32_e32 v25, 32, v25
	v_mov_b32_e32 v1, v33
	v_subrev_u32_e32 v26, 29, v25
	v_bfe_u32 v3, v0, 2, 5
	v_lshlrev_b64 v[0:1], v26, v[0:1]
	v_cmp_eq_u32_e32 vcc, 0, v3
	v_and_b32_e32 v0, 3, v0
	v_sub_u32_e32 v1, 30, v25
	v_cndmask_b32_e32 v0, v2, v0, vcc
	v_lshlrev_b32_e32 v2, 16, v10
	v_cndmask_b32_e32 v1, v3, v1, vcc
	v_and_b32_e32 v2, 0x80000000, v2
	v_lshl_add_u32 v1, v1, 23, v2
	v_lshl_or_b32 v0, v0, 21, v1
	v_add_u32_e32 v1, 0x38000000, v0
                                        ; implicit-def: $vgpr2
.LBB6_3999:                             ;   in Loop: Header=BB6_3735 Depth=3
	s_andn2_saveexec_b64 s[36:37], s[36:37]
; %bb.4000:                             ;   in Loop: Header=BB6_3735 Depth=3
	v_cmp_lt_i16_e32 vcc, -1, v10
	v_mov_b32_e32 v0, 0xff800000
	v_mov_b32_e32 v1, 0x7f800000
	v_cndmask_b32_e32 v0, v0, v1, vcc
	v_cmp_eq_u32_e32 vcc, 0, v2
	v_mov_b32_e32 v1, 0x7f800001
	v_cndmask_b32_e32 v1, v1, v0, vcc
; %bb.4001:                             ;   in Loop: Header=BB6_3735 Depth=3
	s_or_b64 exec, exec, s[36:37]
.LBB6_4002:                             ;   in Loop: Header=BB6_3735 Depth=3
	s_or_b64 exec, exec, s[34:35]
.LBB6_4003:                             ;   in Loop: Header=BB6_3735 Depth=3
	s_or_b64 exec, exec, s[28:29]
	v_mul_f32_e32 v2, v18, v1
	v_and_b32_e32 v25, 0x7f800000, v2
	v_mov_b32_e32 v26, v33
	v_cmp_ne_u64_e32 vcc, s[76:77], v[25:26]
	v_and_b32_e32 v0, 0x7fffff, v2
	v_mov_b32_e32 v1, v33
                                        ; implicit-def: $vgpr25
	s_and_saveexec_b64 s[28:29], vcc
	s_xor_b64 s[34:35], exec, s[28:29]
	s_cbranch_execz .LBB6_4017
; %bb.4004:                             ;   in Loop: Header=BB6_3735 Depth=3
	v_and_b32_e32 v25, 0x7fffffff, v2
	v_mov_b32_e32 v26, v33
	v_cmp_gt_u64_e32 vcc, s[78:79], v[25:26]
	v_and_b32_sdwa v3, v2, s97 dst_sel:DWORD dst_unused:UNUSED_PAD src0_sel:BYTE_3 src1_sel:DWORD
                                        ; implicit-def: $vgpr25
	s_and_saveexec_b64 s[28:29], vcc
	s_xor_b64 s[36:37], exec, s[28:29]
	s_cbranch_execz .LBB6_4014
; %bb.4005:                             ;   in Loop: Header=BB6_3735 Depth=3
	v_mov_b32_e32 v25, 0
	v_cmp_ne_u32_e32 vcc, 0, v2
	s_and_saveexec_b64 s[38:39], vcc
	s_cbranch_execz .LBB6_4013
; %bb.4006:                             ;   in Loop: Header=BB6_3735 Depth=3
	v_bfe_u32 v25, v2, 23, 8
	v_cmp_gt_u32_e64 s[28:29], s47, v25
	v_sub_u32_e32 v2, 0x71, v25
	v_cmp_eq_u32_e32 vcc, 0, v25
	v_cndmask_b32_e64 v2, 0, v2, s[28:29]
	v_mov_b32_e32 v26, 0x70
	v_cndmask_b32_e32 v26, v2, v26, vcc
	v_or_b32_e32 v27, 0x800000, v0
	v_add_u32_e32 v2, 21, v26
	v_cndmask_b32_e32 v0, v27, v0, vcc
	v_lshlrev_b64 v[27:28], v2, -1
	v_add_u32_e32 v2, 20, v26
	v_bfi_b32 v27, v27, 0, v0
	v_lshlrev_b64 v[29:30], v2, 1
	v_lshrrev_b64 v[0:1], v26, v[0:1]
	v_bfi_b32 v28, v28, 0, 0
	v_cmp_eq_u64_e64 s[28:29], v[27:28], v[29:30]
	v_mov_b32_e32 v2, v1
	v_mov_b32_e32 v1, v0
	s_and_saveexec_b64 s[48:49], s[28:29]
; %bb.4007:                             ;   in Loop: Header=BB6_3735 Depth=3
	v_bfe_u32 v1, v0, 21, 1
	v_add_co_u32_e64 v1, s[28:29], v0, v1
	v_add_co_u32_e64 v1, s[28:29], -1, v1
; %bb.4008:                             ;   in Loop: Header=BB6_3735 Depth=3
	s_or_b64 exec, exec, s[48:49]
	v_add_u32_e32 v2, 0xffffff81, v25
	v_mov_b32_e32 v25, 0xffffff82
	v_cndmask_b32_e32 v2, v2, v25, vcc
	v_lshrrev_b32_e32 v25, 23, v0
	v_add3_u32 v26, v26, v2, v25
	v_add_u32_e32 v25, 14, v26
	v_and_b32_e32 v1, 0x1fffff, v1
	v_add_u32_e32 v0, v1, v0
	v_mov_b32_e32 v1, v33
	v_cmp_ne_u32_e32 vcc, 0, v25
                                        ; implicit-def: $vgpr2
	s_and_saveexec_b64 s[28:29], vcc
	s_xor_b64 s[28:29], exec, s[28:29]
; %bb.4009:                             ;   in Loop: Header=BB6_3735 Depth=3
	v_cmp_lt_u64_e32 vcc, s[88:89], v[0:1]
	v_add_u32_e32 v2, 15, v26
	v_cndmask_b32_e32 v2, v25, v2, vcc
	v_cndmask_b32_e64 v25, 0, 1, vcc
	v_lshrrev_b64 v[0:1], v25, v[0:1]
; %bb.4010:                             ;   in Loop: Header=BB6_3735 Depth=3
	s_andn2_saveexec_b64 s[28:29], s[28:29]
; %bb.4011:                             ;   in Loop: Header=BB6_3735 Depth=3
	v_bfe_u32 v2, v0, 23, 1
; %bb.4012:                             ;   in Loop: Header=BB6_3735 Depth=3
	s_or_b64 exec, exec, s[28:29]
	v_lshrrev_b64 v[0:1], 21, v[0:1]
	v_cmp_gt_i32_e32 vcc, 32, v2
	v_cndmask_b32_e32 v1, 0, v1, vcc
	v_cndmask_b32_e32 v0, 3, v0, vcc
	v_cmp_eq_u64_e64 s[28:29], 0, v[0:1]
	v_min_i32_e32 v1, 31, v2
	v_lshlrev_b32_e32 v1, 2, v1
	v_cmp_eq_u32_e32 vcc, 0, v2
	v_and_b32_e32 v1, 0xfc, v1
	v_and_or_b32 v0, v0, 3, v1
	s_and_b64 s[28:29], vcc, s[28:29]
	v_cndmask_b32_e64 v0, v0, 0, s[28:29]
	v_or_b32_e32 v25, v0, v3
.LBB6_4013:                             ;   in Loop: Header=BB6_3735 Depth=3
	s_or_b64 exec, exec, s[38:39]
                                        ; implicit-def: $vgpr3
.LBB6_4014:                             ;   in Loop: Header=BB6_3735 Depth=3
	s_andn2_saveexec_b64 s[28:29], s[36:37]
; %bb.4015:                             ;   in Loop: Header=BB6_3735 Depth=3
	v_or_b32_e32 v25, 0x7b, v3
; %bb.4016:                             ;   in Loop: Header=BB6_3735 Depth=3
	s_or_b64 exec, exec, s[28:29]
                                        ; implicit-def: $vgpr2
                                        ; implicit-def: $vgpr0_vgpr1
.LBB6_4017:                             ;   in Loop: Header=BB6_3735 Depth=3
	s_andn2_saveexec_b64 s[28:29], s[34:35]
	s_cbranch_execz .LBB6_4023
; %bb.4018:                             ;   in Loop: Header=BB6_3735 Depth=3
	v_cmp_ne_u64_e32 vcc, 0, v[0:1]
                                        ; implicit-def: $vgpr25
	s_and_saveexec_b64 s[62:63], vcc
	s_xor_b64 vcc, exec, s[62:63]
; %bb.4019:                             ;   in Loop: Header=BB6_3735 Depth=3
	v_or_b32_sdwa v25, v2, s44 dst_sel:DWORD dst_unused:UNUSED_PAD src0_sel:BYTE_3 src1_sel:DWORD
                                        ; implicit-def: $vgpr2
; %bb.4020:                             ;   in Loop: Header=BB6_3735 Depth=3
	s_andn2_saveexec_b64 s[34:35], vcc
; %bb.4021:                             ;   in Loop: Header=BB6_3735 Depth=3
	v_cmp_lt_i32_e32 vcc, -1, v2
	v_bfrev_b32_e32 v0, 0.5
	v_mov_b32_e32 v1, 0x7c
	v_cndmask_b32_e32 v25, v0, v1, vcc
; %bb.4022:                             ;   in Loop: Header=BB6_3735 Depth=3
	s_or_b64 exec, exec, s[34:35]
.LBB6_4023:                             ;   in Loop: Header=BB6_3735 Depth=3
	s_or_b64 exec, exec, s[28:29]
	v_lshrrev_b32_e32 v0, 16, v10
	v_cmp_ne_u16_sdwa s[62:63], v0, v33 src0_sel:BYTE_0 src1_sel:DWORD
	v_mov_b32_e32 v1, 0
	s_and_saveexec_b64 s[28:29], s[62:63]
	s_cbranch_execz .LBB6_4031
; %bb.4024:                             ;   in Loop: Header=BB6_3735 Depth=3
	v_cmp_ne_u16_sdwa s[62:63], v0, s97 src0_sel:BYTE_0 src1_sel:DWORD
	v_bfrev_b32_e32 v1, 1
	s_and_saveexec_b64 s[34:35], s[62:63]
	s_cbranch_execz .LBB6_4030
; %bb.4025:                             ;   in Loop: Header=BB6_3735 Depth=3
	v_and_b32_e32 v1, 0x7c0000, v10
	v_bfe_u32 v2, v10, 16, 2
	v_cmp_ne_u32_e32 vcc, s45, v1
                                        ; implicit-def: $vgpr1
	s_and_saveexec_b64 s[62:63], vcc
	s_xor_b64 s[36:37], exec, s[62:63]
	s_cbranch_execz .LBB6_4027
; %bb.4026:                             ;   in Loop: Header=BB6_3735 Depth=3
	v_ffbh_u32_e32 v1, v2
	v_min_u32_e32 v26, 32, v1
	v_subrev_u32_e32 v1, 29, v26
	v_lshlrev_b64 v[0:1], v1, v[0:1]
	v_bfe_u32 v3, v10, 18, 5
	v_and_b32_e32 v0, 3, v0
	v_cmp_eq_u32_e32 vcc, 0, v3
	v_sub_u32_e32 v1, 30, v26
	v_cndmask_b32_e32 v0, v2, v0, vcc
	v_lshlrev_b32_e32 v2, 8, v10
	v_cndmask_b32_e32 v1, v3, v1, vcc
	v_and_b32_e32 v2, 0x80000000, v2
	v_lshl_add_u32 v1, v1, 23, v2
	v_lshl_or_b32 v0, v0, 21, v1
	v_add_u32_e32 v1, 0x38000000, v0
                                        ; implicit-def: $vgpr2
                                        ; implicit-def: $vgpr0
.LBB6_4027:                             ;   in Loop: Header=BB6_3735 Depth=3
	s_andn2_saveexec_b64 s[36:37], s[36:37]
; %bb.4028:                             ;   in Loop: Header=BB6_3735 Depth=3
	v_mov_b32_e32 v1, -1
	v_cmp_gt_i16_sdwa vcc, sext(v0), v1 src0_sel:BYTE_0 src1_sel:DWORD
	v_mov_b32_e32 v0, 0xff800000
	v_mov_b32_e32 v1, 0x7f800000
	v_cndmask_b32_e32 v0, v0, v1, vcc
	v_cmp_eq_u32_e32 vcc, 0, v2
	v_mov_b32_e32 v1, 0x7f800001
	v_cndmask_b32_e32 v1, v1, v0, vcc
; %bb.4029:                             ;   in Loop: Header=BB6_3735 Depth=3
	s_or_b64 exec, exec, s[36:37]
.LBB6_4030:                             ;   in Loop: Header=BB6_3735 Depth=3
	s_or_b64 exec, exec, s[34:35]
.LBB6_4031:                             ;   in Loop: Header=BB6_3735 Depth=3
	s_or_b64 exec, exec, s[28:29]
	v_mul_f32_e32 v2, v18, v1
	v_and_b32_e32 v26, 0x7f800000, v2
	v_mov_b32_e32 v27, v33
	v_cmp_ne_u64_e32 vcc, s[76:77], v[26:27]
	v_and_b32_e32 v0, 0x7fffff, v2
	v_mov_b32_e32 v1, v33
                                        ; implicit-def: $vgpr26
	s_and_saveexec_b64 s[28:29], vcc
	s_xor_b64 s[34:35], exec, s[28:29]
	s_cbranch_execz .LBB6_4045
; %bb.4032:                             ;   in Loop: Header=BB6_3735 Depth=3
	v_and_b32_e32 v26, 0x7fffffff, v2
	v_mov_b32_e32 v27, v33
	v_cmp_gt_u64_e32 vcc, s[78:79], v[26:27]
	v_and_b32_sdwa v3, v2, s97 dst_sel:DWORD dst_unused:UNUSED_PAD src0_sel:BYTE_3 src1_sel:DWORD
                                        ; implicit-def: $vgpr26
	s_and_saveexec_b64 s[28:29], vcc
	s_xor_b64 s[36:37], exec, s[28:29]
	s_cbranch_execz .LBB6_4042
; %bb.4033:                             ;   in Loop: Header=BB6_3735 Depth=3
	v_mov_b32_e32 v26, 0
	v_cmp_ne_u32_e32 vcc, 0, v2
	s_and_saveexec_b64 s[38:39], vcc
	s_cbranch_execz .LBB6_4041
; %bb.4034:                             ;   in Loop: Header=BB6_3735 Depth=3
	v_bfe_u32 v26, v2, 23, 8
	v_cmp_gt_u32_e64 s[28:29], s47, v26
	v_sub_u32_e32 v2, 0x71, v26
	v_cmp_eq_u32_e32 vcc, 0, v26
	v_cndmask_b32_e64 v2, 0, v2, s[28:29]
	v_mov_b32_e32 v27, 0x70
	v_cndmask_b32_e32 v27, v2, v27, vcc
	v_or_b32_e32 v28, 0x800000, v0
	v_add_u32_e32 v2, 21, v27
	v_cndmask_b32_e32 v0, v28, v0, vcc
	v_lshlrev_b64 v[28:29], v2, -1
	v_add_u32_e32 v2, 20, v27
	v_bfi_b32 v28, v28, 0, v0
	v_lshlrev_b64 v[30:31], v2, 1
	v_lshrrev_b64 v[0:1], v27, v[0:1]
	v_bfi_b32 v29, v29, 0, 0
	v_cmp_eq_u64_e64 s[28:29], v[28:29], v[30:31]
	v_mov_b32_e32 v2, v1
	v_mov_b32_e32 v1, v0
	s_and_saveexec_b64 s[48:49], s[28:29]
; %bb.4035:                             ;   in Loop: Header=BB6_3735 Depth=3
	v_bfe_u32 v1, v0, 21, 1
	v_add_co_u32_e64 v1, s[28:29], v0, v1
	v_add_co_u32_e64 v1, s[28:29], -1, v1
; %bb.4036:                             ;   in Loop: Header=BB6_3735 Depth=3
	s_or_b64 exec, exec, s[48:49]
	v_add_u32_e32 v2, 0xffffff81, v26
	v_mov_b32_e32 v26, 0xffffff82
	v_cndmask_b32_e32 v2, v2, v26, vcc
	v_lshrrev_b32_e32 v26, 23, v0
	v_add3_u32 v27, v27, v2, v26
	v_add_u32_e32 v26, 14, v27
	v_and_b32_e32 v1, 0x1fffff, v1
	v_add_u32_e32 v0, v1, v0
	v_mov_b32_e32 v1, v33
	v_cmp_ne_u32_e32 vcc, 0, v26
                                        ; implicit-def: $vgpr2
	s_and_saveexec_b64 s[28:29], vcc
	s_xor_b64 s[28:29], exec, s[28:29]
; %bb.4037:                             ;   in Loop: Header=BB6_3735 Depth=3
	v_cmp_lt_u64_e32 vcc, s[88:89], v[0:1]
	v_add_u32_e32 v2, 15, v27
	v_cndmask_b32_e32 v2, v26, v2, vcc
	v_cndmask_b32_e64 v26, 0, 1, vcc
	v_lshrrev_b64 v[0:1], v26, v[0:1]
; %bb.4038:                             ;   in Loop: Header=BB6_3735 Depth=3
	s_andn2_saveexec_b64 s[28:29], s[28:29]
; %bb.4039:                             ;   in Loop: Header=BB6_3735 Depth=3
	v_bfe_u32 v2, v0, 23, 1
; %bb.4040:                             ;   in Loop: Header=BB6_3735 Depth=3
	s_or_b64 exec, exec, s[28:29]
	v_lshrrev_b64 v[0:1], 21, v[0:1]
	v_cmp_gt_i32_e32 vcc, 32, v2
	v_cndmask_b32_e32 v1, 0, v1, vcc
	v_cndmask_b32_e32 v0, 3, v0, vcc
	v_cmp_eq_u64_e64 s[28:29], 0, v[0:1]
	v_min_i32_e32 v1, 31, v2
	v_lshlrev_b32_e32 v1, 2, v1
	v_cmp_eq_u32_e32 vcc, 0, v2
	v_and_b32_e32 v1, 0xfc, v1
	v_and_or_b32 v0, v0, 3, v1
	s_and_b64 s[28:29], vcc, s[28:29]
	v_cndmask_b32_e64 v0, v0, 0, s[28:29]
	v_or_b32_e32 v26, v0, v3
.LBB6_4041:                             ;   in Loop: Header=BB6_3735 Depth=3
	s_or_b64 exec, exec, s[38:39]
                                        ; implicit-def: $vgpr3
.LBB6_4042:                             ;   in Loop: Header=BB6_3735 Depth=3
	s_andn2_saveexec_b64 s[28:29], s[36:37]
; %bb.4043:                             ;   in Loop: Header=BB6_3735 Depth=3
	v_or_b32_e32 v26, 0x7b, v3
; %bb.4044:                             ;   in Loop: Header=BB6_3735 Depth=3
	s_or_b64 exec, exec, s[28:29]
                                        ; implicit-def: $vgpr2
                                        ; implicit-def: $vgpr0_vgpr1
.LBB6_4045:                             ;   in Loop: Header=BB6_3735 Depth=3
	s_andn2_saveexec_b64 s[28:29], s[34:35]
	s_cbranch_execz .LBB6_4051
; %bb.4046:                             ;   in Loop: Header=BB6_3735 Depth=3
	v_cmp_ne_u64_e32 vcc, 0, v[0:1]
                                        ; implicit-def: $vgpr26
	s_and_saveexec_b64 s[62:63], vcc
	s_xor_b64 vcc, exec, s[62:63]
; %bb.4047:                             ;   in Loop: Header=BB6_3735 Depth=3
	v_or_b32_sdwa v26, v2, s44 dst_sel:DWORD dst_unused:UNUSED_PAD src0_sel:BYTE_3 src1_sel:DWORD
                                        ; implicit-def: $vgpr2
; %bb.4048:                             ;   in Loop: Header=BB6_3735 Depth=3
	s_andn2_saveexec_b64 s[34:35], vcc
; %bb.4049:                             ;   in Loop: Header=BB6_3735 Depth=3
	v_cmp_lt_i32_e32 vcc, -1, v2
	v_bfrev_b32_e32 v0, 0.5
	v_mov_b32_e32 v1, 0x7c
	v_cndmask_b32_e32 v26, v0, v1, vcc
; %bb.4050:                             ;   in Loop: Header=BB6_3735 Depth=3
	s_or_b64 exec, exec, s[34:35]
.LBB6_4051:                             ;   in Loop: Header=BB6_3735 Depth=3
	s_or_b64 exec, exec, s[28:29]
	v_cmp_lt_u32_e32 vcc, s57, v10
	v_mov_b32_e32 v1, 0
	s_and_saveexec_b64 s[28:29], vcc
	s_cbranch_execz .LBB6_4059
; %bb.4052:                             ;   in Loop: Header=BB6_3735 Depth=3
	v_lshrrev_b32_e32 v0, 24, v10
	v_cmp_ne_u32_e32 vcc, s97, v0
	v_bfrev_b32_e32 v1, 1
	s_and_saveexec_b64 s[34:35], vcc
	s_cbranch_execz .LBB6_4058
; %bb.4053:                             ;   in Loop: Header=BB6_3735 Depth=3
	v_and_b32_e32 v1, 0x7c000000, v10
	v_bfe_u32 v2, v10, 24, 2
	v_cmp_ne_u32_e32 vcc, s68, v1
                                        ; implicit-def: $vgpr1
	s_and_saveexec_b64 s[62:63], vcc
	s_xor_b64 s[36:37], exec, s[62:63]
	s_cbranch_execz .LBB6_4055
; %bb.4054:                             ;   in Loop: Header=BB6_3735 Depth=3
	v_ffbh_u32_e32 v1, v2
	v_min_u32_e32 v27, 32, v1
	v_subrev_u32_e32 v1, 29, v27
	v_lshlrev_b64 v[0:1], v1, v[0:1]
	v_bfe_u32 v3, v10, 26, 5
	v_sub_u32_e32 v1, 30, v27
	v_and_b32_e32 v0, 3, v0
	v_cmp_eq_u32_e32 vcc, 0, v3
	v_cndmask_b32_e32 v1, v3, v1, vcc
	v_cndmask_b32_e32 v0, v2, v0, vcc
	v_and_b32_e32 v2, 0x80000000, v10
	v_lshl_add_u32 v1, v1, 23, v2
	v_lshl_or_b32 v0, v0, 21, v1
	v_add_u32_e32 v1, 0x38000000, v0
                                        ; implicit-def: $vgpr2
.LBB6_4055:                             ;   in Loop: Header=BB6_3735 Depth=3
	s_andn2_saveexec_b64 s[36:37], s[36:37]
; %bb.4056:                             ;   in Loop: Header=BB6_3735 Depth=3
	v_cmp_lt_i32_e32 vcc, -1, v10
	v_mov_b32_e32 v0, 0xff800000
	v_mov_b32_e32 v1, 0x7f800000
	v_cndmask_b32_e32 v0, v0, v1, vcc
	v_cmp_eq_u32_e32 vcc, 0, v2
	v_mov_b32_e32 v1, 0x7f800001
	v_cndmask_b32_e32 v1, v1, v0, vcc
; %bb.4057:                             ;   in Loop: Header=BB6_3735 Depth=3
	s_or_b64 exec, exec, s[36:37]
.LBB6_4058:                             ;   in Loop: Header=BB6_3735 Depth=3
	s_or_b64 exec, exec, s[34:35]
.LBB6_4059:                             ;   in Loop: Header=BB6_3735 Depth=3
	s_or_b64 exec, exec, s[28:29]
	v_mul_f32_e32 v2, v18, v1
	v_and_b32_e32 v27, 0x7f800000, v2
	v_mov_b32_e32 v28, v33
	v_cmp_ne_u64_e32 vcc, s[76:77], v[27:28]
	v_and_b32_e32 v0, 0x7fffff, v2
	v_mov_b32_e32 v1, v33
                                        ; implicit-def: $vgpr27
	s_and_saveexec_b64 s[28:29], vcc
	s_xor_b64 s[34:35], exec, s[28:29]
	s_cbranch_execz .LBB6_4073
; %bb.4060:                             ;   in Loop: Header=BB6_3735 Depth=3
	v_and_b32_e32 v27, 0x7fffffff, v2
	v_mov_b32_e32 v28, v33
	v_cmp_gt_u64_e32 vcc, s[78:79], v[27:28]
	v_and_b32_sdwa v3, v2, s97 dst_sel:DWORD dst_unused:UNUSED_PAD src0_sel:BYTE_3 src1_sel:DWORD
                                        ; implicit-def: $vgpr27
	s_and_saveexec_b64 s[28:29], vcc
	s_xor_b64 s[36:37], exec, s[28:29]
	s_cbranch_execz .LBB6_4070
; %bb.4061:                             ;   in Loop: Header=BB6_3735 Depth=3
	v_mov_b32_e32 v27, 0
	v_cmp_ne_u32_e32 vcc, 0, v2
	s_and_saveexec_b64 s[38:39], vcc
	s_cbranch_execz .LBB6_4069
; %bb.4062:                             ;   in Loop: Header=BB6_3735 Depth=3
	v_bfe_u32 v27, v2, 23, 8
	v_cmp_gt_u32_e64 s[28:29], s47, v27
	v_sub_u32_e32 v2, 0x71, v27
	v_cmp_eq_u32_e32 vcc, 0, v27
	v_cndmask_b32_e64 v2, 0, v2, s[28:29]
	v_mov_b32_e32 v28, 0x70
	v_cndmask_b32_e32 v28, v2, v28, vcc
	v_or_b32_e32 v29, 0x800000, v0
	v_add_u32_e32 v2, 21, v28
	v_cndmask_b32_e32 v0, v29, v0, vcc
	v_lshlrev_b64 v[29:30], v2, -1
	v_add_u32_e32 v2, 20, v28
	v_bfi_b32 v29, v29, 0, v0
	v_lshlrev_b64 v[31:32], v2, 1
	v_lshrrev_b64 v[0:1], v28, v[0:1]
	v_bfi_b32 v30, v30, 0, 0
	v_cmp_eq_u64_e64 s[28:29], v[29:30], v[31:32]
	v_mov_b32_e32 v2, v1
	v_mov_b32_e32 v1, v0
	s_and_saveexec_b64 s[48:49], s[28:29]
; %bb.4063:                             ;   in Loop: Header=BB6_3735 Depth=3
	v_bfe_u32 v1, v0, 21, 1
	v_add_co_u32_e64 v1, s[28:29], v0, v1
	v_add_co_u32_e64 v1, s[28:29], -1, v1
; %bb.4064:                             ;   in Loop: Header=BB6_3735 Depth=3
	s_or_b64 exec, exec, s[48:49]
	v_add_u32_e32 v2, 0xffffff81, v27
	v_mov_b32_e32 v27, 0xffffff82
	v_cndmask_b32_e32 v2, v2, v27, vcc
	v_lshrrev_b32_e32 v27, 23, v0
	v_add3_u32 v28, v28, v2, v27
	v_add_u32_e32 v27, 14, v28
	v_and_b32_e32 v1, 0x1fffff, v1
	v_add_u32_e32 v0, v1, v0
	v_mov_b32_e32 v1, v33
	v_cmp_ne_u32_e32 vcc, 0, v27
                                        ; implicit-def: $vgpr2
	s_and_saveexec_b64 s[28:29], vcc
	s_xor_b64 s[28:29], exec, s[28:29]
; %bb.4065:                             ;   in Loop: Header=BB6_3735 Depth=3
	v_cmp_lt_u64_e32 vcc, s[88:89], v[0:1]
	v_add_u32_e32 v2, 15, v28
	v_cndmask_b32_e32 v2, v27, v2, vcc
	v_cndmask_b32_e64 v27, 0, 1, vcc
	v_lshrrev_b64 v[0:1], v27, v[0:1]
; %bb.4066:                             ;   in Loop: Header=BB6_3735 Depth=3
	s_andn2_saveexec_b64 s[28:29], s[28:29]
; %bb.4067:                             ;   in Loop: Header=BB6_3735 Depth=3
	v_bfe_u32 v2, v0, 23, 1
; %bb.4068:                             ;   in Loop: Header=BB6_3735 Depth=3
	s_or_b64 exec, exec, s[28:29]
	v_lshrrev_b64 v[0:1], 21, v[0:1]
	v_cmp_gt_i32_e32 vcc, 32, v2
	v_cndmask_b32_e32 v1, 0, v1, vcc
	v_cndmask_b32_e32 v0, 3, v0, vcc
	v_cmp_eq_u64_e64 s[28:29], 0, v[0:1]
	v_min_i32_e32 v1, 31, v2
	v_lshlrev_b32_e32 v1, 2, v1
	v_cmp_eq_u32_e32 vcc, 0, v2
	v_and_b32_e32 v1, 0xfc, v1
	v_and_or_b32 v0, v0, 3, v1
	s_and_b64 s[28:29], vcc, s[28:29]
	v_cndmask_b32_e64 v0, v0, 0, s[28:29]
	v_or_b32_e32 v27, v0, v3
.LBB6_4069:                             ;   in Loop: Header=BB6_3735 Depth=3
	s_or_b64 exec, exec, s[38:39]
                                        ; implicit-def: $vgpr3
.LBB6_4070:                             ;   in Loop: Header=BB6_3735 Depth=3
	s_andn2_saveexec_b64 s[28:29], s[36:37]
; %bb.4071:                             ;   in Loop: Header=BB6_3735 Depth=3
	v_or_b32_e32 v27, 0x7b, v3
; %bb.4072:                             ;   in Loop: Header=BB6_3735 Depth=3
	s_or_b64 exec, exec, s[28:29]
                                        ; implicit-def: $vgpr2
                                        ; implicit-def: $vgpr0_vgpr1
.LBB6_4073:                             ;   in Loop: Header=BB6_3735 Depth=3
	s_andn2_saveexec_b64 s[28:29], s[34:35]
	s_cbranch_execz .LBB6_4079
; %bb.4074:                             ;   in Loop: Header=BB6_3735 Depth=3
	v_cmp_ne_u64_e32 vcc, 0, v[0:1]
                                        ; implicit-def: $vgpr27
	s_and_saveexec_b64 s[62:63], vcc
	s_xor_b64 vcc, exec, s[62:63]
; %bb.4075:                             ;   in Loop: Header=BB6_3735 Depth=3
	v_or_b32_sdwa v27, v2, s44 dst_sel:DWORD dst_unused:UNUSED_PAD src0_sel:BYTE_3 src1_sel:DWORD
                                        ; implicit-def: $vgpr2
; %bb.4076:                             ;   in Loop: Header=BB6_3735 Depth=3
	s_andn2_saveexec_b64 s[34:35], vcc
; %bb.4077:                             ;   in Loop: Header=BB6_3735 Depth=3
	v_cmp_lt_i32_e32 vcc, -1, v2
	v_bfrev_b32_e32 v0, 0.5
	v_mov_b32_e32 v1, 0x7c
	v_cndmask_b32_e32 v27, v0, v1, vcc
; %bb.4078:                             ;   in Loop: Header=BB6_3735 Depth=3
	s_or_b64 exec, exec, s[34:35]
.LBB6_4079:                             ;   in Loop: Header=BB6_3735 Depth=3
	s_or_b64 exec, exec, s[28:29]
	v_mov_b32_e32 v0, v11
	v_mov_b32_e32 v1, v33
	v_cmp_ne_u16_sdwa s[62:63], v11, v33 src0_sel:BYTE_0 src1_sel:DWORD
	v_mov_b32_e32 v2, 0
	s_and_saveexec_b64 s[28:29], s[62:63]
	s_cbranch_execz .LBB6_4087
; %bb.4080:                             ;   in Loop: Header=BB6_3735 Depth=3
	v_cmp_ne_u16_sdwa s[62:63], v11, s97 src0_sel:BYTE_0 src1_sel:DWORD
	v_bfrev_b32_e32 v2, 1
	s_and_saveexec_b64 s[34:35], s[62:63]
	s_cbranch_execz .LBB6_4086
; %bb.4081:                             ;   in Loop: Header=BB6_3735 Depth=3
	v_and_b32_e32 v2, 0x7c, v11
	v_and_b32_e32 v3, 3, v11
	v_cmp_ne_u32_e32 vcc, s86, v2
                                        ; implicit-def: $vgpr2
	s_and_saveexec_b64 s[62:63], vcc
	s_xor_b64 s[36:37], exec, s[62:63]
	s_cbranch_execz .LBB6_4083
; %bb.4082:                             ;   in Loop: Header=BB6_3735 Depth=3
	v_ffbh_u32_e32 v2, v3
	v_min_u32_e32 v29, 32, v2
	v_subrev_u32_e32 v2, 29, v29
	v_lshlrev_b64 v[1:2], v2, v[0:1]
	v_bfe_u32 v28, v11, 2, 5
	v_and_b32_e32 v1, 3, v1
	v_cmp_eq_u32_e32 vcc, 0, v28
	v_sub_u32_e32 v2, 30, v29
	v_cndmask_b32_e32 v1, v3, v1, vcc
	v_lshlrev_b32_e32 v3, 24, v11
	v_cndmask_b32_e32 v2, v28, v2, vcc
	v_and_b32_e32 v3, 0x80000000, v3
	v_lshl_add_u32 v2, v2, 23, v3
	v_lshl_or_b32 v1, v1, 21, v2
	v_add_u32_e32 v2, 0x38000000, v1
                                        ; implicit-def: $vgpr3
.LBB6_4083:                             ;   in Loop: Header=BB6_3735 Depth=3
	s_andn2_saveexec_b64 s[36:37], s[36:37]
; %bb.4084:                             ;   in Loop: Header=BB6_3735 Depth=3
	v_mov_b32_e32 v1, -1
	v_cmp_gt_i16_sdwa vcc, sext(v11), v1 src0_sel:BYTE_0 src1_sel:DWORD
	v_mov_b32_e32 v1, 0xff800000
	v_mov_b32_e32 v2, 0x7f800000
	v_cndmask_b32_e32 v1, v1, v2, vcc
	v_cmp_eq_u32_e32 vcc, 0, v3
	v_mov_b32_e32 v2, 0x7f800001
	v_cndmask_b32_e32 v2, v2, v1, vcc
; %bb.4085:                             ;   in Loop: Header=BB6_3735 Depth=3
	s_or_b64 exec, exec, s[36:37]
.LBB6_4086:                             ;   in Loop: Header=BB6_3735 Depth=3
	s_or_b64 exec, exec, s[34:35]
.LBB6_4087:                             ;   in Loop: Header=BB6_3735 Depth=3
	s_or_b64 exec, exec, s[28:29]
	v_mul_f32_e32 v29, v18, v2
	v_and_b32_e32 v2, 0x7f800000, v29
	v_mov_b32_e32 v3, v33
	v_cmp_ne_u64_e32 vcc, s[76:77], v[2:3]
	v_and_b32_e32 v1, 0x7fffff, v29
	v_mov_b32_e32 v2, v33
                                        ; implicit-def: $vgpr3
	s_and_saveexec_b64 s[28:29], vcc
	s_xor_b64 s[34:35], exec, s[28:29]
	s_cbranch_execz .LBB6_4101
; %bb.4088:                             ;   in Loop: Header=BB6_3735 Depth=3
	v_and_b32_e32 v30, 0x7fffffff, v29
	v_mov_b32_e32 v31, v33
	v_cmp_gt_u64_e32 vcc, s[78:79], v[30:31]
	v_and_b32_sdwa v28, v29, s97 dst_sel:DWORD dst_unused:UNUSED_PAD src0_sel:BYTE_3 src1_sel:DWORD
                                        ; implicit-def: $vgpr3
	s_and_saveexec_b64 s[28:29], vcc
	s_xor_b64 s[36:37], exec, s[28:29]
	s_cbranch_execz .LBB6_4098
; %bb.4089:                             ;   in Loop: Header=BB6_3735 Depth=3
	v_mov_b32_e32 v3, 0
	v_cmp_ne_u32_e32 vcc, 0, v29
	s_and_saveexec_b64 s[38:39], vcc
	s_cbranch_execz .LBB6_4097
; %bb.4090:                             ;   in Loop: Header=BB6_3735 Depth=3
	v_bfe_u32 v29, v29, 23, 8
	v_cmp_gt_u32_e64 s[28:29], s47, v29
	v_sub_u32_e32 v3, 0x71, v29
	v_cmp_eq_u32_e32 vcc, 0, v29
	v_cndmask_b32_e64 v3, 0, v3, s[28:29]
	v_mov_b32_e32 v30, 0x70
	v_cndmask_b32_e32 v30, v3, v30, vcc
	v_or_b32_e32 v31, 0x800000, v1
	v_add_u32_e32 v3, 21, v30
	v_cndmask_b32_e32 v1, v31, v1, vcc
	v_lshlrev_b64 v[31:32], v3, -1
	v_add_u32_e32 v3, 20, v30
	v_bfi_b32 v31, v31, 0, v1
	v_lshlrev_b64 v[34:35], v3, 1
	v_lshrrev_b64 v[1:2], v30, v[1:2]
	v_bfi_b32 v32, v32, 0, 0
	v_cmp_eq_u64_e64 s[28:29], v[31:32], v[34:35]
	v_mov_b32_e32 v3, v2
	v_mov_b32_e32 v2, v1
	s_and_saveexec_b64 s[48:49], s[28:29]
; %bb.4091:                             ;   in Loop: Header=BB6_3735 Depth=3
	v_bfe_u32 v2, v1, 21, 1
	v_add_co_u32_e64 v2, s[28:29], v1, v2
	v_add_co_u32_e64 v2, s[28:29], -1, v2
; %bb.4092:                             ;   in Loop: Header=BB6_3735 Depth=3
	s_or_b64 exec, exec, s[48:49]
	v_add_u32_e32 v3, 0xffffff81, v29
	v_mov_b32_e32 v29, 0xffffff82
	v_cndmask_b32_e32 v3, v3, v29, vcc
	v_lshrrev_b32_e32 v29, 23, v1
	v_add3_u32 v30, v30, v3, v29
	v_add_u32_e32 v29, 14, v30
	v_and_b32_e32 v2, 0x1fffff, v2
	v_add_u32_e32 v1, v2, v1
	v_mov_b32_e32 v2, v33
	v_cmp_ne_u32_e32 vcc, 0, v29
                                        ; implicit-def: $vgpr3
	s_and_saveexec_b64 s[28:29], vcc
	s_xor_b64 s[28:29], exec, s[28:29]
; %bb.4093:                             ;   in Loop: Header=BB6_3735 Depth=3
	v_cmp_lt_u64_e32 vcc, s[88:89], v[1:2]
	v_add_u32_e32 v3, 15, v30
	v_cndmask_b32_e32 v3, v29, v3, vcc
	v_cndmask_b32_e64 v29, 0, 1, vcc
	v_lshrrev_b64 v[1:2], v29, v[1:2]
; %bb.4094:                             ;   in Loop: Header=BB6_3735 Depth=3
	s_andn2_saveexec_b64 s[28:29], s[28:29]
; %bb.4095:                             ;   in Loop: Header=BB6_3735 Depth=3
	v_bfe_u32 v3, v1, 23, 1
; %bb.4096:                             ;   in Loop: Header=BB6_3735 Depth=3
	s_or_b64 exec, exec, s[28:29]
	v_lshrrev_b64 v[1:2], 21, v[1:2]
	v_cmp_gt_i32_e32 vcc, 32, v3
	v_cndmask_b32_e32 v2, 0, v2, vcc
	v_cndmask_b32_e32 v1, 3, v1, vcc
	v_cmp_eq_u64_e64 s[28:29], 0, v[1:2]
	v_min_i32_e32 v2, 31, v3
	v_lshlrev_b32_e32 v2, 2, v2
	v_cmp_eq_u32_e32 vcc, 0, v3
	v_and_b32_e32 v2, 0xfc, v2
	v_and_or_b32 v1, v1, 3, v2
	s_and_b64 s[28:29], vcc, s[28:29]
	v_cndmask_b32_e64 v1, v1, 0, s[28:29]
	v_or_b32_e32 v3, v1, v28
.LBB6_4097:                             ;   in Loop: Header=BB6_3735 Depth=3
	s_or_b64 exec, exec, s[38:39]
                                        ; implicit-def: $vgpr28
.LBB6_4098:                             ;   in Loop: Header=BB6_3735 Depth=3
	s_andn2_saveexec_b64 s[28:29], s[36:37]
; %bb.4099:                             ;   in Loop: Header=BB6_3735 Depth=3
	v_or_b32_e32 v3, 0x7b, v28
; %bb.4100:                             ;   in Loop: Header=BB6_3735 Depth=3
	s_or_b64 exec, exec, s[28:29]
                                        ; implicit-def: $vgpr29
                                        ; implicit-def: $vgpr1_vgpr2
.LBB6_4101:                             ;   in Loop: Header=BB6_3735 Depth=3
	s_andn2_saveexec_b64 s[28:29], s[34:35]
	s_cbranch_execz .LBB6_4107
; %bb.4102:                             ;   in Loop: Header=BB6_3735 Depth=3
	v_cmp_ne_u64_e32 vcc, 0, v[1:2]
                                        ; implicit-def: $vgpr3
	s_and_saveexec_b64 s[62:63], vcc
	s_xor_b64 vcc, exec, s[62:63]
; %bb.4103:                             ;   in Loop: Header=BB6_3735 Depth=3
	v_or_b32_sdwa v3, v29, s44 dst_sel:DWORD dst_unused:UNUSED_PAD src0_sel:BYTE_3 src1_sel:DWORD
                                        ; implicit-def: $vgpr29
; %bb.4104:                             ;   in Loop: Header=BB6_3735 Depth=3
	s_andn2_saveexec_b64 s[34:35], vcc
; %bb.4105:                             ;   in Loop: Header=BB6_3735 Depth=3
	v_cmp_lt_i32_e32 vcc, -1, v29
	v_bfrev_b32_e32 v1, 0.5
	v_mov_b32_e32 v2, 0x7c
	v_cndmask_b32_e32 v3, v1, v2, vcc
; %bb.4106:                             ;   in Loop: Header=BB6_3735 Depth=3
	s_or_b64 exec, exec, s[34:35]
.LBB6_4107:                             ;   in Loop: Header=BB6_3735 Depth=3
	s_or_b64 exec, exec, s[28:29]
	v_lshrrev_b16_e32 v1, 8, v0
	v_cmp_ne_u16_e32 vcc, 0, v1
	v_mov_b32_e32 v2, 0
	s_and_saveexec_b64 s[28:29], vcc
	s_cbranch_execz .LBB6_4115
; %bb.4108:                             ;   in Loop: Header=BB6_3735 Depth=3
	v_cmp_ne_u16_e32 vcc, s97, v1
	v_bfrev_b32_e32 v2, 1
	s_and_saveexec_b64 s[34:35], vcc
	s_cbranch_execz .LBB6_4114
; %bb.4109:                             ;   in Loop: Header=BB6_3735 Depth=3
	v_and_b32_e32 v2, 0x7c, v1
	v_and_b32_e32 v28, 3, v1
	v_cmp_ne_u32_e32 vcc, s86, v2
                                        ; implicit-def: $vgpr2
	s_and_saveexec_b64 s[62:63], vcc
	s_xor_b64 s[36:37], exec, s[62:63]
	s_cbranch_execz .LBB6_4111
; %bb.4110:                             ;   in Loop: Header=BB6_3735 Depth=3
	v_ffbh_u32_e32 v30, v28
	v_min_u32_e32 v30, 32, v30
	v_mov_b32_e32 v2, v33
	v_subrev_u32_e32 v31, 29, v30
	v_bfe_u32 v29, v1, 2, 5
	v_lshlrev_b64 v[1:2], v31, v[1:2]
	v_sub_u32_e32 v2, 30, v30
	v_cmp_eq_u32_e32 vcc, 0, v29
	v_lshlrev_b32_e32 v0, 16, v0
	v_and_b32_e32 v1, 3, v1
	v_cndmask_b32_e32 v2, v29, v2, vcc
	v_and_b32_e32 v0, 0x80000000, v0
	v_cndmask_b32_e32 v1, v28, v1, vcc
	v_lshl_add_u32 v0, v2, 23, v0
	v_lshl_or_b32 v0, v1, 21, v0
	v_add_u32_e32 v2, 0x38000000, v0
                                        ; implicit-def: $vgpr28
                                        ; implicit-def: $vgpr0_vgpr1
.LBB6_4111:                             ;   in Loop: Header=BB6_3735 Depth=3
	s_andn2_saveexec_b64 s[36:37], s[36:37]
; %bb.4112:                             ;   in Loop: Header=BB6_3735 Depth=3
	v_cmp_lt_i16_e32 vcc, -1, v0
	v_mov_b32_e32 v0, 0xff800000
	v_mov_b32_e32 v1, 0x7f800000
	v_cndmask_b32_e32 v0, v0, v1, vcc
	v_cmp_eq_u32_e32 vcc, 0, v28
	v_mov_b32_e32 v1, 0x7f800001
	v_cndmask_b32_e32 v2, v1, v0, vcc
; %bb.4113:                             ;   in Loop: Header=BB6_3735 Depth=3
	s_or_b64 exec, exec, s[36:37]
.LBB6_4114:                             ;   in Loop: Header=BB6_3735 Depth=3
	s_or_b64 exec, exec, s[34:35]
.LBB6_4115:                             ;   in Loop: Header=BB6_3735 Depth=3
	s_or_b64 exec, exec, s[28:29]
	v_mul_f32_e32 v2, v18, v2
	v_and_b32_e32 v28, 0x7f800000, v2
	v_mov_b32_e32 v29, v33
	v_cmp_ne_u64_e32 vcc, s[76:77], v[28:29]
	v_and_b32_e32 v0, 0x7fffff, v2
	v_mov_b32_e32 v1, v33
                                        ; implicit-def: $vgpr28
	s_and_saveexec_b64 s[28:29], vcc
	s_xor_b64 s[34:35], exec, s[28:29]
	s_cbranch_execz .LBB6_4129
; %bb.4116:                             ;   in Loop: Header=BB6_3735 Depth=3
	v_and_b32_e32 v28, 0x7fffffff, v2
	v_mov_b32_e32 v29, v33
	v_cmp_gt_u64_e32 vcc, s[78:79], v[28:29]
	v_and_b32_sdwa v29, v2, s97 dst_sel:DWORD dst_unused:UNUSED_PAD src0_sel:BYTE_3 src1_sel:DWORD
                                        ; implicit-def: $vgpr28
	s_and_saveexec_b64 s[28:29], vcc
	s_xor_b64 s[36:37], exec, s[28:29]
	s_cbranch_execz .LBB6_4126
; %bb.4117:                             ;   in Loop: Header=BB6_3735 Depth=3
	v_mov_b32_e32 v28, 0
	v_cmp_ne_u32_e32 vcc, 0, v2
	s_and_saveexec_b64 s[38:39], vcc
	s_cbranch_execz .LBB6_4125
; %bb.4118:                             ;   in Loop: Header=BB6_3735 Depth=3
	v_bfe_u32 v28, v2, 23, 8
	v_cmp_gt_u32_e64 s[28:29], s47, v28
	v_sub_u32_e32 v2, 0x71, v28
	v_cmp_eq_u32_e32 vcc, 0, v28
	v_cndmask_b32_e64 v2, 0, v2, s[28:29]
	v_mov_b32_e32 v30, 0x70
	v_cndmask_b32_e32 v30, v2, v30, vcc
	v_or_b32_e32 v31, 0x800000, v0
	v_add_u32_e32 v2, 21, v30
	v_cndmask_b32_e32 v0, v31, v0, vcc
	v_lshlrev_b64 v[31:32], v2, -1
	v_add_u32_e32 v2, 20, v30
	v_bfi_b32 v31, v31, 0, v0
	v_lshlrev_b64 v[34:35], v2, 1
	v_lshrrev_b64 v[0:1], v30, v[0:1]
	v_bfi_b32 v32, v32, 0, 0
	v_cmp_eq_u64_e64 s[28:29], v[31:32], v[34:35]
	v_mov_b32_e32 v2, v1
	v_mov_b32_e32 v1, v0
	s_and_saveexec_b64 s[48:49], s[28:29]
; %bb.4119:                             ;   in Loop: Header=BB6_3735 Depth=3
	v_bfe_u32 v1, v0, 21, 1
	v_add_co_u32_e64 v1, s[28:29], v0, v1
	v_add_co_u32_e64 v1, s[28:29], -1, v1
; %bb.4120:                             ;   in Loop: Header=BB6_3735 Depth=3
	s_or_b64 exec, exec, s[48:49]
	v_add_u32_e32 v2, 0xffffff81, v28
	v_mov_b32_e32 v28, 0xffffff82
	v_cndmask_b32_e32 v2, v2, v28, vcc
	v_lshrrev_b32_e32 v28, 23, v0
	v_add3_u32 v30, v30, v2, v28
	v_add_u32_e32 v28, 14, v30
	v_and_b32_e32 v1, 0x1fffff, v1
	v_add_u32_e32 v0, v1, v0
	v_mov_b32_e32 v1, v33
	v_cmp_ne_u32_e32 vcc, 0, v28
                                        ; implicit-def: $vgpr2
	s_and_saveexec_b64 s[28:29], vcc
	s_xor_b64 s[28:29], exec, s[28:29]
; %bb.4121:                             ;   in Loop: Header=BB6_3735 Depth=3
	v_cmp_lt_u64_e32 vcc, s[88:89], v[0:1]
	v_add_u32_e32 v2, 15, v30
	v_cndmask_b32_e32 v2, v28, v2, vcc
	v_cndmask_b32_e64 v28, 0, 1, vcc
	v_lshrrev_b64 v[0:1], v28, v[0:1]
; %bb.4122:                             ;   in Loop: Header=BB6_3735 Depth=3
	s_andn2_saveexec_b64 s[28:29], s[28:29]
; %bb.4123:                             ;   in Loop: Header=BB6_3735 Depth=3
	v_bfe_u32 v2, v0, 23, 1
; %bb.4124:                             ;   in Loop: Header=BB6_3735 Depth=3
	s_or_b64 exec, exec, s[28:29]
	v_lshrrev_b64 v[0:1], 21, v[0:1]
	v_cmp_gt_i32_e32 vcc, 32, v2
	v_cndmask_b32_e32 v1, 0, v1, vcc
	v_cndmask_b32_e32 v0, 3, v0, vcc
	v_cmp_eq_u64_e64 s[28:29], 0, v[0:1]
	v_min_i32_e32 v1, 31, v2
	v_lshlrev_b32_e32 v1, 2, v1
	v_cmp_eq_u32_e32 vcc, 0, v2
	v_and_b32_e32 v1, 0xfc, v1
	v_and_or_b32 v0, v0, 3, v1
	s_and_b64 s[28:29], vcc, s[28:29]
	v_cndmask_b32_e64 v0, v0, 0, s[28:29]
	v_or_b32_e32 v28, v0, v29
.LBB6_4125:                             ;   in Loop: Header=BB6_3735 Depth=3
	s_or_b64 exec, exec, s[38:39]
                                        ; implicit-def: $vgpr29
.LBB6_4126:                             ;   in Loop: Header=BB6_3735 Depth=3
	s_andn2_saveexec_b64 s[28:29], s[36:37]
; %bb.4127:                             ;   in Loop: Header=BB6_3735 Depth=3
	v_or_b32_e32 v28, 0x7b, v29
; %bb.4128:                             ;   in Loop: Header=BB6_3735 Depth=3
	s_or_b64 exec, exec, s[28:29]
                                        ; implicit-def: $vgpr2
                                        ; implicit-def: $vgpr0_vgpr1
.LBB6_4129:                             ;   in Loop: Header=BB6_3735 Depth=3
	s_andn2_saveexec_b64 s[28:29], s[34:35]
	s_cbranch_execz .LBB6_4135
; %bb.4130:                             ;   in Loop: Header=BB6_3735 Depth=3
	v_cmp_ne_u64_e32 vcc, 0, v[0:1]
                                        ; implicit-def: $vgpr28
	s_and_saveexec_b64 s[62:63], vcc
	s_xor_b64 vcc, exec, s[62:63]
; %bb.4131:                             ;   in Loop: Header=BB6_3735 Depth=3
	v_or_b32_sdwa v28, v2, s44 dst_sel:DWORD dst_unused:UNUSED_PAD src0_sel:BYTE_3 src1_sel:DWORD
                                        ; implicit-def: $vgpr2
; %bb.4132:                             ;   in Loop: Header=BB6_3735 Depth=3
	s_andn2_saveexec_b64 s[34:35], vcc
; %bb.4133:                             ;   in Loop: Header=BB6_3735 Depth=3
	v_cmp_lt_i32_e32 vcc, -1, v2
	v_bfrev_b32_e32 v0, 0.5
	v_mov_b32_e32 v1, 0x7c
	v_cndmask_b32_e32 v28, v0, v1, vcc
; %bb.4134:                             ;   in Loop: Header=BB6_3735 Depth=3
	s_or_b64 exec, exec, s[34:35]
.LBB6_4135:                             ;   in Loop: Header=BB6_3735 Depth=3
	s_or_b64 exec, exec, s[28:29]
	v_lshrrev_b32_e32 v0, 16, v11
	v_cmp_ne_u16_sdwa s[62:63], v0, v33 src0_sel:BYTE_0 src1_sel:DWORD
	v_mov_b32_e32 v1, 0
	s_and_saveexec_b64 s[28:29], s[62:63]
	s_cbranch_execz .LBB6_4143
; %bb.4136:                             ;   in Loop: Header=BB6_3735 Depth=3
	v_cmp_ne_u16_sdwa s[62:63], v0, s97 src0_sel:BYTE_0 src1_sel:DWORD
	v_bfrev_b32_e32 v1, 1
	s_and_saveexec_b64 s[34:35], s[62:63]
	s_cbranch_execz .LBB6_4142
; %bb.4137:                             ;   in Loop: Header=BB6_3735 Depth=3
	v_and_b32_e32 v1, 0x7c0000, v11
	v_bfe_u32 v2, v11, 16, 2
	v_cmp_ne_u32_e32 vcc, s45, v1
                                        ; implicit-def: $vgpr1
	s_and_saveexec_b64 s[62:63], vcc
	s_xor_b64 s[36:37], exec, s[62:63]
	s_cbranch_execz .LBB6_4139
; %bb.4138:                             ;   in Loop: Header=BB6_3735 Depth=3
	v_ffbh_u32_e32 v1, v2
	v_min_u32_e32 v30, 32, v1
	v_subrev_u32_e32 v1, 29, v30
	v_lshlrev_b64 v[0:1], v1, v[0:1]
	v_bfe_u32 v29, v11, 18, 5
	v_and_b32_e32 v0, 3, v0
	v_cmp_eq_u32_e32 vcc, 0, v29
	v_sub_u32_e32 v1, 30, v30
	v_cndmask_b32_e32 v0, v2, v0, vcc
	v_lshlrev_b32_e32 v2, 8, v11
	v_cndmask_b32_e32 v1, v29, v1, vcc
	v_and_b32_e32 v2, 0x80000000, v2
	v_lshl_add_u32 v1, v1, 23, v2
	v_lshl_or_b32 v0, v0, 21, v1
	v_add_u32_e32 v1, 0x38000000, v0
                                        ; implicit-def: $vgpr2
                                        ; implicit-def: $vgpr0
.LBB6_4139:                             ;   in Loop: Header=BB6_3735 Depth=3
	s_andn2_saveexec_b64 s[36:37], s[36:37]
; %bb.4140:                             ;   in Loop: Header=BB6_3735 Depth=3
	v_mov_b32_e32 v1, -1
	v_cmp_gt_i16_sdwa vcc, sext(v0), v1 src0_sel:BYTE_0 src1_sel:DWORD
	v_mov_b32_e32 v0, 0xff800000
	v_mov_b32_e32 v1, 0x7f800000
	v_cndmask_b32_e32 v0, v0, v1, vcc
	v_cmp_eq_u32_e32 vcc, 0, v2
	v_mov_b32_e32 v1, 0x7f800001
	v_cndmask_b32_e32 v1, v1, v0, vcc
; %bb.4141:                             ;   in Loop: Header=BB6_3735 Depth=3
	s_or_b64 exec, exec, s[36:37]
.LBB6_4142:                             ;   in Loop: Header=BB6_3735 Depth=3
	s_or_b64 exec, exec, s[34:35]
.LBB6_4143:                             ;   in Loop: Header=BB6_3735 Depth=3
	s_or_b64 exec, exec, s[28:29]
	v_mul_f32_e32 v2, v18, v1
	v_and_b32_e32 v29, 0x7f800000, v2
	v_mov_b32_e32 v30, v33
	v_cmp_ne_u64_e32 vcc, s[76:77], v[29:30]
	v_and_b32_e32 v0, 0x7fffff, v2
	v_mov_b32_e32 v1, v33
                                        ; implicit-def: $vgpr29
	s_and_saveexec_b64 s[28:29], vcc
	s_xor_b64 s[34:35], exec, s[28:29]
	s_cbranch_execz .LBB6_4157
; %bb.4144:                             ;   in Loop: Header=BB6_3735 Depth=3
	v_and_b32_e32 v29, 0x7fffffff, v2
	v_mov_b32_e32 v30, v33
	v_cmp_gt_u64_e32 vcc, s[78:79], v[29:30]
	v_and_b32_sdwa v30, v2, s97 dst_sel:DWORD dst_unused:UNUSED_PAD src0_sel:BYTE_3 src1_sel:DWORD
                                        ; implicit-def: $vgpr29
	s_and_saveexec_b64 s[28:29], vcc
	s_xor_b64 s[36:37], exec, s[28:29]
	s_cbranch_execz .LBB6_4154
; %bb.4145:                             ;   in Loop: Header=BB6_3735 Depth=3
	v_mov_b32_e32 v29, 0
	v_cmp_ne_u32_e32 vcc, 0, v2
	s_and_saveexec_b64 s[38:39], vcc
	s_cbranch_execz .LBB6_4153
; %bb.4146:                             ;   in Loop: Header=BB6_3735 Depth=3
	v_bfe_u32 v29, v2, 23, 8
	v_cmp_gt_u32_e64 s[28:29], s47, v29
	v_sub_u32_e32 v2, 0x71, v29
	v_cmp_eq_u32_e32 vcc, 0, v29
	v_cndmask_b32_e64 v2, 0, v2, s[28:29]
	v_mov_b32_e32 v31, 0x70
	v_cndmask_b32_e32 v31, v2, v31, vcc
	v_add_u32_e32 v2, 21, v31
	v_or_b32_e32 v32, 0x800000, v0
	v_lshlrev_b64 v[34:35], v2, -1
	v_cndmask_b32_e32 v0, v32, v0, vcc
	v_add_u32_e32 v2, 20, v31
	v_bfi_b32 v34, v34, 0, v0
	v_lshlrev_b64 v[36:37], v2, 1
	v_lshrrev_b64 v[0:1], v31, v[0:1]
	v_bfi_b32 v35, v35, 0, 0
	v_cmp_eq_u64_e64 s[28:29], v[34:35], v[36:37]
	v_mov_b32_e32 v2, v1
	v_mov_b32_e32 v1, v0
	s_and_saveexec_b64 s[48:49], s[28:29]
; %bb.4147:                             ;   in Loop: Header=BB6_3735 Depth=3
	v_bfe_u32 v1, v0, 21, 1
	v_add_co_u32_e64 v1, s[28:29], v0, v1
	v_add_co_u32_e64 v1, s[28:29], -1, v1
; %bb.4148:                             ;   in Loop: Header=BB6_3735 Depth=3
	s_or_b64 exec, exec, s[48:49]
	v_add_u32_e32 v2, 0xffffff81, v29
	v_mov_b32_e32 v29, 0xffffff82
	v_cndmask_b32_e32 v2, v2, v29, vcc
	v_lshrrev_b32_e32 v29, 23, v0
	v_add3_u32 v31, v31, v2, v29
	v_add_u32_e32 v29, 14, v31
	v_and_b32_e32 v1, 0x1fffff, v1
	v_add_u32_e32 v0, v1, v0
	v_mov_b32_e32 v1, v33
	v_cmp_ne_u32_e32 vcc, 0, v29
                                        ; implicit-def: $vgpr2
	s_and_saveexec_b64 s[28:29], vcc
	s_xor_b64 s[28:29], exec, s[28:29]
; %bb.4149:                             ;   in Loop: Header=BB6_3735 Depth=3
	v_cmp_lt_u64_e32 vcc, s[88:89], v[0:1]
	v_add_u32_e32 v2, 15, v31
	v_cndmask_b32_e32 v2, v29, v2, vcc
	v_cndmask_b32_e64 v29, 0, 1, vcc
	v_lshrrev_b64 v[0:1], v29, v[0:1]
; %bb.4150:                             ;   in Loop: Header=BB6_3735 Depth=3
	s_andn2_saveexec_b64 s[28:29], s[28:29]
; %bb.4151:                             ;   in Loop: Header=BB6_3735 Depth=3
	v_bfe_u32 v2, v0, 23, 1
; %bb.4152:                             ;   in Loop: Header=BB6_3735 Depth=3
	s_or_b64 exec, exec, s[28:29]
	v_lshrrev_b64 v[0:1], 21, v[0:1]
	v_cmp_gt_i32_e32 vcc, 32, v2
	v_cndmask_b32_e32 v1, 0, v1, vcc
	v_cndmask_b32_e32 v0, 3, v0, vcc
	v_cmp_eq_u64_e64 s[28:29], 0, v[0:1]
	v_min_i32_e32 v1, 31, v2
	v_lshlrev_b32_e32 v1, 2, v1
	v_cmp_eq_u32_e32 vcc, 0, v2
	v_and_b32_e32 v1, 0xfc, v1
	v_and_or_b32 v0, v0, 3, v1
	s_and_b64 s[28:29], vcc, s[28:29]
	v_cndmask_b32_e64 v0, v0, 0, s[28:29]
	v_or_b32_e32 v29, v0, v30
.LBB6_4153:                             ;   in Loop: Header=BB6_3735 Depth=3
	s_or_b64 exec, exec, s[38:39]
                                        ; implicit-def: $vgpr30
.LBB6_4154:                             ;   in Loop: Header=BB6_3735 Depth=3
	s_andn2_saveexec_b64 s[28:29], s[36:37]
; %bb.4155:                             ;   in Loop: Header=BB6_3735 Depth=3
	v_or_b32_e32 v29, 0x7b, v30
; %bb.4156:                             ;   in Loop: Header=BB6_3735 Depth=3
	s_or_b64 exec, exec, s[28:29]
                                        ; implicit-def: $vgpr2
                                        ; implicit-def: $vgpr0_vgpr1
.LBB6_4157:                             ;   in Loop: Header=BB6_3735 Depth=3
	s_andn2_saveexec_b64 s[28:29], s[34:35]
	s_cbranch_execz .LBB6_4163
; %bb.4158:                             ;   in Loop: Header=BB6_3735 Depth=3
	v_cmp_ne_u64_e32 vcc, 0, v[0:1]
                                        ; implicit-def: $vgpr29
	s_and_saveexec_b64 s[62:63], vcc
	s_xor_b64 vcc, exec, s[62:63]
; %bb.4159:                             ;   in Loop: Header=BB6_3735 Depth=3
	v_or_b32_sdwa v29, v2, s44 dst_sel:DWORD dst_unused:UNUSED_PAD src0_sel:BYTE_3 src1_sel:DWORD
                                        ; implicit-def: $vgpr2
; %bb.4160:                             ;   in Loop: Header=BB6_3735 Depth=3
	s_andn2_saveexec_b64 s[34:35], vcc
; %bb.4161:                             ;   in Loop: Header=BB6_3735 Depth=3
	v_cmp_lt_i32_e32 vcc, -1, v2
	v_bfrev_b32_e32 v0, 0.5
	v_mov_b32_e32 v1, 0x7c
	v_cndmask_b32_e32 v29, v0, v1, vcc
; %bb.4162:                             ;   in Loop: Header=BB6_3735 Depth=3
	s_or_b64 exec, exec, s[34:35]
.LBB6_4163:                             ;   in Loop: Header=BB6_3735 Depth=3
	s_or_b64 exec, exec, s[28:29]
	v_cmp_lt_u64_e32 vcc, s[56:57], v[10:11]
	v_mov_b32_e32 v1, 0
	s_and_saveexec_b64 s[28:29], vcc
	s_cbranch_execz .LBB6_4171
; %bb.4164:                             ;   in Loop: Header=BB6_3735 Depth=3
	v_lshrrev_b32_e32 v0, 24, v11
	v_cmp_ne_u32_e32 vcc, s97, v0
	v_bfrev_b32_e32 v1, 1
	s_and_saveexec_b64 s[34:35], vcc
	s_cbranch_execz .LBB6_4170
; %bb.4165:                             ;   in Loop: Header=BB6_3735 Depth=3
	v_and_b32_e32 v1, 0x7c000000, v11
	v_bfe_u32 v2, v11, 24, 2
	v_cmp_ne_u32_e32 vcc, s68, v1
                                        ; implicit-def: $vgpr1
	s_and_saveexec_b64 s[62:63], vcc
	s_xor_b64 s[36:37], exec, s[62:63]
	s_cbranch_execz .LBB6_4167
; %bb.4166:                             ;   in Loop: Header=BB6_3735 Depth=3
	v_ffbh_u32_e32 v1, v2
	v_min_u32_e32 v30, 32, v1
	v_subrev_u32_e32 v1, 29, v30
	v_lshlrev_b64 v[0:1], v1, v[0:1]
	v_bfe_u32 v10, v11, 26, 5
	v_sub_u32_e32 v1, 30, v30
	v_and_b32_e32 v0, 3, v0
	v_cmp_eq_u32_e32 vcc, 0, v10
	v_cndmask_b32_e32 v1, v10, v1, vcc
	v_cndmask_b32_e32 v0, v2, v0, vcc
	v_and_b32_e32 v2, 0x80000000, v11
	v_lshl_add_u32 v1, v1, 23, v2
	v_lshl_or_b32 v0, v0, 21, v1
	v_add_u32_e32 v1, 0x38000000, v0
                                        ; implicit-def: $vgpr2
                                        ; implicit-def: $vgpr10_vgpr11
.LBB6_4167:                             ;   in Loop: Header=BB6_3735 Depth=3
	s_andn2_saveexec_b64 s[36:37], s[36:37]
; %bb.4168:                             ;   in Loop: Header=BB6_3735 Depth=3
	v_cmp_lt_i64_e32 vcc, -1, v[10:11]
	v_mov_b32_e32 v0, 0xff800000
	v_mov_b32_e32 v1, 0x7f800000
	v_cndmask_b32_e32 v0, v0, v1, vcc
	v_cmp_eq_u32_e32 vcc, 0, v2
	v_mov_b32_e32 v1, 0x7f800001
	v_cndmask_b32_e32 v1, v1, v0, vcc
; %bb.4169:                             ;   in Loop: Header=BB6_3735 Depth=3
	s_or_b64 exec, exec, s[36:37]
.LBB6_4170:                             ;   in Loop: Header=BB6_3735 Depth=3
	s_or_b64 exec, exec, s[34:35]
.LBB6_4171:                             ;   in Loop: Header=BB6_3735 Depth=3
	s_or_b64 exec, exec, s[28:29]
	v_mul_f32_e32 v11, v18, v1
	v_and_b32_e32 v1, 0x7f800000, v11
	v_mov_b32_e32 v2, v33
	v_cmp_ne_u64_e32 vcc, s[76:77], v[1:2]
	v_and_b32_e32 v0, 0x7fffff, v11
	v_mov_b32_e32 v1, v33
                                        ; implicit-def: $vgpr2
	s_and_saveexec_b64 s[28:29], vcc
	s_xor_b64 s[34:35], exec, s[28:29]
	s_cbranch_execz .LBB6_4185
; %bb.4172:                             ;   in Loop: Header=BB6_3735 Depth=3
	v_and_b32_e32 v30, 0x7fffffff, v11
	v_mov_b32_e32 v31, v33
	v_cmp_gt_u64_e32 vcc, s[78:79], v[30:31]
	v_and_b32_sdwa v10, v11, s97 dst_sel:DWORD dst_unused:UNUSED_PAD src0_sel:BYTE_3 src1_sel:DWORD
                                        ; implicit-def: $vgpr2
	s_and_saveexec_b64 s[28:29], vcc
	s_xor_b64 s[36:37], exec, s[28:29]
	s_cbranch_execz .LBB6_4182
; %bb.4173:                             ;   in Loop: Header=BB6_3735 Depth=3
	v_mov_b32_e32 v2, 0
	v_cmp_ne_u32_e32 vcc, 0, v11
	s_and_saveexec_b64 s[38:39], vcc
	s_cbranch_execz .LBB6_4181
; %bb.4174:                             ;   in Loop: Header=BB6_3735 Depth=3
	v_bfe_u32 v11, v11, 23, 8
	v_cmp_gt_u32_e64 s[28:29], s47, v11
	v_sub_u32_e32 v2, 0x71, v11
	v_cmp_eq_u32_e32 vcc, 0, v11
	v_cndmask_b32_e64 v2, 0, v2, s[28:29]
	v_mov_b32_e32 v18, 0x70
	v_cndmask_b32_e32 v18, v2, v18, vcc
	v_or_b32_e32 v30, 0x800000, v0
	v_add_u32_e32 v2, 21, v18
	v_cndmask_b32_e32 v0, v30, v0, vcc
	v_lshlrev_b64 v[30:31], v2, -1
	v_add_u32_e32 v2, 20, v18
	v_bfi_b32 v30, v30, 0, v0
	v_lshlrev_b64 v[34:35], v2, 1
	v_lshrrev_b64 v[0:1], v18, v[0:1]
	v_bfi_b32 v31, v31, 0, 0
	v_cmp_eq_u64_e64 s[28:29], v[30:31], v[34:35]
	v_mov_b32_e32 v2, v1
	v_mov_b32_e32 v1, v0
	s_and_saveexec_b64 s[48:49], s[28:29]
; %bb.4175:                             ;   in Loop: Header=BB6_3735 Depth=3
	v_bfe_u32 v1, v0, 21, 1
	v_add_co_u32_e64 v1, s[28:29], v0, v1
	v_add_co_u32_e64 v1, s[28:29], -1, v1
; %bb.4176:                             ;   in Loop: Header=BB6_3735 Depth=3
	s_or_b64 exec, exec, s[48:49]
	v_add_u32_e32 v2, 0xffffff81, v11
	v_mov_b32_e32 v11, 0xffffff82
	v_cndmask_b32_e32 v2, v2, v11, vcc
	v_lshrrev_b32_e32 v11, 23, v0
	v_add3_u32 v18, v18, v2, v11
	v_add_u32_e32 v11, 14, v18
	v_and_b32_e32 v1, 0x1fffff, v1
	v_add_u32_e32 v0, v1, v0
	v_mov_b32_e32 v1, v33
	v_cmp_ne_u32_e32 vcc, 0, v11
                                        ; implicit-def: $vgpr2
	s_and_saveexec_b64 s[28:29], vcc
	s_xor_b64 s[28:29], exec, s[28:29]
; %bb.4177:                             ;   in Loop: Header=BB6_3735 Depth=3
	v_cmp_lt_u64_e32 vcc, s[88:89], v[0:1]
	v_add_u32_e32 v2, 15, v18
	v_cndmask_b32_e32 v2, v11, v2, vcc
	v_cndmask_b32_e64 v11, 0, 1, vcc
	v_lshrrev_b64 v[0:1], v11, v[0:1]
; %bb.4178:                             ;   in Loop: Header=BB6_3735 Depth=3
	s_andn2_saveexec_b64 s[28:29], s[28:29]
; %bb.4179:                             ;   in Loop: Header=BB6_3735 Depth=3
	v_bfe_u32 v2, v0, 23, 1
; %bb.4180:                             ;   in Loop: Header=BB6_3735 Depth=3
	s_or_b64 exec, exec, s[28:29]
	v_lshrrev_b64 v[0:1], 21, v[0:1]
	v_cmp_gt_i32_e32 vcc, 32, v2
	v_cndmask_b32_e32 v1, 0, v1, vcc
	v_cndmask_b32_e32 v0, 3, v0, vcc
	v_cmp_eq_u64_e64 s[28:29], 0, v[0:1]
	v_min_i32_e32 v1, 31, v2
	v_lshlrev_b32_e32 v1, 2, v1
	v_cmp_eq_u32_e32 vcc, 0, v2
	v_and_b32_e32 v1, 0xfc, v1
	v_and_or_b32 v0, v0, 3, v1
	s_and_b64 s[28:29], vcc, s[28:29]
	v_cndmask_b32_e64 v0, v0, 0, s[28:29]
	v_or_b32_e32 v2, v0, v10
.LBB6_4181:                             ;   in Loop: Header=BB6_3735 Depth=3
	s_or_b64 exec, exec, s[38:39]
                                        ; implicit-def: $vgpr10
.LBB6_4182:                             ;   in Loop: Header=BB6_3735 Depth=3
	s_andn2_saveexec_b64 s[28:29], s[36:37]
; %bb.4183:                             ;   in Loop: Header=BB6_3735 Depth=3
	v_or_b32_e32 v2, 0x7b, v10
; %bb.4184:                             ;   in Loop: Header=BB6_3735 Depth=3
	s_or_b64 exec, exec, s[28:29]
                                        ; implicit-def: $vgpr11
                                        ; implicit-def: $vgpr0_vgpr1
.LBB6_4185:                             ;   in Loop: Header=BB6_3735 Depth=3
	s_andn2_saveexec_b64 s[28:29], s[34:35]
	s_cbranch_execz .LBB6_3734
; %bb.4186:                             ;   in Loop: Header=BB6_3735 Depth=3
	v_cmp_ne_u64_e32 vcc, 0, v[0:1]
                                        ; implicit-def: $vgpr2
	s_and_saveexec_b64 s[62:63], vcc
	s_xor_b64 vcc, exec, s[62:63]
; %bb.4187:                             ;   in Loop: Header=BB6_3735 Depth=3
	v_or_b32_sdwa v2, v11, s44 dst_sel:DWORD dst_unused:UNUSED_PAD src0_sel:BYTE_3 src1_sel:DWORD
                                        ; implicit-def: $vgpr11
; %bb.4188:                             ;   in Loop: Header=BB6_3735 Depth=3
	s_andn2_saveexec_b64 s[34:35], vcc
	s_cbranch_execz .LBB6_3733
; %bb.4189:                             ;   in Loop: Header=BB6_3735 Depth=3
	v_cmp_lt_i32_e32 vcc, -1, v11
	v_bfrev_b32_e32 v0, 0.5
	v_mov_b32_e32 v1, 0x7c
	v_cndmask_b32_e32 v2, v0, v1, vcc
	s_branch .LBB6_3733
.LBB6_4190:                             ;   in Loop: Header=BB6_57 Depth=2
	s_or_b64 exec, exec, s[40:41]
.LBB6_4191:                             ;   in Loop: Header=BB6_57 Depth=2
	s_or_b64 exec, exec, s[30:31]
	buffer_load_dword v0, off, s[0:3], s33 offset:724 ; 4-byte Folded Reload
	v_cmp_lt_i32_e32 vcc, 0, v7
	s_waitcnt vmcnt(0)
	v_and_b32_e32 v0, 15, v0
	v_sub_u32_e32 v1, v6, v0
	v_cndmask_b32_e64 v6, v6, v0, s[26:27]
	buffer_load_dword v0, off, s[0:3], s33 offset:284 ; 4-byte Folded Reload
	v_cndmask_b32_e64 v1, 0, v1, s[26:27]
	v_add3_u32 v5, v5, v12, v1
	s_waitcnt vmcnt(0)
	v_cndmask_b32_e32 v0, 0, v0, vcc
	v_sub_u32_e32 v0, v0, v7
	v_cmp_ne_u32_e32 vcc, 0, v6
	v_lshl_add_u32 v7, v0, 6, v4
	s_and_b64 s[26:27], vcc, exec
.LBB6_4192:                             ;   in Loop: Header=BB6_57 Depth=2
	s_or_b64 exec, exec, s[94:95]
	s_and_saveexec_b64 s[28:29], s[26:27]
	s_cbranch_execz .LBB6_5269
.LBB6_4193:                             ;   in Loop: Header=BB6_57 Depth=2
	s_waitcnt vmcnt(1)
	v_ashrrev_i32_e32 v0, 31, v7
	v_ashrrev_i32_e32 v1, 31, v6
	v_lshrrev_b32_e32 v0, 26, v0
	v_lshrrev_b32_e32 v1, 21, v1
	v_add_u32_e32 v0, v7, v0
	v_add_u32_e32 v1, v6, v1
	v_ashrrev_i32_e32 v8, 6, v0
	v_ashrrev_i32_e32 v10, 11, v1
	v_sub_u32_e32 v9, v10, v8
	v_cmp_lt_i32_e32 vcc, 0, v9
	s_and_saveexec_b64 s[40:41], vcc
	s_cbranch_execz .LBB6_5227
; %bb.4194:                             ;   in Loop: Header=BB6_57 Depth=2
	v_and_b32_e32 v0, 0xffffffc0, v0
	v_sub_u32_e32 v0, v7, v0
	v_lshlrev_b32_e32 v1, 11, v8
	v_add3_u32 v11, v5, v0, v1
	v_ashrrev_i32_e32 v12, 31, v11
	s_mov_b64 s[94:95], 0
	s_branch .LBB6_4197
.LBB6_4195:                             ;   in Loop: Header=BB6_4197 Depth=3
	s_or_b64 exec, exec, s[30:31]
.LBB6_4196:                             ;   in Loop: Header=BB6_4197 Depth=3
	s_or_b64 exec, exec, s[26:27]
	v_add_co_u32_e32 v0, vcc, v11, v58
	v_addc_co_u32_e32 v1, vcc, v12, v59, vcc
	flat_store_byte v[0:1], v13 glc slc
	flat_store_byte v[0:1], v15 offset:64 glc slc
	flat_store_byte v[0:1], v16 offset:128 glc slc
	;; [unrolled: 1-line block ×31, first 2 shown]
	buffer_load_dword v0, off, s[0:3], s33 offset:284 ; 4-byte Folded Reload
	s_waitcnt vmcnt(0)
	v_sub_u32_e32 v9, v9, v0
	buffer_load_dword v0, off, s[0:3], s33 offset:396 ; 4-byte Folded Reload
	s_waitcnt vmcnt(0)
	v_add_co_u32_e32 v56, vcc, v56, v0
	v_addc_co_u32_e32 v57, vcc, 0, v57, vcc
	v_cmp_gt_i32_e32 vcc, 1, v9
	s_or_b64 s[94:95], vcc, s[94:95]
	v_add_co_u32_e32 v58, vcc, v58, v0
	v_addc_co_u32_e32 v59, vcc, 0, v59, vcc
	s_andn2_b64 exec, exec, s[94:95]
	s_cbranch_execz .LBB6_5226
.LBB6_4197:                             ;   Parent Loop BB6_47 Depth=1
                                        ;     Parent Loop BB6_57 Depth=2
                                        ; =>    This Inner Loop Header: Depth=3
	s_trap 2
	ds_read_b64 v[0:1], v0
	v_mov_b32_e32 v3, 0
	v_mov_b32_e32 v14, 0
	s_waitcnt lgkmcnt(0)
	v_cmp_eq_u32_sdwa s[62:63], v0, v33 src0_sel:BYTE_0 src1_sel:DWORD
	v_readfirstlane_b32 s26, v0
	v_readfirstlane_b32 s27, v1
	s_and_b64 vcc, exec, s[62:63]
	s_cbranch_vccnz .LBB6_4203
; %bb.4198:                             ;   in Loop: Header=BB6_4197 Depth=3
	s_bfe_i32 s63, s26, 0x80000
	s_and_b32 s62, 0xffff, s63
	s_cmpk_eq_u32 s62, 0xff80
	v_bfrev_b32_e32 v14, 1
	s_cbranch_scc1 .LBB6_4203
; %bb.4199:                             ;   in Loop: Header=BB6_4197 Depth=3
	s_and_b32 s62, s26, 3
	s_and_b32 s30, s26, 0x7c
	s_mov_b64 vcc, -1
	s_cmpk_lg_i32 s30, 0x7c
	s_sext_i32_i16 s63, s63
                                        ; implicit-def: $sgpr30
	s_cbranch_scc0 .LBB6_4201
; %bb.4200:                             ;   in Loop: Header=BB6_4197 Depth=3
	s_flbit_i32_b32 vcc_hi, s62
	s_min_u32 vcc_hi, vcc_hi, 32
	s_sub_i32 s30, vcc_hi, 29
	s_bfe_u32 vcc_lo, s26, 0x50002
	s_lshl_b64 s[26:27], s[26:27], s30
	s_sub_i32 s27, 30, vcc_hi
	s_and_b32 s26, s26, 3
	s_cmp_eq_u32 vcc_lo, 0
	s_cselect_b32 s27, s27, vcc_lo
	s_cselect_b32 s26, s26, s62
	s_and_b32 vcc_lo, s63, 0x80000000
	s_lshl_b32 s27, s27, 23
	s_add_i32 s27, s27, vcc_lo
	s_lshl_b32 s26, s26, 21
	s_or_b32 s26, s27, s26
	s_add_i32 s30, s26, 0x38000000
	s_mov_b64 vcc, 0
.LBB6_4201:                             ;   in Loop: Header=BB6_4197 Depth=3
	s_andn2_b64 vcc, exec, vcc
	v_mov_b32_e32 v14, s30
	s_cbranch_vccnz .LBB6_4203
; %bb.4202:                             ;   in Loop: Header=BB6_4197 Depth=3
	s_cmp_eq_u32 s62, 0
	s_cselect_b64 vcc, -1, 0
	s_cmp_gt_i32 s63, -1
	s_cselect_b64 s[26:27], -1, 0
	v_mov_b32_e32 v0, 0xff800000
	v_mov_b32_e32 v1, 0x7f800000
	v_cndmask_b32_e64 v0, v0, v1, s[26:27]
	v_mov_b32_e32 v1, 0x7f800001
	v_cndmask_b32_e32 v14, v1, v0, vcc
.LBB6_4203:                             ;   in Loop: Header=BB6_4197 Depth=3
	v_add_co_u32_e32 v0, vcc, v11, v56
	v_addc_co_u32_e32 v1, vcc, v12, v57, vcc
	flat_load_sbyte v2, v[0:1] glc slc
	s_waitcnt vmcnt(0) lgkmcnt(0)
	v_cmp_ne_u16_e32 vcc, 0, v2
	s_and_saveexec_b64 s[26:27], vcc
	s_cbranch_execz .LBB6_4211
; %bb.4204:                             ;   in Loop: Header=BB6_4197 Depth=3
	v_cmp_ne_u16_e32 vcc, s46, v2
	v_bfrev_b32_e32 v3, 1
	s_and_saveexec_b64 s[30:31], vcc
	s_cbranch_execz .LBB6_4210
; %bb.4205:                             ;   in Loop: Header=BB6_4197 Depth=3
	v_and_b32_e32 v3, 0x7c, v2
	v_and_b32_e32 v4, 3, v2
	v_cmp_ne_u32_e32 vcc, s86, v3
                                        ; implicit-def: $vgpr3
	s_and_saveexec_b64 s[62:63], vcc
	s_xor_b64 s[34:35], exec, s[62:63]
	s_cbranch_execz .LBB6_4207
; %bb.4206:                             ;   in Loop: Header=BB6_4197 Depth=3
	v_ffbh_u32_e32 v15, v4
	v_min_u32_e32 v17, 32, v15
	v_and_b32_e32 v13, 0xff, v2
	v_mov_b32_e32 v3, v33
	v_subrev_u32_e32 v15, 29, v17
	v_bfe_u32 v13, v13, 2, 5
	v_lshlrev_b64 v[15:16], v15, v[2:3]
	v_sub_u32_e32 v3, 30, v17
	v_cmp_eq_u32_e32 vcc, 0, v13
	v_and_b32_e32 v15, 3, v15
	v_cndmask_b32_e32 v3, v13, v3, vcc
	v_and_b32_sdwa v2, sext(v2), s87 dst_sel:DWORD dst_unused:UNUSED_PAD src0_sel:WORD_0 src1_sel:DWORD
	v_cndmask_b32_e32 v4, v4, v15, vcc
	v_lshl_add_u32 v2, v3, 23, v2
	v_lshl_or_b32 v2, v4, 21, v2
	v_add_u32_e32 v3, 0x38000000, v2
                                        ; implicit-def: $vgpr4
                                        ; implicit-def: $vgpr2
.LBB6_4207:                             ;   in Loop: Header=BB6_4197 Depth=3
	s_andn2_saveexec_b64 s[34:35], s[34:35]
; %bb.4208:                             ;   in Loop: Header=BB6_4197 Depth=3
	v_cmp_lt_i16_e32 vcc, -1, v2
	v_mov_b32_e32 v2, 0xff800000
	v_mov_b32_e32 v3, 0x7f800000
	v_cndmask_b32_e32 v2, v2, v3, vcc
	v_cmp_eq_u32_e32 vcc, 0, v4
	v_mov_b32_e32 v3, 0x7f800001
	v_cndmask_b32_e32 v3, v3, v2, vcc
; %bb.4209:                             ;   in Loop: Header=BB6_4197 Depth=3
	s_or_b64 exec, exec, s[34:35]
.LBB6_4210:                             ;   in Loop: Header=BB6_4197 Depth=3
	s_or_b64 exec, exec, s[30:31]
.LBB6_4211:                             ;   in Loop: Header=BB6_4197 Depth=3
	s_or_b64 exec, exec, s[26:27]
	v_mul_f32_e32 v4, v14, v3
	v_and_b32_e32 v15, 0x7f800000, v4
	v_mov_b32_e32 v16, v33
	v_cmp_ne_u64_e32 vcc, s[76:77], v[15:16]
	v_and_b32_e32 v2, 0x7fffff, v4
	v_mov_b32_e32 v3, v33
                                        ; implicit-def: $vgpr13
	s_and_saveexec_b64 s[26:27], vcc
	s_xor_b64 s[30:31], exec, s[26:27]
	s_cbranch_execz .LBB6_4229
; %bb.4212:                             ;   in Loop: Header=BB6_4197 Depth=3
	v_and_b32_e32 v15, 0x7fffffff, v4
	v_mov_b32_e32 v16, v33
	v_cmp_gt_u64_e32 vcc, s[78:79], v[15:16]
	v_and_b32_sdwa v15, v4, s97 dst_sel:DWORD dst_unused:UNUSED_PAD src0_sel:BYTE_3 src1_sel:DWORD
                                        ; implicit-def: $vgpr13
	s_and_saveexec_b64 s[26:27], vcc
	s_xor_b64 s[34:35], exec, s[26:27]
	s_cbranch_execz .LBB6_4226
; %bb.4213:                             ;   in Loop: Header=BB6_4197 Depth=3
	v_cmp_ne_u32_e32 vcc, 0, v4
	v_mov_b32_e32 v13, 0
	s_and_saveexec_b64 s[36:37], vcc
	s_cbranch_execz .LBB6_4225
; %bb.4214:                             ;   in Loop: Header=BB6_4197 Depth=3
	v_bfe_u32 v13, v4, 23, 8
	v_cmp_gt_u32_e64 s[26:27], s47, v13
	v_sub_u32_e32 v4, 0x71, v13
	v_cmp_eq_u32_e32 vcc, 0, v13
	v_cndmask_b32_e64 v4, 0, v4, s[26:27]
	v_mov_b32_e32 v16, 0x70
	v_cndmask_b32_e32 v16, v4, v16, vcc
	v_or_b32_e32 v17, 0x800000, v2
	v_add_u32_e32 v4, 21, v16
	v_cndmask_b32_e32 v2, v17, v2, vcc
	v_lshlrev_b64 v[17:18], v4, -1
	v_add_u32_e32 v4, 20, v16
	v_bfi_b32 v17, v17, 0, v2
	v_lshlrev_b64 v[19:20], v4, 1
	v_lshrrev_b64 v[2:3], v16, v[2:3]
	v_bfi_b32 v18, v18, 0, 0
	v_cmp_eq_u64_e64 s[26:27], v[17:18], v[19:20]
	v_mov_b32_e32 v4, v3
	v_mov_b32_e32 v3, v2
	s_and_saveexec_b64 s[38:39], s[26:27]
; %bb.4215:                             ;   in Loop: Header=BB6_4197 Depth=3
	v_bfe_u32 v3, v2, 21, 1
	v_add_co_u32_e64 v3, s[26:27], v2, v3
	v_add_co_u32_e64 v3, s[26:27], -1, v3
; %bb.4216:                             ;   in Loop: Header=BB6_4197 Depth=3
	s_or_b64 exec, exec, s[38:39]
	v_add_u32_e32 v4, 0xffffff81, v13
	v_mov_b32_e32 v13, 0xffffff82
	v_cndmask_b32_e32 v4, v4, v13, vcc
	v_lshrrev_b32_e32 v13, 23, v2
	v_add3_u32 v16, v16, v4, v13
	v_add_u32_e32 v13, 14, v16
	v_and_b32_e32 v3, 0x1fffff, v3
	v_add_u32_e32 v2, v3, v2
	v_mov_b32_e32 v3, v33
	v_cmp_ne_u32_e32 vcc, 0, v13
                                        ; implicit-def: $vgpr4
	s_and_saveexec_b64 s[26:27], vcc
	s_xor_b64 s[26:27], exec, s[26:27]
; %bb.4217:                             ;   in Loop: Header=BB6_4197 Depth=3
	v_cmp_lt_u64_e32 vcc, s[88:89], v[2:3]
	v_add_u32_e32 v4, 15, v16
	v_cndmask_b32_e32 v4, v13, v4, vcc
	v_cndmask_b32_e64 v13, 0, 1, vcc
	v_lshrrev_b64 v[2:3], v13, v[2:3]
; %bb.4218:                             ;   in Loop: Header=BB6_4197 Depth=3
	s_andn2_saveexec_b64 s[26:27], s[26:27]
; %bb.4219:                             ;   in Loop: Header=BB6_4197 Depth=3
	v_bfe_u32 v4, v2, 23, 1
; %bb.4220:                             ;   in Loop: Header=BB6_4197 Depth=3
	s_or_b64 exec, exec, s[26:27]
	v_lshrrev_b64 v[2:3], 21, v[2:3]
	v_cmp_gt_i32_e32 vcc, 32, v4
	v_cndmask_b32_e32 v3, 0, v3, vcc
	v_cndmask_b32_e32 v2, 3, v2, vcc
	v_cmp_ne_u64_e32 vcc, 0, v[2:3]
	v_cmp_ne_u32_e64 s[26:27], 0, v4
	s_or_b64 s[26:27], s[26:27], vcc
                                        ; implicit-def: $vgpr13
	s_and_saveexec_b64 s[62:63], s[26:27]
	s_xor_b64 s[26:27], exec, s[62:63]
; %bb.4221:                             ;   in Loop: Header=BB6_4197 Depth=3
	v_min_i32_e32 v3, 31, v4
	v_lshl_or_b32 v3, v3, 2, v15
	v_and_or_b32 v13, v2, 3, v3
                                        ; implicit-def: $vgpr15
; %bb.4222:                             ;   in Loop: Header=BB6_4197 Depth=3
	s_andn2_saveexec_b64 s[26:27], s[26:27]
; %bb.4223:                             ;   in Loop: Header=BB6_4197 Depth=3
	v_mov_b32_e32 v13, v15
; %bb.4224:                             ;   in Loop: Header=BB6_4197 Depth=3
	s_or_b64 exec, exec, s[26:27]
.LBB6_4225:                             ;   in Loop: Header=BB6_4197 Depth=3
	s_or_b64 exec, exec, s[36:37]
                                        ; implicit-def: $vgpr15
.LBB6_4226:                             ;   in Loop: Header=BB6_4197 Depth=3
	s_andn2_saveexec_b64 s[26:27], s[34:35]
; %bb.4227:                             ;   in Loop: Header=BB6_4197 Depth=3
	v_or_b32_e32 v13, 0x7b, v15
; %bb.4228:                             ;   in Loop: Header=BB6_4197 Depth=3
	s_or_b64 exec, exec, s[26:27]
                                        ; implicit-def: $vgpr4
                                        ; implicit-def: $vgpr2_vgpr3
.LBB6_4229:                             ;   in Loop: Header=BB6_4197 Depth=3
	s_andn2_saveexec_b64 s[26:27], s[30:31]
	s_cbranch_execz .LBB6_4235
; %bb.4230:                             ;   in Loop: Header=BB6_4197 Depth=3
	v_cmp_ne_u64_e32 vcc, 0, v[2:3]
                                        ; implicit-def: $vgpr13
	s_and_saveexec_b64 s[62:63], vcc
	s_xor_b64 vcc, exec, s[62:63]
; %bb.4231:                             ;   in Loop: Header=BB6_4197 Depth=3
	v_or_b32_sdwa v13, v4, s44 dst_sel:DWORD dst_unused:UNUSED_PAD src0_sel:BYTE_3 src1_sel:DWORD
                                        ; implicit-def: $vgpr4
; %bb.4232:                             ;   in Loop: Header=BB6_4197 Depth=3
	s_andn2_saveexec_b64 s[30:31], vcc
; %bb.4233:                             ;   in Loop: Header=BB6_4197 Depth=3
	v_cmp_lt_i32_e32 vcc, -1, v4
	v_mov_b32_e32 v2, 0x7c
	v_cndmask_b32_e32 v13, -4, v2, vcc
; %bb.4234:                             ;   in Loop: Header=BB6_4197 Depth=3
	s_or_b64 exec, exec, s[30:31]
.LBB6_4235:                             ;   in Loop: Header=BB6_4197 Depth=3
	s_or_b64 exec, exec, s[26:27]
	flat_load_sbyte v2, v[0:1] offset:64 glc slc
	v_mov_b32_e32 v3, 0
	s_waitcnt vmcnt(0) lgkmcnt(0)
	v_cmp_ne_u16_e32 vcc, 0, v2
	s_and_saveexec_b64 s[26:27], vcc
	s_cbranch_execz .LBB6_4243
; %bb.4236:                             ;   in Loop: Header=BB6_4197 Depth=3
	v_cmp_ne_u16_e32 vcc, s46, v2
	v_bfrev_b32_e32 v3, 1
	s_and_saveexec_b64 s[30:31], vcc
	s_cbranch_execz .LBB6_4242
; %bb.4237:                             ;   in Loop: Header=BB6_4197 Depth=3
	v_and_b32_e32 v3, 0x7c, v2
	v_and_b32_e32 v4, 3, v2
	v_cmp_ne_u32_e32 vcc, s86, v3
                                        ; implicit-def: $vgpr3
	s_and_saveexec_b64 s[62:63], vcc
	s_xor_b64 s[34:35], exec, s[62:63]
	s_cbranch_execz .LBB6_4239
; %bb.4238:                             ;   in Loop: Header=BB6_4197 Depth=3
	v_and_b32_e32 v15, 0xff, v2
	v_bfe_u32 v17, v15, 2, 5
	v_ffbh_u32_e32 v15, v4
	v_min_u32_e32 v18, 32, v15
	v_mov_b32_e32 v3, v33
	v_subrev_u32_e32 v15, 29, v18
	v_lshlrev_b64 v[15:16], v15, v[2:3]
	v_sub_u32_e32 v3, 30, v18
	v_cmp_eq_u32_e32 vcc, 0, v17
	v_and_b32_e32 v15, 3, v15
	v_cndmask_b32_e32 v3, v17, v3, vcc
	v_and_b32_sdwa v2, sext(v2), s87 dst_sel:DWORD dst_unused:UNUSED_PAD src0_sel:WORD_0 src1_sel:DWORD
	v_cndmask_b32_e32 v4, v4, v15, vcc
	v_lshl_add_u32 v2, v3, 23, v2
	v_lshl_or_b32 v2, v4, 21, v2
	v_add_u32_e32 v3, 0x38000000, v2
                                        ; implicit-def: $vgpr4
                                        ; implicit-def: $vgpr2
.LBB6_4239:                             ;   in Loop: Header=BB6_4197 Depth=3
	s_andn2_saveexec_b64 s[34:35], s[34:35]
; %bb.4240:                             ;   in Loop: Header=BB6_4197 Depth=3
	v_cmp_lt_i16_e32 vcc, -1, v2
	v_mov_b32_e32 v2, 0xff800000
	v_mov_b32_e32 v3, 0x7f800000
	v_cndmask_b32_e32 v2, v2, v3, vcc
	v_cmp_eq_u32_e32 vcc, 0, v4
	v_mov_b32_e32 v3, 0x7f800001
	v_cndmask_b32_e32 v3, v3, v2, vcc
; %bb.4241:                             ;   in Loop: Header=BB6_4197 Depth=3
	s_or_b64 exec, exec, s[34:35]
.LBB6_4242:                             ;   in Loop: Header=BB6_4197 Depth=3
	s_or_b64 exec, exec, s[30:31]
.LBB6_4243:                             ;   in Loop: Header=BB6_4197 Depth=3
	s_or_b64 exec, exec, s[26:27]
	v_mul_f32_e32 v4, v14, v3
	v_and_b32_e32 v15, 0x7f800000, v4
	v_mov_b32_e32 v16, v33
	v_cmp_ne_u64_e32 vcc, s[76:77], v[15:16]
	v_and_b32_e32 v2, 0x7fffff, v4
	v_mov_b32_e32 v3, v33
                                        ; implicit-def: $vgpr15
	s_and_saveexec_b64 s[26:27], vcc
	s_xor_b64 s[30:31], exec, s[26:27]
	s_cbranch_execz .LBB6_4261
; %bb.4244:                             ;   in Loop: Header=BB6_4197 Depth=3
	v_and_b32_e32 v15, 0x7fffffff, v4
	v_mov_b32_e32 v16, v33
	v_cmp_gt_u64_e32 vcc, s[78:79], v[15:16]
	v_and_b32_sdwa v16, v4, s97 dst_sel:DWORD dst_unused:UNUSED_PAD src0_sel:BYTE_3 src1_sel:DWORD
                                        ; implicit-def: $vgpr15
	s_and_saveexec_b64 s[26:27], vcc
	s_xor_b64 s[34:35], exec, s[26:27]
	s_cbranch_execz .LBB6_4258
; %bb.4245:                             ;   in Loop: Header=BB6_4197 Depth=3
	v_cmp_ne_u32_e32 vcc, 0, v4
	v_mov_b32_e32 v15, 0
	s_and_saveexec_b64 s[36:37], vcc
	s_cbranch_execz .LBB6_4257
; %bb.4246:                             ;   in Loop: Header=BB6_4197 Depth=3
	v_bfe_u32 v15, v4, 23, 8
	v_cmp_gt_u32_e64 s[26:27], s47, v15
	v_sub_u32_e32 v4, 0x71, v15
	v_cmp_eq_u32_e32 vcc, 0, v15
	v_cndmask_b32_e64 v4, 0, v4, s[26:27]
	v_mov_b32_e32 v17, 0x70
	v_cndmask_b32_e32 v17, v4, v17, vcc
	v_or_b32_e32 v18, 0x800000, v2
	v_add_u32_e32 v4, 21, v17
	v_cndmask_b32_e32 v2, v18, v2, vcc
	v_lshlrev_b64 v[18:19], v4, -1
	v_add_u32_e32 v4, 20, v17
	v_bfi_b32 v18, v18, 0, v2
	v_lshlrev_b64 v[20:21], v4, 1
	v_lshrrev_b64 v[2:3], v17, v[2:3]
	v_bfi_b32 v19, v19, 0, 0
	v_cmp_eq_u64_e64 s[26:27], v[18:19], v[20:21]
	v_mov_b32_e32 v4, v3
	v_mov_b32_e32 v3, v2
	s_and_saveexec_b64 s[38:39], s[26:27]
; %bb.4247:                             ;   in Loop: Header=BB6_4197 Depth=3
	v_bfe_u32 v3, v2, 21, 1
	v_add_co_u32_e64 v3, s[26:27], v2, v3
	v_add_co_u32_e64 v3, s[26:27], -1, v3
; %bb.4248:                             ;   in Loop: Header=BB6_4197 Depth=3
	s_or_b64 exec, exec, s[38:39]
	v_add_u32_e32 v4, 0xffffff81, v15
	v_mov_b32_e32 v15, 0xffffff82
	v_cndmask_b32_e32 v4, v4, v15, vcc
	v_lshrrev_b32_e32 v15, 23, v2
	v_add3_u32 v17, v17, v4, v15
	v_add_u32_e32 v15, 14, v17
	v_and_b32_e32 v3, 0x1fffff, v3
	v_add_u32_e32 v2, v3, v2
	v_mov_b32_e32 v3, v33
	v_cmp_ne_u32_e32 vcc, 0, v15
                                        ; implicit-def: $vgpr4
	s_and_saveexec_b64 s[26:27], vcc
	s_xor_b64 s[26:27], exec, s[26:27]
; %bb.4249:                             ;   in Loop: Header=BB6_4197 Depth=3
	v_cmp_lt_u64_e32 vcc, s[88:89], v[2:3]
	v_add_u32_e32 v4, 15, v17
	v_cndmask_b32_e32 v4, v15, v4, vcc
	v_cndmask_b32_e64 v15, 0, 1, vcc
	v_lshrrev_b64 v[2:3], v15, v[2:3]
; %bb.4250:                             ;   in Loop: Header=BB6_4197 Depth=3
	s_andn2_saveexec_b64 s[26:27], s[26:27]
; %bb.4251:                             ;   in Loop: Header=BB6_4197 Depth=3
	v_bfe_u32 v4, v2, 23, 1
; %bb.4252:                             ;   in Loop: Header=BB6_4197 Depth=3
	s_or_b64 exec, exec, s[26:27]
	v_lshrrev_b64 v[2:3], 21, v[2:3]
	v_cmp_gt_i32_e32 vcc, 32, v4
	v_cndmask_b32_e32 v3, 0, v3, vcc
	v_cndmask_b32_e32 v2, 3, v2, vcc
	v_cmp_ne_u64_e32 vcc, 0, v[2:3]
	v_cmp_ne_u32_e64 s[26:27], 0, v4
	s_or_b64 s[26:27], s[26:27], vcc
                                        ; implicit-def: $vgpr15
	s_and_saveexec_b64 s[62:63], s[26:27]
	s_xor_b64 s[26:27], exec, s[62:63]
; %bb.4253:                             ;   in Loop: Header=BB6_4197 Depth=3
	v_min_i32_e32 v3, 31, v4
	v_lshl_or_b32 v3, v3, 2, v16
	v_and_or_b32 v15, v2, 3, v3
                                        ; implicit-def: $vgpr16
; %bb.4254:                             ;   in Loop: Header=BB6_4197 Depth=3
	s_andn2_saveexec_b64 s[26:27], s[26:27]
; %bb.4255:                             ;   in Loop: Header=BB6_4197 Depth=3
	v_mov_b32_e32 v15, v16
; %bb.4256:                             ;   in Loop: Header=BB6_4197 Depth=3
	s_or_b64 exec, exec, s[26:27]
.LBB6_4257:                             ;   in Loop: Header=BB6_4197 Depth=3
	s_or_b64 exec, exec, s[36:37]
                                        ; implicit-def: $vgpr16
.LBB6_4258:                             ;   in Loop: Header=BB6_4197 Depth=3
	s_andn2_saveexec_b64 s[26:27], s[34:35]
; %bb.4259:                             ;   in Loop: Header=BB6_4197 Depth=3
	v_or_b32_e32 v15, 0x7b, v16
; %bb.4260:                             ;   in Loop: Header=BB6_4197 Depth=3
	s_or_b64 exec, exec, s[26:27]
                                        ; implicit-def: $vgpr4
                                        ; implicit-def: $vgpr2_vgpr3
.LBB6_4261:                             ;   in Loop: Header=BB6_4197 Depth=3
	s_andn2_saveexec_b64 s[26:27], s[30:31]
	s_cbranch_execz .LBB6_4267
; %bb.4262:                             ;   in Loop: Header=BB6_4197 Depth=3
	v_cmp_ne_u64_e32 vcc, 0, v[2:3]
                                        ; implicit-def: $vgpr15
	s_and_saveexec_b64 s[62:63], vcc
	s_xor_b64 vcc, exec, s[62:63]
; %bb.4263:                             ;   in Loop: Header=BB6_4197 Depth=3
	v_or_b32_sdwa v15, v4, s44 dst_sel:DWORD dst_unused:UNUSED_PAD src0_sel:BYTE_3 src1_sel:DWORD
                                        ; implicit-def: $vgpr4
; %bb.4264:                             ;   in Loop: Header=BB6_4197 Depth=3
	s_andn2_saveexec_b64 s[30:31], vcc
; %bb.4265:                             ;   in Loop: Header=BB6_4197 Depth=3
	v_cmp_lt_i32_e32 vcc, -1, v4
	v_mov_b32_e32 v2, 0x7c
	v_cndmask_b32_e32 v15, -4, v2, vcc
; %bb.4266:                             ;   in Loop: Header=BB6_4197 Depth=3
	s_or_b64 exec, exec, s[30:31]
.LBB6_4267:                             ;   in Loop: Header=BB6_4197 Depth=3
	s_or_b64 exec, exec, s[26:27]
	flat_load_sbyte v2, v[0:1] offset:128 glc slc
	v_mov_b32_e32 v3, 0
	s_waitcnt vmcnt(0) lgkmcnt(0)
	v_cmp_ne_u16_e32 vcc, 0, v2
	s_and_saveexec_b64 s[26:27], vcc
	s_cbranch_execz .LBB6_4275
; %bb.4268:                             ;   in Loop: Header=BB6_4197 Depth=3
	v_cmp_ne_u16_e32 vcc, s46, v2
	v_bfrev_b32_e32 v3, 1
	s_and_saveexec_b64 s[30:31], vcc
	s_cbranch_execz .LBB6_4274
; %bb.4269:                             ;   in Loop: Header=BB6_4197 Depth=3
	v_and_b32_e32 v3, 0x7c, v2
	v_and_b32_e32 v4, 3, v2
	v_cmp_ne_u32_e32 vcc, s86, v3
                                        ; implicit-def: $vgpr3
	s_and_saveexec_b64 s[62:63], vcc
	s_xor_b64 s[34:35], exec, s[62:63]
	s_cbranch_execz .LBB6_4271
; %bb.4270:                             ;   in Loop: Header=BB6_4197 Depth=3
	v_and_b32_e32 v16, 0xff, v2
	v_bfe_u32 v18, v16, 2, 5
	v_ffbh_u32_e32 v16, v4
	v_min_u32_e32 v19, 32, v16
	v_mov_b32_e32 v3, v33
	v_subrev_u32_e32 v16, 29, v19
	v_lshlrev_b64 v[16:17], v16, v[2:3]
	v_sub_u32_e32 v3, 30, v19
	v_cmp_eq_u32_e32 vcc, 0, v18
	v_and_b32_e32 v16, 3, v16
	v_cndmask_b32_e32 v3, v18, v3, vcc
	v_and_b32_sdwa v2, sext(v2), s87 dst_sel:DWORD dst_unused:UNUSED_PAD src0_sel:WORD_0 src1_sel:DWORD
	v_cndmask_b32_e32 v4, v4, v16, vcc
	v_lshl_add_u32 v2, v3, 23, v2
	v_lshl_or_b32 v2, v4, 21, v2
	v_add_u32_e32 v3, 0x38000000, v2
                                        ; implicit-def: $vgpr4
                                        ; implicit-def: $vgpr2
.LBB6_4271:                             ;   in Loop: Header=BB6_4197 Depth=3
	s_andn2_saveexec_b64 s[34:35], s[34:35]
; %bb.4272:                             ;   in Loop: Header=BB6_4197 Depth=3
	v_cmp_lt_i16_e32 vcc, -1, v2
	v_mov_b32_e32 v2, 0xff800000
	v_mov_b32_e32 v3, 0x7f800000
	v_cndmask_b32_e32 v2, v2, v3, vcc
	v_cmp_eq_u32_e32 vcc, 0, v4
	v_mov_b32_e32 v3, 0x7f800001
	v_cndmask_b32_e32 v3, v3, v2, vcc
; %bb.4273:                             ;   in Loop: Header=BB6_4197 Depth=3
	s_or_b64 exec, exec, s[34:35]
.LBB6_4274:                             ;   in Loop: Header=BB6_4197 Depth=3
	s_or_b64 exec, exec, s[30:31]
.LBB6_4275:                             ;   in Loop: Header=BB6_4197 Depth=3
	s_or_b64 exec, exec, s[26:27]
	v_mul_f32_e32 v4, v14, v3
	v_and_b32_e32 v16, 0x7f800000, v4
	v_mov_b32_e32 v17, v33
	v_cmp_ne_u64_e32 vcc, s[76:77], v[16:17]
	v_and_b32_e32 v2, 0x7fffff, v4
	v_mov_b32_e32 v3, v33
                                        ; implicit-def: $vgpr16
	s_and_saveexec_b64 s[26:27], vcc
	s_xor_b64 s[30:31], exec, s[26:27]
	s_cbranch_execz .LBB6_4293
; %bb.4276:                             ;   in Loop: Header=BB6_4197 Depth=3
	v_and_b32_e32 v16, 0x7fffffff, v4
	v_mov_b32_e32 v17, v33
	v_cmp_gt_u64_e32 vcc, s[78:79], v[16:17]
	v_and_b32_sdwa v17, v4, s97 dst_sel:DWORD dst_unused:UNUSED_PAD src0_sel:BYTE_3 src1_sel:DWORD
                                        ; implicit-def: $vgpr16
	s_and_saveexec_b64 s[26:27], vcc
	s_xor_b64 s[34:35], exec, s[26:27]
	s_cbranch_execz .LBB6_4290
; %bb.4277:                             ;   in Loop: Header=BB6_4197 Depth=3
	v_cmp_ne_u32_e32 vcc, 0, v4
	v_mov_b32_e32 v16, 0
	s_and_saveexec_b64 s[36:37], vcc
	s_cbranch_execz .LBB6_4289
; %bb.4278:                             ;   in Loop: Header=BB6_4197 Depth=3
	v_bfe_u32 v16, v4, 23, 8
	v_cmp_gt_u32_e64 s[26:27], s47, v16
	v_sub_u32_e32 v4, 0x71, v16
	v_cmp_eq_u32_e32 vcc, 0, v16
	v_cndmask_b32_e64 v4, 0, v4, s[26:27]
	v_mov_b32_e32 v18, 0x70
	v_cndmask_b32_e32 v18, v4, v18, vcc
	v_or_b32_e32 v19, 0x800000, v2
	v_add_u32_e32 v4, 21, v18
	v_cndmask_b32_e32 v2, v19, v2, vcc
	v_lshlrev_b64 v[19:20], v4, -1
	v_add_u32_e32 v4, 20, v18
	v_bfi_b32 v19, v19, 0, v2
	v_lshlrev_b64 v[21:22], v4, 1
	v_lshrrev_b64 v[2:3], v18, v[2:3]
	v_bfi_b32 v20, v20, 0, 0
	v_cmp_eq_u64_e64 s[26:27], v[19:20], v[21:22]
	v_mov_b32_e32 v4, v3
	v_mov_b32_e32 v3, v2
	s_and_saveexec_b64 s[38:39], s[26:27]
; %bb.4279:                             ;   in Loop: Header=BB6_4197 Depth=3
	v_bfe_u32 v3, v2, 21, 1
	v_add_co_u32_e64 v3, s[26:27], v2, v3
	v_add_co_u32_e64 v3, s[26:27], -1, v3
; %bb.4280:                             ;   in Loop: Header=BB6_4197 Depth=3
	s_or_b64 exec, exec, s[38:39]
	v_add_u32_e32 v4, 0xffffff81, v16
	v_mov_b32_e32 v16, 0xffffff82
	v_cndmask_b32_e32 v4, v4, v16, vcc
	v_lshrrev_b32_e32 v16, 23, v2
	v_add3_u32 v18, v18, v4, v16
	v_add_u32_e32 v16, 14, v18
	v_and_b32_e32 v3, 0x1fffff, v3
	v_add_u32_e32 v2, v3, v2
	v_mov_b32_e32 v3, v33
	v_cmp_ne_u32_e32 vcc, 0, v16
                                        ; implicit-def: $vgpr4
	s_and_saveexec_b64 s[26:27], vcc
	s_xor_b64 s[26:27], exec, s[26:27]
; %bb.4281:                             ;   in Loop: Header=BB6_4197 Depth=3
	v_cmp_lt_u64_e32 vcc, s[88:89], v[2:3]
	v_add_u32_e32 v4, 15, v18
	v_cndmask_b32_e32 v4, v16, v4, vcc
	v_cndmask_b32_e64 v16, 0, 1, vcc
	v_lshrrev_b64 v[2:3], v16, v[2:3]
; %bb.4282:                             ;   in Loop: Header=BB6_4197 Depth=3
	s_andn2_saveexec_b64 s[26:27], s[26:27]
; %bb.4283:                             ;   in Loop: Header=BB6_4197 Depth=3
	v_bfe_u32 v4, v2, 23, 1
; %bb.4284:                             ;   in Loop: Header=BB6_4197 Depth=3
	s_or_b64 exec, exec, s[26:27]
	v_lshrrev_b64 v[2:3], 21, v[2:3]
	v_cmp_gt_i32_e32 vcc, 32, v4
	v_cndmask_b32_e32 v3, 0, v3, vcc
	v_cndmask_b32_e32 v2, 3, v2, vcc
	v_cmp_ne_u64_e32 vcc, 0, v[2:3]
	v_cmp_ne_u32_e64 s[26:27], 0, v4
	s_or_b64 s[26:27], s[26:27], vcc
                                        ; implicit-def: $vgpr16
	s_and_saveexec_b64 s[62:63], s[26:27]
	s_xor_b64 s[26:27], exec, s[62:63]
; %bb.4285:                             ;   in Loop: Header=BB6_4197 Depth=3
	v_min_i32_e32 v3, 31, v4
	v_lshl_or_b32 v3, v3, 2, v17
	v_and_or_b32 v16, v2, 3, v3
                                        ; implicit-def: $vgpr17
; %bb.4286:                             ;   in Loop: Header=BB6_4197 Depth=3
	s_andn2_saveexec_b64 s[26:27], s[26:27]
; %bb.4287:                             ;   in Loop: Header=BB6_4197 Depth=3
	v_mov_b32_e32 v16, v17
; %bb.4288:                             ;   in Loop: Header=BB6_4197 Depth=3
	s_or_b64 exec, exec, s[26:27]
.LBB6_4289:                             ;   in Loop: Header=BB6_4197 Depth=3
	s_or_b64 exec, exec, s[36:37]
                                        ; implicit-def: $vgpr17
.LBB6_4290:                             ;   in Loop: Header=BB6_4197 Depth=3
	s_andn2_saveexec_b64 s[26:27], s[34:35]
; %bb.4291:                             ;   in Loop: Header=BB6_4197 Depth=3
	v_or_b32_e32 v16, 0x7b, v17
; %bb.4292:                             ;   in Loop: Header=BB6_4197 Depth=3
	s_or_b64 exec, exec, s[26:27]
                                        ; implicit-def: $vgpr4
                                        ; implicit-def: $vgpr2_vgpr3
.LBB6_4293:                             ;   in Loop: Header=BB6_4197 Depth=3
	s_andn2_saveexec_b64 s[26:27], s[30:31]
	s_cbranch_execz .LBB6_4299
; %bb.4294:                             ;   in Loop: Header=BB6_4197 Depth=3
	v_cmp_ne_u64_e32 vcc, 0, v[2:3]
                                        ; implicit-def: $vgpr16
	s_and_saveexec_b64 s[62:63], vcc
	s_xor_b64 vcc, exec, s[62:63]
; %bb.4295:                             ;   in Loop: Header=BB6_4197 Depth=3
	v_or_b32_sdwa v16, v4, s44 dst_sel:DWORD dst_unused:UNUSED_PAD src0_sel:BYTE_3 src1_sel:DWORD
                                        ; implicit-def: $vgpr4
; %bb.4296:                             ;   in Loop: Header=BB6_4197 Depth=3
	s_andn2_saveexec_b64 s[30:31], vcc
; %bb.4297:                             ;   in Loop: Header=BB6_4197 Depth=3
	v_cmp_lt_i32_e32 vcc, -1, v4
	v_mov_b32_e32 v2, 0x7c
	v_cndmask_b32_e32 v16, -4, v2, vcc
; %bb.4298:                             ;   in Loop: Header=BB6_4197 Depth=3
	s_or_b64 exec, exec, s[30:31]
.LBB6_4299:                             ;   in Loop: Header=BB6_4197 Depth=3
	s_or_b64 exec, exec, s[26:27]
	flat_load_sbyte v2, v[0:1] offset:192 glc slc
	v_mov_b32_e32 v3, 0
	s_waitcnt vmcnt(0) lgkmcnt(0)
	v_cmp_ne_u16_e32 vcc, 0, v2
	s_and_saveexec_b64 s[26:27], vcc
	s_cbranch_execz .LBB6_4307
; %bb.4300:                             ;   in Loop: Header=BB6_4197 Depth=3
	v_cmp_ne_u16_e32 vcc, s46, v2
	v_bfrev_b32_e32 v3, 1
	s_and_saveexec_b64 s[30:31], vcc
	s_cbranch_execz .LBB6_4306
; %bb.4301:                             ;   in Loop: Header=BB6_4197 Depth=3
	v_and_b32_e32 v3, 0x7c, v2
	v_and_b32_e32 v4, 3, v2
	v_cmp_ne_u32_e32 vcc, s86, v3
                                        ; implicit-def: $vgpr3
	s_and_saveexec_b64 s[62:63], vcc
	s_xor_b64 s[34:35], exec, s[62:63]
	s_cbranch_execz .LBB6_4303
; %bb.4302:                             ;   in Loop: Header=BB6_4197 Depth=3
	v_and_b32_e32 v17, 0xff, v2
	v_bfe_u32 v19, v17, 2, 5
	v_ffbh_u32_e32 v17, v4
	v_min_u32_e32 v20, 32, v17
	v_mov_b32_e32 v3, v33
	v_subrev_u32_e32 v17, 29, v20
	v_lshlrev_b64 v[17:18], v17, v[2:3]
	v_sub_u32_e32 v3, 30, v20
	v_cmp_eq_u32_e32 vcc, 0, v19
	v_and_b32_e32 v17, 3, v17
	v_cndmask_b32_e32 v3, v19, v3, vcc
	v_and_b32_sdwa v2, sext(v2), s87 dst_sel:DWORD dst_unused:UNUSED_PAD src0_sel:WORD_0 src1_sel:DWORD
	v_cndmask_b32_e32 v4, v4, v17, vcc
	v_lshl_add_u32 v2, v3, 23, v2
	v_lshl_or_b32 v2, v4, 21, v2
	v_add_u32_e32 v3, 0x38000000, v2
                                        ; implicit-def: $vgpr4
                                        ; implicit-def: $vgpr2
.LBB6_4303:                             ;   in Loop: Header=BB6_4197 Depth=3
	s_andn2_saveexec_b64 s[34:35], s[34:35]
; %bb.4304:                             ;   in Loop: Header=BB6_4197 Depth=3
	v_cmp_lt_i16_e32 vcc, -1, v2
	v_mov_b32_e32 v2, 0xff800000
	v_mov_b32_e32 v3, 0x7f800000
	v_cndmask_b32_e32 v2, v2, v3, vcc
	v_cmp_eq_u32_e32 vcc, 0, v4
	v_mov_b32_e32 v3, 0x7f800001
	v_cndmask_b32_e32 v3, v3, v2, vcc
; %bb.4305:                             ;   in Loop: Header=BB6_4197 Depth=3
	s_or_b64 exec, exec, s[34:35]
.LBB6_4306:                             ;   in Loop: Header=BB6_4197 Depth=3
	s_or_b64 exec, exec, s[30:31]
.LBB6_4307:                             ;   in Loop: Header=BB6_4197 Depth=3
	s_or_b64 exec, exec, s[26:27]
	v_mul_f32_e32 v4, v14, v3
	v_and_b32_e32 v17, 0x7f800000, v4
	v_mov_b32_e32 v18, v33
	v_cmp_ne_u64_e32 vcc, s[76:77], v[17:18]
	v_and_b32_e32 v2, 0x7fffff, v4
	v_mov_b32_e32 v3, v33
                                        ; implicit-def: $vgpr17
	s_and_saveexec_b64 s[26:27], vcc
	s_xor_b64 s[30:31], exec, s[26:27]
	s_cbranch_execz .LBB6_4325
; %bb.4308:                             ;   in Loop: Header=BB6_4197 Depth=3
	v_and_b32_e32 v17, 0x7fffffff, v4
	v_mov_b32_e32 v18, v33
	v_cmp_gt_u64_e32 vcc, s[78:79], v[17:18]
	v_and_b32_sdwa v18, v4, s97 dst_sel:DWORD dst_unused:UNUSED_PAD src0_sel:BYTE_3 src1_sel:DWORD
                                        ; implicit-def: $vgpr17
	s_and_saveexec_b64 s[26:27], vcc
	s_xor_b64 s[34:35], exec, s[26:27]
	s_cbranch_execz .LBB6_4322
; %bb.4309:                             ;   in Loop: Header=BB6_4197 Depth=3
	v_cmp_ne_u32_e32 vcc, 0, v4
	v_mov_b32_e32 v17, 0
	s_and_saveexec_b64 s[36:37], vcc
	s_cbranch_execz .LBB6_4321
; %bb.4310:                             ;   in Loop: Header=BB6_4197 Depth=3
	v_bfe_u32 v17, v4, 23, 8
	v_cmp_gt_u32_e64 s[26:27], s47, v17
	v_sub_u32_e32 v4, 0x71, v17
	v_cmp_eq_u32_e32 vcc, 0, v17
	v_cndmask_b32_e64 v4, 0, v4, s[26:27]
	v_mov_b32_e32 v19, 0x70
	v_cndmask_b32_e32 v19, v4, v19, vcc
	v_or_b32_e32 v20, 0x800000, v2
	v_add_u32_e32 v4, 21, v19
	v_cndmask_b32_e32 v2, v20, v2, vcc
	v_lshlrev_b64 v[20:21], v4, -1
	v_add_u32_e32 v4, 20, v19
	v_bfi_b32 v20, v20, 0, v2
	v_lshlrev_b64 v[22:23], v4, 1
	v_lshrrev_b64 v[2:3], v19, v[2:3]
	v_bfi_b32 v21, v21, 0, 0
	v_cmp_eq_u64_e64 s[26:27], v[20:21], v[22:23]
	v_mov_b32_e32 v4, v3
	v_mov_b32_e32 v3, v2
	s_and_saveexec_b64 s[38:39], s[26:27]
; %bb.4311:                             ;   in Loop: Header=BB6_4197 Depth=3
	v_bfe_u32 v3, v2, 21, 1
	v_add_co_u32_e64 v3, s[26:27], v2, v3
	v_add_co_u32_e64 v3, s[26:27], -1, v3
; %bb.4312:                             ;   in Loop: Header=BB6_4197 Depth=3
	s_or_b64 exec, exec, s[38:39]
	v_add_u32_e32 v4, 0xffffff81, v17
	v_mov_b32_e32 v17, 0xffffff82
	v_cndmask_b32_e32 v4, v4, v17, vcc
	v_lshrrev_b32_e32 v17, 23, v2
	v_add3_u32 v19, v19, v4, v17
	v_add_u32_e32 v17, 14, v19
	v_and_b32_e32 v3, 0x1fffff, v3
	v_add_u32_e32 v2, v3, v2
	v_mov_b32_e32 v3, v33
	v_cmp_ne_u32_e32 vcc, 0, v17
                                        ; implicit-def: $vgpr4
	s_and_saveexec_b64 s[26:27], vcc
	s_xor_b64 s[26:27], exec, s[26:27]
; %bb.4313:                             ;   in Loop: Header=BB6_4197 Depth=3
	v_cmp_lt_u64_e32 vcc, s[88:89], v[2:3]
	v_add_u32_e32 v4, 15, v19
	v_cndmask_b32_e32 v4, v17, v4, vcc
	v_cndmask_b32_e64 v17, 0, 1, vcc
	v_lshrrev_b64 v[2:3], v17, v[2:3]
; %bb.4314:                             ;   in Loop: Header=BB6_4197 Depth=3
	s_andn2_saveexec_b64 s[26:27], s[26:27]
; %bb.4315:                             ;   in Loop: Header=BB6_4197 Depth=3
	v_bfe_u32 v4, v2, 23, 1
; %bb.4316:                             ;   in Loop: Header=BB6_4197 Depth=3
	s_or_b64 exec, exec, s[26:27]
	v_lshrrev_b64 v[2:3], 21, v[2:3]
	v_cmp_gt_i32_e32 vcc, 32, v4
	v_cndmask_b32_e32 v3, 0, v3, vcc
	v_cndmask_b32_e32 v2, 3, v2, vcc
	v_cmp_ne_u64_e32 vcc, 0, v[2:3]
	v_cmp_ne_u32_e64 s[26:27], 0, v4
	s_or_b64 s[26:27], s[26:27], vcc
                                        ; implicit-def: $vgpr17
	s_and_saveexec_b64 s[62:63], s[26:27]
	s_xor_b64 s[26:27], exec, s[62:63]
; %bb.4317:                             ;   in Loop: Header=BB6_4197 Depth=3
	v_min_i32_e32 v3, 31, v4
	v_lshl_or_b32 v3, v3, 2, v18
	v_and_or_b32 v17, v2, 3, v3
                                        ; implicit-def: $vgpr18
; %bb.4318:                             ;   in Loop: Header=BB6_4197 Depth=3
	s_andn2_saveexec_b64 s[26:27], s[26:27]
; %bb.4319:                             ;   in Loop: Header=BB6_4197 Depth=3
	v_mov_b32_e32 v17, v18
; %bb.4320:                             ;   in Loop: Header=BB6_4197 Depth=3
	s_or_b64 exec, exec, s[26:27]
.LBB6_4321:                             ;   in Loop: Header=BB6_4197 Depth=3
	s_or_b64 exec, exec, s[36:37]
                                        ; implicit-def: $vgpr18
.LBB6_4322:                             ;   in Loop: Header=BB6_4197 Depth=3
	s_andn2_saveexec_b64 s[26:27], s[34:35]
; %bb.4323:                             ;   in Loop: Header=BB6_4197 Depth=3
	v_or_b32_e32 v17, 0x7b, v18
; %bb.4324:                             ;   in Loop: Header=BB6_4197 Depth=3
	s_or_b64 exec, exec, s[26:27]
                                        ; implicit-def: $vgpr4
                                        ; implicit-def: $vgpr2_vgpr3
.LBB6_4325:                             ;   in Loop: Header=BB6_4197 Depth=3
	s_andn2_saveexec_b64 s[26:27], s[30:31]
	s_cbranch_execz .LBB6_4331
; %bb.4326:                             ;   in Loop: Header=BB6_4197 Depth=3
	v_cmp_ne_u64_e32 vcc, 0, v[2:3]
                                        ; implicit-def: $vgpr17
	s_and_saveexec_b64 s[62:63], vcc
	s_xor_b64 vcc, exec, s[62:63]
; %bb.4327:                             ;   in Loop: Header=BB6_4197 Depth=3
	v_or_b32_sdwa v17, v4, s44 dst_sel:DWORD dst_unused:UNUSED_PAD src0_sel:BYTE_3 src1_sel:DWORD
                                        ; implicit-def: $vgpr4
; %bb.4328:                             ;   in Loop: Header=BB6_4197 Depth=3
	s_andn2_saveexec_b64 s[30:31], vcc
; %bb.4329:                             ;   in Loop: Header=BB6_4197 Depth=3
	v_cmp_lt_i32_e32 vcc, -1, v4
	v_mov_b32_e32 v2, 0x7c
	v_cndmask_b32_e32 v17, -4, v2, vcc
; %bb.4330:                             ;   in Loop: Header=BB6_4197 Depth=3
	s_or_b64 exec, exec, s[30:31]
.LBB6_4331:                             ;   in Loop: Header=BB6_4197 Depth=3
	s_or_b64 exec, exec, s[26:27]
	flat_load_sbyte v2, v[0:1] offset:256 glc slc
	v_mov_b32_e32 v3, 0
	s_waitcnt vmcnt(0) lgkmcnt(0)
	v_cmp_ne_u16_e32 vcc, 0, v2
	s_and_saveexec_b64 s[26:27], vcc
	s_cbranch_execz .LBB6_4339
; %bb.4332:                             ;   in Loop: Header=BB6_4197 Depth=3
	v_cmp_ne_u16_e32 vcc, s46, v2
	v_bfrev_b32_e32 v3, 1
	s_and_saveexec_b64 s[30:31], vcc
	s_cbranch_execz .LBB6_4338
; %bb.4333:                             ;   in Loop: Header=BB6_4197 Depth=3
	v_and_b32_e32 v3, 0x7c, v2
	v_and_b32_e32 v4, 3, v2
	v_cmp_ne_u32_e32 vcc, s86, v3
                                        ; implicit-def: $vgpr3
	s_and_saveexec_b64 s[62:63], vcc
	s_xor_b64 s[34:35], exec, s[62:63]
	s_cbranch_execz .LBB6_4335
; %bb.4334:                             ;   in Loop: Header=BB6_4197 Depth=3
	v_and_b32_e32 v18, 0xff, v2
	v_bfe_u32 v20, v18, 2, 5
	v_ffbh_u32_e32 v18, v4
	v_min_u32_e32 v21, 32, v18
	v_mov_b32_e32 v3, v33
	v_subrev_u32_e32 v18, 29, v21
	v_lshlrev_b64 v[18:19], v18, v[2:3]
	v_sub_u32_e32 v3, 30, v21
	v_cmp_eq_u32_e32 vcc, 0, v20
	v_and_b32_e32 v18, 3, v18
	v_cndmask_b32_e32 v3, v20, v3, vcc
	v_and_b32_sdwa v2, sext(v2), s87 dst_sel:DWORD dst_unused:UNUSED_PAD src0_sel:WORD_0 src1_sel:DWORD
	v_cndmask_b32_e32 v4, v4, v18, vcc
	v_lshl_add_u32 v2, v3, 23, v2
	v_lshl_or_b32 v2, v4, 21, v2
	v_add_u32_e32 v3, 0x38000000, v2
                                        ; implicit-def: $vgpr4
                                        ; implicit-def: $vgpr2
.LBB6_4335:                             ;   in Loop: Header=BB6_4197 Depth=3
	s_andn2_saveexec_b64 s[34:35], s[34:35]
; %bb.4336:                             ;   in Loop: Header=BB6_4197 Depth=3
	v_cmp_lt_i16_e32 vcc, -1, v2
	v_mov_b32_e32 v2, 0xff800000
	v_mov_b32_e32 v3, 0x7f800000
	v_cndmask_b32_e32 v2, v2, v3, vcc
	v_cmp_eq_u32_e32 vcc, 0, v4
	v_mov_b32_e32 v3, 0x7f800001
	v_cndmask_b32_e32 v3, v3, v2, vcc
; %bb.4337:                             ;   in Loop: Header=BB6_4197 Depth=3
	s_or_b64 exec, exec, s[34:35]
.LBB6_4338:                             ;   in Loop: Header=BB6_4197 Depth=3
	s_or_b64 exec, exec, s[30:31]
.LBB6_4339:                             ;   in Loop: Header=BB6_4197 Depth=3
	s_or_b64 exec, exec, s[26:27]
	v_mul_f32_e32 v4, v14, v3
	v_and_b32_e32 v18, 0x7f800000, v4
	v_mov_b32_e32 v19, v33
	v_cmp_ne_u64_e32 vcc, s[76:77], v[18:19]
	v_and_b32_e32 v2, 0x7fffff, v4
	v_mov_b32_e32 v3, v33
                                        ; implicit-def: $vgpr18
	s_and_saveexec_b64 s[26:27], vcc
	s_xor_b64 s[30:31], exec, s[26:27]
	s_cbranch_execz .LBB6_4357
; %bb.4340:                             ;   in Loop: Header=BB6_4197 Depth=3
	v_and_b32_e32 v18, 0x7fffffff, v4
	v_mov_b32_e32 v19, v33
	v_cmp_gt_u64_e32 vcc, s[78:79], v[18:19]
	v_and_b32_sdwa v19, v4, s97 dst_sel:DWORD dst_unused:UNUSED_PAD src0_sel:BYTE_3 src1_sel:DWORD
                                        ; implicit-def: $vgpr18
	s_and_saveexec_b64 s[26:27], vcc
	s_xor_b64 s[34:35], exec, s[26:27]
	s_cbranch_execz .LBB6_4354
; %bb.4341:                             ;   in Loop: Header=BB6_4197 Depth=3
	v_cmp_ne_u32_e32 vcc, 0, v4
	v_mov_b32_e32 v18, 0
	s_and_saveexec_b64 s[36:37], vcc
	s_cbranch_execz .LBB6_4353
; %bb.4342:                             ;   in Loop: Header=BB6_4197 Depth=3
	v_bfe_u32 v18, v4, 23, 8
	v_cmp_gt_u32_e64 s[26:27], s47, v18
	v_sub_u32_e32 v4, 0x71, v18
	v_cmp_eq_u32_e32 vcc, 0, v18
	v_cndmask_b32_e64 v4, 0, v4, s[26:27]
	v_mov_b32_e32 v20, 0x70
	v_cndmask_b32_e32 v20, v4, v20, vcc
	v_or_b32_e32 v21, 0x800000, v2
	v_add_u32_e32 v4, 21, v20
	v_cndmask_b32_e32 v2, v21, v2, vcc
	v_lshlrev_b64 v[21:22], v4, -1
	v_add_u32_e32 v4, 20, v20
	v_bfi_b32 v21, v21, 0, v2
	v_lshlrev_b64 v[23:24], v4, 1
	v_lshrrev_b64 v[2:3], v20, v[2:3]
	v_bfi_b32 v22, v22, 0, 0
	v_cmp_eq_u64_e64 s[26:27], v[21:22], v[23:24]
	v_mov_b32_e32 v4, v3
	v_mov_b32_e32 v3, v2
	s_and_saveexec_b64 s[38:39], s[26:27]
; %bb.4343:                             ;   in Loop: Header=BB6_4197 Depth=3
	v_bfe_u32 v3, v2, 21, 1
	v_add_co_u32_e64 v3, s[26:27], v2, v3
	v_add_co_u32_e64 v3, s[26:27], -1, v3
; %bb.4344:                             ;   in Loop: Header=BB6_4197 Depth=3
	s_or_b64 exec, exec, s[38:39]
	v_add_u32_e32 v4, 0xffffff81, v18
	v_mov_b32_e32 v18, 0xffffff82
	v_cndmask_b32_e32 v4, v4, v18, vcc
	v_lshrrev_b32_e32 v18, 23, v2
	v_add3_u32 v20, v20, v4, v18
	v_add_u32_e32 v18, 14, v20
	v_and_b32_e32 v3, 0x1fffff, v3
	v_add_u32_e32 v2, v3, v2
	v_mov_b32_e32 v3, v33
	v_cmp_ne_u32_e32 vcc, 0, v18
                                        ; implicit-def: $vgpr4
	s_and_saveexec_b64 s[26:27], vcc
	s_xor_b64 s[26:27], exec, s[26:27]
; %bb.4345:                             ;   in Loop: Header=BB6_4197 Depth=3
	v_cmp_lt_u64_e32 vcc, s[88:89], v[2:3]
	v_add_u32_e32 v4, 15, v20
	v_cndmask_b32_e32 v4, v18, v4, vcc
	v_cndmask_b32_e64 v18, 0, 1, vcc
	v_lshrrev_b64 v[2:3], v18, v[2:3]
; %bb.4346:                             ;   in Loop: Header=BB6_4197 Depth=3
	s_andn2_saveexec_b64 s[26:27], s[26:27]
; %bb.4347:                             ;   in Loop: Header=BB6_4197 Depth=3
	v_bfe_u32 v4, v2, 23, 1
; %bb.4348:                             ;   in Loop: Header=BB6_4197 Depth=3
	s_or_b64 exec, exec, s[26:27]
	v_lshrrev_b64 v[2:3], 21, v[2:3]
	v_cmp_gt_i32_e32 vcc, 32, v4
	v_cndmask_b32_e32 v3, 0, v3, vcc
	v_cndmask_b32_e32 v2, 3, v2, vcc
	v_cmp_ne_u64_e32 vcc, 0, v[2:3]
	v_cmp_ne_u32_e64 s[26:27], 0, v4
	s_or_b64 s[26:27], s[26:27], vcc
                                        ; implicit-def: $vgpr18
	s_and_saveexec_b64 s[62:63], s[26:27]
	s_xor_b64 s[26:27], exec, s[62:63]
; %bb.4349:                             ;   in Loop: Header=BB6_4197 Depth=3
	v_min_i32_e32 v3, 31, v4
	v_lshl_or_b32 v3, v3, 2, v19
	v_and_or_b32 v18, v2, 3, v3
                                        ; implicit-def: $vgpr19
; %bb.4350:                             ;   in Loop: Header=BB6_4197 Depth=3
	s_andn2_saveexec_b64 s[26:27], s[26:27]
; %bb.4351:                             ;   in Loop: Header=BB6_4197 Depth=3
	v_mov_b32_e32 v18, v19
; %bb.4352:                             ;   in Loop: Header=BB6_4197 Depth=3
	s_or_b64 exec, exec, s[26:27]
.LBB6_4353:                             ;   in Loop: Header=BB6_4197 Depth=3
	s_or_b64 exec, exec, s[36:37]
                                        ; implicit-def: $vgpr19
.LBB6_4354:                             ;   in Loop: Header=BB6_4197 Depth=3
	s_andn2_saveexec_b64 s[26:27], s[34:35]
; %bb.4355:                             ;   in Loop: Header=BB6_4197 Depth=3
	v_or_b32_e32 v18, 0x7b, v19
; %bb.4356:                             ;   in Loop: Header=BB6_4197 Depth=3
	s_or_b64 exec, exec, s[26:27]
                                        ; implicit-def: $vgpr4
                                        ; implicit-def: $vgpr2_vgpr3
.LBB6_4357:                             ;   in Loop: Header=BB6_4197 Depth=3
	s_andn2_saveexec_b64 s[26:27], s[30:31]
	s_cbranch_execz .LBB6_4363
; %bb.4358:                             ;   in Loop: Header=BB6_4197 Depth=3
	v_cmp_ne_u64_e32 vcc, 0, v[2:3]
                                        ; implicit-def: $vgpr18
	s_and_saveexec_b64 s[62:63], vcc
	s_xor_b64 vcc, exec, s[62:63]
; %bb.4359:                             ;   in Loop: Header=BB6_4197 Depth=3
	v_or_b32_sdwa v18, v4, s44 dst_sel:DWORD dst_unused:UNUSED_PAD src0_sel:BYTE_3 src1_sel:DWORD
                                        ; implicit-def: $vgpr4
; %bb.4360:                             ;   in Loop: Header=BB6_4197 Depth=3
	s_andn2_saveexec_b64 s[30:31], vcc
; %bb.4361:                             ;   in Loop: Header=BB6_4197 Depth=3
	v_cmp_lt_i32_e32 vcc, -1, v4
	v_mov_b32_e32 v2, 0x7c
	v_cndmask_b32_e32 v18, -4, v2, vcc
; %bb.4362:                             ;   in Loop: Header=BB6_4197 Depth=3
	s_or_b64 exec, exec, s[30:31]
.LBB6_4363:                             ;   in Loop: Header=BB6_4197 Depth=3
	s_or_b64 exec, exec, s[26:27]
	flat_load_sbyte v2, v[0:1] offset:320 glc slc
	v_mov_b32_e32 v3, 0
	s_waitcnt vmcnt(0) lgkmcnt(0)
	v_cmp_ne_u16_e32 vcc, 0, v2
	s_and_saveexec_b64 s[26:27], vcc
	s_cbranch_execz .LBB6_4371
; %bb.4364:                             ;   in Loop: Header=BB6_4197 Depth=3
	v_cmp_ne_u16_e32 vcc, s46, v2
	v_bfrev_b32_e32 v3, 1
	s_and_saveexec_b64 s[30:31], vcc
	s_cbranch_execz .LBB6_4370
; %bb.4365:                             ;   in Loop: Header=BB6_4197 Depth=3
	v_and_b32_e32 v3, 0x7c, v2
	v_and_b32_e32 v4, 3, v2
	v_cmp_ne_u32_e32 vcc, s86, v3
                                        ; implicit-def: $vgpr3
	s_and_saveexec_b64 s[62:63], vcc
	s_xor_b64 s[34:35], exec, s[62:63]
	s_cbranch_execz .LBB6_4367
; %bb.4366:                             ;   in Loop: Header=BB6_4197 Depth=3
	v_and_b32_e32 v19, 0xff, v2
	v_bfe_u32 v21, v19, 2, 5
	v_ffbh_u32_e32 v19, v4
	v_min_u32_e32 v22, 32, v19
	v_mov_b32_e32 v3, v33
	v_subrev_u32_e32 v19, 29, v22
	v_lshlrev_b64 v[19:20], v19, v[2:3]
	v_sub_u32_e32 v3, 30, v22
	v_cmp_eq_u32_e32 vcc, 0, v21
	v_and_b32_e32 v19, 3, v19
	v_cndmask_b32_e32 v3, v21, v3, vcc
	v_and_b32_sdwa v2, sext(v2), s87 dst_sel:DWORD dst_unused:UNUSED_PAD src0_sel:WORD_0 src1_sel:DWORD
	v_cndmask_b32_e32 v4, v4, v19, vcc
	v_lshl_add_u32 v2, v3, 23, v2
	v_lshl_or_b32 v2, v4, 21, v2
	v_add_u32_e32 v3, 0x38000000, v2
                                        ; implicit-def: $vgpr4
                                        ; implicit-def: $vgpr2
.LBB6_4367:                             ;   in Loop: Header=BB6_4197 Depth=3
	s_andn2_saveexec_b64 s[34:35], s[34:35]
; %bb.4368:                             ;   in Loop: Header=BB6_4197 Depth=3
	v_cmp_lt_i16_e32 vcc, -1, v2
	v_mov_b32_e32 v2, 0xff800000
	v_mov_b32_e32 v3, 0x7f800000
	v_cndmask_b32_e32 v2, v2, v3, vcc
	v_cmp_eq_u32_e32 vcc, 0, v4
	v_mov_b32_e32 v3, 0x7f800001
	v_cndmask_b32_e32 v3, v3, v2, vcc
; %bb.4369:                             ;   in Loop: Header=BB6_4197 Depth=3
	s_or_b64 exec, exec, s[34:35]
.LBB6_4370:                             ;   in Loop: Header=BB6_4197 Depth=3
	s_or_b64 exec, exec, s[30:31]
.LBB6_4371:                             ;   in Loop: Header=BB6_4197 Depth=3
	s_or_b64 exec, exec, s[26:27]
	v_mul_f32_e32 v4, v14, v3
	v_and_b32_e32 v19, 0x7f800000, v4
	v_mov_b32_e32 v20, v33
	v_cmp_ne_u64_e32 vcc, s[76:77], v[19:20]
	v_and_b32_e32 v2, 0x7fffff, v4
	v_mov_b32_e32 v3, v33
                                        ; implicit-def: $vgpr19
	s_and_saveexec_b64 s[26:27], vcc
	s_xor_b64 s[30:31], exec, s[26:27]
	s_cbranch_execz .LBB6_4389
; %bb.4372:                             ;   in Loop: Header=BB6_4197 Depth=3
	v_and_b32_e32 v19, 0x7fffffff, v4
	v_mov_b32_e32 v20, v33
	v_cmp_gt_u64_e32 vcc, s[78:79], v[19:20]
	v_and_b32_sdwa v20, v4, s97 dst_sel:DWORD dst_unused:UNUSED_PAD src0_sel:BYTE_3 src1_sel:DWORD
                                        ; implicit-def: $vgpr19
	s_and_saveexec_b64 s[26:27], vcc
	s_xor_b64 s[34:35], exec, s[26:27]
	s_cbranch_execz .LBB6_4386
; %bb.4373:                             ;   in Loop: Header=BB6_4197 Depth=3
	v_cmp_ne_u32_e32 vcc, 0, v4
	v_mov_b32_e32 v19, 0
	s_and_saveexec_b64 s[36:37], vcc
	s_cbranch_execz .LBB6_4385
; %bb.4374:                             ;   in Loop: Header=BB6_4197 Depth=3
	v_bfe_u32 v19, v4, 23, 8
	v_cmp_gt_u32_e64 s[26:27], s47, v19
	v_sub_u32_e32 v4, 0x71, v19
	v_cmp_eq_u32_e32 vcc, 0, v19
	v_cndmask_b32_e64 v4, 0, v4, s[26:27]
	v_mov_b32_e32 v21, 0x70
	v_cndmask_b32_e32 v21, v4, v21, vcc
	v_or_b32_e32 v22, 0x800000, v2
	v_add_u32_e32 v4, 21, v21
	v_cndmask_b32_e32 v2, v22, v2, vcc
	v_lshlrev_b64 v[22:23], v4, -1
	v_add_u32_e32 v4, 20, v21
	v_bfi_b32 v22, v22, 0, v2
	v_lshlrev_b64 v[24:25], v4, 1
	v_lshrrev_b64 v[2:3], v21, v[2:3]
	v_bfi_b32 v23, v23, 0, 0
	v_cmp_eq_u64_e64 s[26:27], v[22:23], v[24:25]
	v_mov_b32_e32 v4, v3
	v_mov_b32_e32 v3, v2
	s_and_saveexec_b64 s[38:39], s[26:27]
; %bb.4375:                             ;   in Loop: Header=BB6_4197 Depth=3
	v_bfe_u32 v3, v2, 21, 1
	v_add_co_u32_e64 v3, s[26:27], v2, v3
	v_add_co_u32_e64 v3, s[26:27], -1, v3
; %bb.4376:                             ;   in Loop: Header=BB6_4197 Depth=3
	s_or_b64 exec, exec, s[38:39]
	v_add_u32_e32 v4, 0xffffff81, v19
	v_mov_b32_e32 v19, 0xffffff82
	v_cndmask_b32_e32 v4, v4, v19, vcc
	v_lshrrev_b32_e32 v19, 23, v2
	v_add3_u32 v21, v21, v4, v19
	v_add_u32_e32 v19, 14, v21
	v_and_b32_e32 v3, 0x1fffff, v3
	v_add_u32_e32 v2, v3, v2
	v_mov_b32_e32 v3, v33
	v_cmp_ne_u32_e32 vcc, 0, v19
                                        ; implicit-def: $vgpr4
	s_and_saveexec_b64 s[26:27], vcc
	s_xor_b64 s[26:27], exec, s[26:27]
; %bb.4377:                             ;   in Loop: Header=BB6_4197 Depth=3
	v_cmp_lt_u64_e32 vcc, s[88:89], v[2:3]
	v_add_u32_e32 v4, 15, v21
	v_cndmask_b32_e32 v4, v19, v4, vcc
	v_cndmask_b32_e64 v19, 0, 1, vcc
	v_lshrrev_b64 v[2:3], v19, v[2:3]
; %bb.4378:                             ;   in Loop: Header=BB6_4197 Depth=3
	s_andn2_saveexec_b64 s[26:27], s[26:27]
; %bb.4379:                             ;   in Loop: Header=BB6_4197 Depth=3
	v_bfe_u32 v4, v2, 23, 1
; %bb.4380:                             ;   in Loop: Header=BB6_4197 Depth=3
	s_or_b64 exec, exec, s[26:27]
	v_lshrrev_b64 v[2:3], 21, v[2:3]
	v_cmp_gt_i32_e32 vcc, 32, v4
	v_cndmask_b32_e32 v3, 0, v3, vcc
	v_cndmask_b32_e32 v2, 3, v2, vcc
	v_cmp_ne_u64_e32 vcc, 0, v[2:3]
	v_cmp_ne_u32_e64 s[26:27], 0, v4
	s_or_b64 s[26:27], s[26:27], vcc
                                        ; implicit-def: $vgpr19
	s_and_saveexec_b64 s[62:63], s[26:27]
	s_xor_b64 s[26:27], exec, s[62:63]
; %bb.4381:                             ;   in Loop: Header=BB6_4197 Depth=3
	v_min_i32_e32 v3, 31, v4
	v_lshl_or_b32 v3, v3, 2, v20
	v_and_or_b32 v19, v2, 3, v3
                                        ; implicit-def: $vgpr20
; %bb.4382:                             ;   in Loop: Header=BB6_4197 Depth=3
	s_andn2_saveexec_b64 s[26:27], s[26:27]
; %bb.4383:                             ;   in Loop: Header=BB6_4197 Depth=3
	v_mov_b32_e32 v19, v20
; %bb.4384:                             ;   in Loop: Header=BB6_4197 Depth=3
	s_or_b64 exec, exec, s[26:27]
.LBB6_4385:                             ;   in Loop: Header=BB6_4197 Depth=3
	s_or_b64 exec, exec, s[36:37]
                                        ; implicit-def: $vgpr20
.LBB6_4386:                             ;   in Loop: Header=BB6_4197 Depth=3
	s_andn2_saveexec_b64 s[26:27], s[34:35]
; %bb.4387:                             ;   in Loop: Header=BB6_4197 Depth=3
	v_or_b32_e32 v19, 0x7b, v20
; %bb.4388:                             ;   in Loop: Header=BB6_4197 Depth=3
	s_or_b64 exec, exec, s[26:27]
                                        ; implicit-def: $vgpr4
                                        ; implicit-def: $vgpr2_vgpr3
.LBB6_4389:                             ;   in Loop: Header=BB6_4197 Depth=3
	s_andn2_saveexec_b64 s[26:27], s[30:31]
	s_cbranch_execz .LBB6_4395
; %bb.4390:                             ;   in Loop: Header=BB6_4197 Depth=3
	v_cmp_ne_u64_e32 vcc, 0, v[2:3]
                                        ; implicit-def: $vgpr19
	s_and_saveexec_b64 s[62:63], vcc
	s_xor_b64 vcc, exec, s[62:63]
; %bb.4391:                             ;   in Loop: Header=BB6_4197 Depth=3
	v_or_b32_sdwa v19, v4, s44 dst_sel:DWORD dst_unused:UNUSED_PAD src0_sel:BYTE_3 src1_sel:DWORD
                                        ; implicit-def: $vgpr4
; %bb.4392:                             ;   in Loop: Header=BB6_4197 Depth=3
	s_andn2_saveexec_b64 s[30:31], vcc
; %bb.4393:                             ;   in Loop: Header=BB6_4197 Depth=3
	v_cmp_lt_i32_e32 vcc, -1, v4
	v_mov_b32_e32 v2, 0x7c
	v_cndmask_b32_e32 v19, -4, v2, vcc
; %bb.4394:                             ;   in Loop: Header=BB6_4197 Depth=3
	s_or_b64 exec, exec, s[30:31]
.LBB6_4395:                             ;   in Loop: Header=BB6_4197 Depth=3
	s_or_b64 exec, exec, s[26:27]
	flat_load_sbyte v2, v[0:1] offset:384 glc slc
	v_mov_b32_e32 v3, 0
	s_waitcnt vmcnt(0) lgkmcnt(0)
	v_cmp_ne_u16_e32 vcc, 0, v2
	s_and_saveexec_b64 s[26:27], vcc
	s_cbranch_execz .LBB6_4403
; %bb.4396:                             ;   in Loop: Header=BB6_4197 Depth=3
	v_cmp_ne_u16_e32 vcc, s46, v2
	v_bfrev_b32_e32 v3, 1
	s_and_saveexec_b64 s[30:31], vcc
	s_cbranch_execz .LBB6_4402
; %bb.4397:                             ;   in Loop: Header=BB6_4197 Depth=3
	v_and_b32_e32 v3, 0x7c, v2
	v_and_b32_e32 v4, 3, v2
	v_cmp_ne_u32_e32 vcc, s86, v3
                                        ; implicit-def: $vgpr3
	s_and_saveexec_b64 s[62:63], vcc
	s_xor_b64 s[34:35], exec, s[62:63]
	s_cbranch_execz .LBB6_4399
; %bb.4398:                             ;   in Loop: Header=BB6_4197 Depth=3
	v_and_b32_e32 v20, 0xff, v2
	v_bfe_u32 v22, v20, 2, 5
	v_ffbh_u32_e32 v20, v4
	v_min_u32_e32 v23, 32, v20
	v_mov_b32_e32 v3, v33
	v_subrev_u32_e32 v20, 29, v23
	v_lshlrev_b64 v[20:21], v20, v[2:3]
	v_sub_u32_e32 v3, 30, v23
	v_cmp_eq_u32_e32 vcc, 0, v22
	v_and_b32_e32 v20, 3, v20
	v_cndmask_b32_e32 v3, v22, v3, vcc
	v_and_b32_sdwa v2, sext(v2), s87 dst_sel:DWORD dst_unused:UNUSED_PAD src0_sel:WORD_0 src1_sel:DWORD
	v_cndmask_b32_e32 v4, v4, v20, vcc
	v_lshl_add_u32 v2, v3, 23, v2
	v_lshl_or_b32 v2, v4, 21, v2
	v_add_u32_e32 v3, 0x38000000, v2
                                        ; implicit-def: $vgpr4
                                        ; implicit-def: $vgpr2
.LBB6_4399:                             ;   in Loop: Header=BB6_4197 Depth=3
	s_andn2_saveexec_b64 s[34:35], s[34:35]
; %bb.4400:                             ;   in Loop: Header=BB6_4197 Depth=3
	v_cmp_lt_i16_e32 vcc, -1, v2
	v_mov_b32_e32 v2, 0xff800000
	v_mov_b32_e32 v3, 0x7f800000
	v_cndmask_b32_e32 v2, v2, v3, vcc
	v_cmp_eq_u32_e32 vcc, 0, v4
	v_mov_b32_e32 v3, 0x7f800001
	v_cndmask_b32_e32 v3, v3, v2, vcc
; %bb.4401:                             ;   in Loop: Header=BB6_4197 Depth=3
	s_or_b64 exec, exec, s[34:35]
.LBB6_4402:                             ;   in Loop: Header=BB6_4197 Depth=3
	s_or_b64 exec, exec, s[30:31]
.LBB6_4403:                             ;   in Loop: Header=BB6_4197 Depth=3
	s_or_b64 exec, exec, s[26:27]
	v_mul_f32_e32 v4, v14, v3
	v_and_b32_e32 v20, 0x7f800000, v4
	v_mov_b32_e32 v21, v33
	v_cmp_ne_u64_e32 vcc, s[76:77], v[20:21]
	v_and_b32_e32 v2, 0x7fffff, v4
	v_mov_b32_e32 v3, v33
                                        ; implicit-def: $vgpr20
	s_and_saveexec_b64 s[26:27], vcc
	s_xor_b64 s[30:31], exec, s[26:27]
	s_cbranch_execz .LBB6_4421
; %bb.4404:                             ;   in Loop: Header=BB6_4197 Depth=3
	v_and_b32_e32 v20, 0x7fffffff, v4
	v_mov_b32_e32 v21, v33
	v_cmp_gt_u64_e32 vcc, s[78:79], v[20:21]
	v_and_b32_sdwa v21, v4, s97 dst_sel:DWORD dst_unused:UNUSED_PAD src0_sel:BYTE_3 src1_sel:DWORD
                                        ; implicit-def: $vgpr20
	s_and_saveexec_b64 s[26:27], vcc
	s_xor_b64 s[34:35], exec, s[26:27]
	s_cbranch_execz .LBB6_4418
; %bb.4405:                             ;   in Loop: Header=BB6_4197 Depth=3
	v_cmp_ne_u32_e32 vcc, 0, v4
	v_mov_b32_e32 v20, 0
	s_and_saveexec_b64 s[36:37], vcc
	s_cbranch_execz .LBB6_4417
; %bb.4406:                             ;   in Loop: Header=BB6_4197 Depth=3
	v_bfe_u32 v20, v4, 23, 8
	v_cmp_gt_u32_e64 s[26:27], s47, v20
	v_sub_u32_e32 v4, 0x71, v20
	v_cmp_eq_u32_e32 vcc, 0, v20
	v_cndmask_b32_e64 v4, 0, v4, s[26:27]
	v_mov_b32_e32 v22, 0x70
	v_cndmask_b32_e32 v22, v4, v22, vcc
	v_or_b32_e32 v23, 0x800000, v2
	v_add_u32_e32 v4, 21, v22
	v_cndmask_b32_e32 v2, v23, v2, vcc
	v_lshlrev_b64 v[23:24], v4, -1
	v_add_u32_e32 v4, 20, v22
	v_bfi_b32 v23, v23, 0, v2
	v_lshlrev_b64 v[25:26], v4, 1
	v_lshrrev_b64 v[2:3], v22, v[2:3]
	v_bfi_b32 v24, v24, 0, 0
	v_cmp_eq_u64_e64 s[26:27], v[23:24], v[25:26]
	v_mov_b32_e32 v4, v3
	v_mov_b32_e32 v3, v2
	s_and_saveexec_b64 s[38:39], s[26:27]
; %bb.4407:                             ;   in Loop: Header=BB6_4197 Depth=3
	v_bfe_u32 v3, v2, 21, 1
	v_add_co_u32_e64 v3, s[26:27], v2, v3
	v_add_co_u32_e64 v3, s[26:27], -1, v3
; %bb.4408:                             ;   in Loop: Header=BB6_4197 Depth=3
	s_or_b64 exec, exec, s[38:39]
	v_add_u32_e32 v4, 0xffffff81, v20
	v_mov_b32_e32 v20, 0xffffff82
	v_cndmask_b32_e32 v4, v4, v20, vcc
	v_lshrrev_b32_e32 v20, 23, v2
	v_add3_u32 v22, v22, v4, v20
	v_add_u32_e32 v20, 14, v22
	v_and_b32_e32 v3, 0x1fffff, v3
	v_add_u32_e32 v2, v3, v2
	v_mov_b32_e32 v3, v33
	v_cmp_ne_u32_e32 vcc, 0, v20
                                        ; implicit-def: $vgpr4
	s_and_saveexec_b64 s[26:27], vcc
	s_xor_b64 s[26:27], exec, s[26:27]
; %bb.4409:                             ;   in Loop: Header=BB6_4197 Depth=3
	v_cmp_lt_u64_e32 vcc, s[88:89], v[2:3]
	v_add_u32_e32 v4, 15, v22
	v_cndmask_b32_e32 v4, v20, v4, vcc
	v_cndmask_b32_e64 v20, 0, 1, vcc
	v_lshrrev_b64 v[2:3], v20, v[2:3]
; %bb.4410:                             ;   in Loop: Header=BB6_4197 Depth=3
	s_andn2_saveexec_b64 s[26:27], s[26:27]
; %bb.4411:                             ;   in Loop: Header=BB6_4197 Depth=3
	v_bfe_u32 v4, v2, 23, 1
; %bb.4412:                             ;   in Loop: Header=BB6_4197 Depth=3
	s_or_b64 exec, exec, s[26:27]
	v_lshrrev_b64 v[2:3], 21, v[2:3]
	v_cmp_gt_i32_e32 vcc, 32, v4
	v_cndmask_b32_e32 v3, 0, v3, vcc
	v_cndmask_b32_e32 v2, 3, v2, vcc
	v_cmp_ne_u64_e32 vcc, 0, v[2:3]
	v_cmp_ne_u32_e64 s[26:27], 0, v4
	s_or_b64 s[26:27], s[26:27], vcc
                                        ; implicit-def: $vgpr20
	s_and_saveexec_b64 s[62:63], s[26:27]
	s_xor_b64 s[26:27], exec, s[62:63]
; %bb.4413:                             ;   in Loop: Header=BB6_4197 Depth=3
	v_min_i32_e32 v3, 31, v4
	v_lshl_or_b32 v3, v3, 2, v21
	v_and_or_b32 v20, v2, 3, v3
                                        ; implicit-def: $vgpr21
; %bb.4414:                             ;   in Loop: Header=BB6_4197 Depth=3
	s_andn2_saveexec_b64 s[26:27], s[26:27]
; %bb.4415:                             ;   in Loop: Header=BB6_4197 Depth=3
	v_mov_b32_e32 v20, v21
; %bb.4416:                             ;   in Loop: Header=BB6_4197 Depth=3
	s_or_b64 exec, exec, s[26:27]
.LBB6_4417:                             ;   in Loop: Header=BB6_4197 Depth=3
	s_or_b64 exec, exec, s[36:37]
                                        ; implicit-def: $vgpr21
.LBB6_4418:                             ;   in Loop: Header=BB6_4197 Depth=3
	s_andn2_saveexec_b64 s[26:27], s[34:35]
; %bb.4419:                             ;   in Loop: Header=BB6_4197 Depth=3
	v_or_b32_e32 v20, 0x7b, v21
; %bb.4420:                             ;   in Loop: Header=BB6_4197 Depth=3
	s_or_b64 exec, exec, s[26:27]
                                        ; implicit-def: $vgpr4
                                        ; implicit-def: $vgpr2_vgpr3
.LBB6_4421:                             ;   in Loop: Header=BB6_4197 Depth=3
	s_andn2_saveexec_b64 s[26:27], s[30:31]
	s_cbranch_execz .LBB6_4427
; %bb.4422:                             ;   in Loop: Header=BB6_4197 Depth=3
	v_cmp_ne_u64_e32 vcc, 0, v[2:3]
                                        ; implicit-def: $vgpr20
	s_and_saveexec_b64 s[62:63], vcc
	s_xor_b64 vcc, exec, s[62:63]
; %bb.4423:                             ;   in Loop: Header=BB6_4197 Depth=3
	v_or_b32_sdwa v20, v4, s44 dst_sel:DWORD dst_unused:UNUSED_PAD src0_sel:BYTE_3 src1_sel:DWORD
                                        ; implicit-def: $vgpr4
; %bb.4424:                             ;   in Loop: Header=BB6_4197 Depth=3
	s_andn2_saveexec_b64 s[30:31], vcc
; %bb.4425:                             ;   in Loop: Header=BB6_4197 Depth=3
	v_cmp_lt_i32_e32 vcc, -1, v4
	v_mov_b32_e32 v2, 0x7c
	v_cndmask_b32_e32 v20, -4, v2, vcc
; %bb.4426:                             ;   in Loop: Header=BB6_4197 Depth=3
	s_or_b64 exec, exec, s[30:31]
.LBB6_4427:                             ;   in Loop: Header=BB6_4197 Depth=3
	s_or_b64 exec, exec, s[26:27]
	flat_load_sbyte v2, v[0:1] offset:448 glc slc
	v_mov_b32_e32 v3, 0
	s_waitcnt vmcnt(0) lgkmcnt(0)
	v_cmp_ne_u16_e32 vcc, 0, v2
	s_and_saveexec_b64 s[26:27], vcc
	s_cbranch_execz .LBB6_4435
; %bb.4428:                             ;   in Loop: Header=BB6_4197 Depth=3
	v_cmp_ne_u16_e32 vcc, s46, v2
	v_bfrev_b32_e32 v3, 1
	s_and_saveexec_b64 s[30:31], vcc
	s_cbranch_execz .LBB6_4434
; %bb.4429:                             ;   in Loop: Header=BB6_4197 Depth=3
	v_and_b32_e32 v3, 0x7c, v2
	v_and_b32_e32 v4, 3, v2
	v_cmp_ne_u32_e32 vcc, s86, v3
                                        ; implicit-def: $vgpr3
	s_and_saveexec_b64 s[62:63], vcc
	s_xor_b64 s[34:35], exec, s[62:63]
	s_cbranch_execz .LBB6_4431
; %bb.4430:                             ;   in Loop: Header=BB6_4197 Depth=3
	v_and_b32_e32 v21, 0xff, v2
	v_bfe_u32 v23, v21, 2, 5
	v_ffbh_u32_e32 v21, v4
	v_min_u32_e32 v24, 32, v21
	v_mov_b32_e32 v3, v33
	v_subrev_u32_e32 v21, 29, v24
	v_lshlrev_b64 v[21:22], v21, v[2:3]
	v_sub_u32_e32 v3, 30, v24
	v_cmp_eq_u32_e32 vcc, 0, v23
	v_and_b32_e32 v21, 3, v21
	v_cndmask_b32_e32 v3, v23, v3, vcc
	v_and_b32_sdwa v2, sext(v2), s87 dst_sel:DWORD dst_unused:UNUSED_PAD src0_sel:WORD_0 src1_sel:DWORD
	v_cndmask_b32_e32 v4, v4, v21, vcc
	v_lshl_add_u32 v2, v3, 23, v2
	v_lshl_or_b32 v2, v4, 21, v2
	v_add_u32_e32 v3, 0x38000000, v2
                                        ; implicit-def: $vgpr4
                                        ; implicit-def: $vgpr2
.LBB6_4431:                             ;   in Loop: Header=BB6_4197 Depth=3
	s_andn2_saveexec_b64 s[34:35], s[34:35]
; %bb.4432:                             ;   in Loop: Header=BB6_4197 Depth=3
	v_cmp_lt_i16_e32 vcc, -1, v2
	v_mov_b32_e32 v2, 0xff800000
	v_mov_b32_e32 v3, 0x7f800000
	v_cndmask_b32_e32 v2, v2, v3, vcc
	v_cmp_eq_u32_e32 vcc, 0, v4
	v_mov_b32_e32 v3, 0x7f800001
	v_cndmask_b32_e32 v3, v3, v2, vcc
; %bb.4433:                             ;   in Loop: Header=BB6_4197 Depth=3
	s_or_b64 exec, exec, s[34:35]
.LBB6_4434:                             ;   in Loop: Header=BB6_4197 Depth=3
	s_or_b64 exec, exec, s[30:31]
.LBB6_4435:                             ;   in Loop: Header=BB6_4197 Depth=3
	s_or_b64 exec, exec, s[26:27]
	v_mul_f32_e32 v4, v14, v3
	v_and_b32_e32 v21, 0x7f800000, v4
	v_mov_b32_e32 v22, v33
	v_cmp_ne_u64_e32 vcc, s[76:77], v[21:22]
	v_and_b32_e32 v2, 0x7fffff, v4
	v_mov_b32_e32 v3, v33
                                        ; implicit-def: $vgpr21
	s_and_saveexec_b64 s[26:27], vcc
	s_xor_b64 s[30:31], exec, s[26:27]
	s_cbranch_execz .LBB6_4453
; %bb.4436:                             ;   in Loop: Header=BB6_4197 Depth=3
	v_and_b32_e32 v21, 0x7fffffff, v4
	v_mov_b32_e32 v22, v33
	v_cmp_gt_u64_e32 vcc, s[78:79], v[21:22]
	v_and_b32_sdwa v22, v4, s97 dst_sel:DWORD dst_unused:UNUSED_PAD src0_sel:BYTE_3 src1_sel:DWORD
                                        ; implicit-def: $vgpr21
	s_and_saveexec_b64 s[26:27], vcc
	s_xor_b64 s[34:35], exec, s[26:27]
	s_cbranch_execz .LBB6_4450
; %bb.4437:                             ;   in Loop: Header=BB6_4197 Depth=3
	v_cmp_ne_u32_e32 vcc, 0, v4
	v_mov_b32_e32 v21, 0
	s_and_saveexec_b64 s[36:37], vcc
	s_cbranch_execz .LBB6_4449
; %bb.4438:                             ;   in Loop: Header=BB6_4197 Depth=3
	v_bfe_u32 v21, v4, 23, 8
	v_cmp_gt_u32_e64 s[26:27], s47, v21
	v_sub_u32_e32 v4, 0x71, v21
	v_cmp_eq_u32_e32 vcc, 0, v21
	v_cndmask_b32_e64 v4, 0, v4, s[26:27]
	v_mov_b32_e32 v23, 0x70
	v_cndmask_b32_e32 v23, v4, v23, vcc
	v_or_b32_e32 v24, 0x800000, v2
	v_add_u32_e32 v4, 21, v23
	v_cndmask_b32_e32 v2, v24, v2, vcc
	v_lshlrev_b64 v[24:25], v4, -1
	v_add_u32_e32 v4, 20, v23
	v_bfi_b32 v24, v24, 0, v2
	v_lshlrev_b64 v[26:27], v4, 1
	v_lshrrev_b64 v[2:3], v23, v[2:3]
	v_bfi_b32 v25, v25, 0, 0
	v_cmp_eq_u64_e64 s[26:27], v[24:25], v[26:27]
	v_mov_b32_e32 v4, v3
	v_mov_b32_e32 v3, v2
	s_and_saveexec_b64 s[38:39], s[26:27]
; %bb.4439:                             ;   in Loop: Header=BB6_4197 Depth=3
	v_bfe_u32 v3, v2, 21, 1
	v_add_co_u32_e64 v3, s[26:27], v2, v3
	v_add_co_u32_e64 v3, s[26:27], -1, v3
; %bb.4440:                             ;   in Loop: Header=BB6_4197 Depth=3
	s_or_b64 exec, exec, s[38:39]
	v_add_u32_e32 v4, 0xffffff81, v21
	v_mov_b32_e32 v21, 0xffffff82
	v_cndmask_b32_e32 v4, v4, v21, vcc
	v_lshrrev_b32_e32 v21, 23, v2
	v_add3_u32 v23, v23, v4, v21
	v_add_u32_e32 v21, 14, v23
	v_and_b32_e32 v3, 0x1fffff, v3
	v_add_u32_e32 v2, v3, v2
	v_mov_b32_e32 v3, v33
	v_cmp_ne_u32_e32 vcc, 0, v21
                                        ; implicit-def: $vgpr4
	s_and_saveexec_b64 s[26:27], vcc
	s_xor_b64 s[26:27], exec, s[26:27]
; %bb.4441:                             ;   in Loop: Header=BB6_4197 Depth=3
	v_cmp_lt_u64_e32 vcc, s[88:89], v[2:3]
	v_add_u32_e32 v4, 15, v23
	v_cndmask_b32_e32 v4, v21, v4, vcc
	v_cndmask_b32_e64 v21, 0, 1, vcc
	v_lshrrev_b64 v[2:3], v21, v[2:3]
; %bb.4442:                             ;   in Loop: Header=BB6_4197 Depth=3
	s_andn2_saveexec_b64 s[26:27], s[26:27]
; %bb.4443:                             ;   in Loop: Header=BB6_4197 Depth=3
	v_bfe_u32 v4, v2, 23, 1
; %bb.4444:                             ;   in Loop: Header=BB6_4197 Depth=3
	s_or_b64 exec, exec, s[26:27]
	v_lshrrev_b64 v[2:3], 21, v[2:3]
	v_cmp_gt_i32_e32 vcc, 32, v4
	v_cndmask_b32_e32 v3, 0, v3, vcc
	v_cndmask_b32_e32 v2, 3, v2, vcc
	v_cmp_ne_u64_e32 vcc, 0, v[2:3]
	v_cmp_ne_u32_e64 s[26:27], 0, v4
	s_or_b64 s[26:27], s[26:27], vcc
                                        ; implicit-def: $vgpr21
	s_and_saveexec_b64 s[62:63], s[26:27]
	s_xor_b64 s[26:27], exec, s[62:63]
; %bb.4445:                             ;   in Loop: Header=BB6_4197 Depth=3
	v_min_i32_e32 v3, 31, v4
	v_lshl_or_b32 v3, v3, 2, v22
	v_and_or_b32 v21, v2, 3, v3
                                        ; implicit-def: $vgpr22
; %bb.4446:                             ;   in Loop: Header=BB6_4197 Depth=3
	s_andn2_saveexec_b64 s[26:27], s[26:27]
; %bb.4447:                             ;   in Loop: Header=BB6_4197 Depth=3
	v_mov_b32_e32 v21, v22
; %bb.4448:                             ;   in Loop: Header=BB6_4197 Depth=3
	s_or_b64 exec, exec, s[26:27]
.LBB6_4449:                             ;   in Loop: Header=BB6_4197 Depth=3
	s_or_b64 exec, exec, s[36:37]
                                        ; implicit-def: $vgpr22
.LBB6_4450:                             ;   in Loop: Header=BB6_4197 Depth=3
	s_andn2_saveexec_b64 s[26:27], s[34:35]
; %bb.4451:                             ;   in Loop: Header=BB6_4197 Depth=3
	v_or_b32_e32 v21, 0x7b, v22
; %bb.4452:                             ;   in Loop: Header=BB6_4197 Depth=3
	s_or_b64 exec, exec, s[26:27]
                                        ; implicit-def: $vgpr4
                                        ; implicit-def: $vgpr2_vgpr3
.LBB6_4453:                             ;   in Loop: Header=BB6_4197 Depth=3
	s_andn2_saveexec_b64 s[26:27], s[30:31]
	s_cbranch_execz .LBB6_4459
; %bb.4454:                             ;   in Loop: Header=BB6_4197 Depth=3
	v_cmp_ne_u64_e32 vcc, 0, v[2:3]
                                        ; implicit-def: $vgpr21
	s_and_saveexec_b64 s[62:63], vcc
	s_xor_b64 vcc, exec, s[62:63]
; %bb.4455:                             ;   in Loop: Header=BB6_4197 Depth=3
	v_or_b32_sdwa v21, v4, s44 dst_sel:DWORD dst_unused:UNUSED_PAD src0_sel:BYTE_3 src1_sel:DWORD
                                        ; implicit-def: $vgpr4
; %bb.4456:                             ;   in Loop: Header=BB6_4197 Depth=3
	s_andn2_saveexec_b64 s[30:31], vcc
; %bb.4457:                             ;   in Loop: Header=BB6_4197 Depth=3
	v_cmp_lt_i32_e32 vcc, -1, v4
	v_mov_b32_e32 v2, 0x7c
	v_cndmask_b32_e32 v21, -4, v2, vcc
; %bb.4458:                             ;   in Loop: Header=BB6_4197 Depth=3
	s_or_b64 exec, exec, s[30:31]
.LBB6_4459:                             ;   in Loop: Header=BB6_4197 Depth=3
	s_or_b64 exec, exec, s[26:27]
	flat_load_sbyte v2, v[0:1] offset:512 glc slc
	v_mov_b32_e32 v3, 0
	s_waitcnt vmcnt(0) lgkmcnt(0)
	v_cmp_ne_u16_e32 vcc, 0, v2
	s_and_saveexec_b64 s[26:27], vcc
	s_cbranch_execz .LBB6_4467
; %bb.4460:                             ;   in Loop: Header=BB6_4197 Depth=3
	v_cmp_ne_u16_e32 vcc, s46, v2
	v_bfrev_b32_e32 v3, 1
	s_and_saveexec_b64 s[30:31], vcc
	s_cbranch_execz .LBB6_4466
; %bb.4461:                             ;   in Loop: Header=BB6_4197 Depth=3
	v_and_b32_e32 v3, 0x7c, v2
	v_and_b32_e32 v4, 3, v2
	v_cmp_ne_u32_e32 vcc, s86, v3
                                        ; implicit-def: $vgpr3
	s_and_saveexec_b64 s[62:63], vcc
	s_xor_b64 s[34:35], exec, s[62:63]
	s_cbranch_execz .LBB6_4463
; %bb.4462:                             ;   in Loop: Header=BB6_4197 Depth=3
	v_and_b32_e32 v22, 0xff, v2
	v_bfe_u32 v24, v22, 2, 5
	v_ffbh_u32_e32 v22, v4
	v_min_u32_e32 v25, 32, v22
	v_mov_b32_e32 v3, v33
	v_subrev_u32_e32 v22, 29, v25
	v_lshlrev_b64 v[22:23], v22, v[2:3]
	v_sub_u32_e32 v3, 30, v25
	v_cmp_eq_u32_e32 vcc, 0, v24
	v_and_b32_e32 v22, 3, v22
	v_cndmask_b32_e32 v3, v24, v3, vcc
	v_and_b32_sdwa v2, sext(v2), s87 dst_sel:DWORD dst_unused:UNUSED_PAD src0_sel:WORD_0 src1_sel:DWORD
	v_cndmask_b32_e32 v4, v4, v22, vcc
	v_lshl_add_u32 v2, v3, 23, v2
	v_lshl_or_b32 v2, v4, 21, v2
	v_add_u32_e32 v3, 0x38000000, v2
                                        ; implicit-def: $vgpr4
                                        ; implicit-def: $vgpr2
.LBB6_4463:                             ;   in Loop: Header=BB6_4197 Depth=3
	s_andn2_saveexec_b64 s[34:35], s[34:35]
; %bb.4464:                             ;   in Loop: Header=BB6_4197 Depth=3
	v_cmp_lt_i16_e32 vcc, -1, v2
	v_mov_b32_e32 v2, 0xff800000
	v_mov_b32_e32 v3, 0x7f800000
	v_cndmask_b32_e32 v2, v2, v3, vcc
	v_cmp_eq_u32_e32 vcc, 0, v4
	v_mov_b32_e32 v3, 0x7f800001
	v_cndmask_b32_e32 v3, v3, v2, vcc
; %bb.4465:                             ;   in Loop: Header=BB6_4197 Depth=3
	s_or_b64 exec, exec, s[34:35]
.LBB6_4466:                             ;   in Loop: Header=BB6_4197 Depth=3
	s_or_b64 exec, exec, s[30:31]
.LBB6_4467:                             ;   in Loop: Header=BB6_4197 Depth=3
	s_or_b64 exec, exec, s[26:27]
	v_mul_f32_e32 v4, v14, v3
	v_and_b32_e32 v22, 0x7f800000, v4
	v_mov_b32_e32 v23, v33
	v_cmp_ne_u64_e32 vcc, s[76:77], v[22:23]
	v_and_b32_e32 v2, 0x7fffff, v4
	v_mov_b32_e32 v3, v33
                                        ; implicit-def: $vgpr22
	s_and_saveexec_b64 s[26:27], vcc
	s_xor_b64 s[30:31], exec, s[26:27]
	s_cbranch_execz .LBB6_4485
; %bb.4468:                             ;   in Loop: Header=BB6_4197 Depth=3
	v_and_b32_e32 v22, 0x7fffffff, v4
	v_mov_b32_e32 v23, v33
	v_cmp_gt_u64_e32 vcc, s[78:79], v[22:23]
	v_and_b32_sdwa v23, v4, s97 dst_sel:DWORD dst_unused:UNUSED_PAD src0_sel:BYTE_3 src1_sel:DWORD
                                        ; implicit-def: $vgpr22
	s_and_saveexec_b64 s[26:27], vcc
	s_xor_b64 s[34:35], exec, s[26:27]
	s_cbranch_execz .LBB6_4482
; %bb.4469:                             ;   in Loop: Header=BB6_4197 Depth=3
	v_cmp_ne_u32_e32 vcc, 0, v4
	v_mov_b32_e32 v22, 0
	s_and_saveexec_b64 s[36:37], vcc
	s_cbranch_execz .LBB6_4481
; %bb.4470:                             ;   in Loop: Header=BB6_4197 Depth=3
	v_bfe_u32 v22, v4, 23, 8
	v_cmp_gt_u32_e64 s[26:27], s47, v22
	v_sub_u32_e32 v4, 0x71, v22
	v_cmp_eq_u32_e32 vcc, 0, v22
	v_cndmask_b32_e64 v4, 0, v4, s[26:27]
	v_mov_b32_e32 v24, 0x70
	v_cndmask_b32_e32 v24, v4, v24, vcc
	v_or_b32_e32 v25, 0x800000, v2
	v_add_u32_e32 v4, 21, v24
	v_cndmask_b32_e32 v2, v25, v2, vcc
	v_lshlrev_b64 v[25:26], v4, -1
	v_add_u32_e32 v4, 20, v24
	v_bfi_b32 v25, v25, 0, v2
	v_lshlrev_b64 v[27:28], v4, 1
	v_lshrrev_b64 v[2:3], v24, v[2:3]
	v_bfi_b32 v26, v26, 0, 0
	v_cmp_eq_u64_e64 s[26:27], v[25:26], v[27:28]
	v_mov_b32_e32 v4, v3
	v_mov_b32_e32 v3, v2
	s_and_saveexec_b64 s[38:39], s[26:27]
; %bb.4471:                             ;   in Loop: Header=BB6_4197 Depth=3
	v_bfe_u32 v3, v2, 21, 1
	v_add_co_u32_e64 v3, s[26:27], v2, v3
	v_add_co_u32_e64 v3, s[26:27], -1, v3
; %bb.4472:                             ;   in Loop: Header=BB6_4197 Depth=3
	s_or_b64 exec, exec, s[38:39]
	v_add_u32_e32 v4, 0xffffff81, v22
	v_mov_b32_e32 v22, 0xffffff82
	v_cndmask_b32_e32 v4, v4, v22, vcc
	v_lshrrev_b32_e32 v22, 23, v2
	v_add3_u32 v24, v24, v4, v22
	v_add_u32_e32 v22, 14, v24
	v_and_b32_e32 v3, 0x1fffff, v3
	v_add_u32_e32 v2, v3, v2
	v_mov_b32_e32 v3, v33
	v_cmp_ne_u32_e32 vcc, 0, v22
                                        ; implicit-def: $vgpr4
	s_and_saveexec_b64 s[26:27], vcc
	s_xor_b64 s[26:27], exec, s[26:27]
; %bb.4473:                             ;   in Loop: Header=BB6_4197 Depth=3
	v_cmp_lt_u64_e32 vcc, s[88:89], v[2:3]
	v_add_u32_e32 v4, 15, v24
	v_cndmask_b32_e32 v4, v22, v4, vcc
	v_cndmask_b32_e64 v22, 0, 1, vcc
	v_lshrrev_b64 v[2:3], v22, v[2:3]
; %bb.4474:                             ;   in Loop: Header=BB6_4197 Depth=3
	s_andn2_saveexec_b64 s[26:27], s[26:27]
; %bb.4475:                             ;   in Loop: Header=BB6_4197 Depth=3
	v_bfe_u32 v4, v2, 23, 1
; %bb.4476:                             ;   in Loop: Header=BB6_4197 Depth=3
	s_or_b64 exec, exec, s[26:27]
	v_lshrrev_b64 v[2:3], 21, v[2:3]
	v_cmp_gt_i32_e32 vcc, 32, v4
	v_cndmask_b32_e32 v3, 0, v3, vcc
	v_cndmask_b32_e32 v2, 3, v2, vcc
	v_cmp_ne_u64_e32 vcc, 0, v[2:3]
	v_cmp_ne_u32_e64 s[26:27], 0, v4
	s_or_b64 s[26:27], s[26:27], vcc
                                        ; implicit-def: $vgpr22
	s_and_saveexec_b64 s[62:63], s[26:27]
	s_xor_b64 s[26:27], exec, s[62:63]
; %bb.4477:                             ;   in Loop: Header=BB6_4197 Depth=3
	v_min_i32_e32 v3, 31, v4
	v_lshl_or_b32 v3, v3, 2, v23
	v_and_or_b32 v22, v2, 3, v3
                                        ; implicit-def: $vgpr23
; %bb.4478:                             ;   in Loop: Header=BB6_4197 Depth=3
	s_andn2_saveexec_b64 s[26:27], s[26:27]
; %bb.4479:                             ;   in Loop: Header=BB6_4197 Depth=3
	v_mov_b32_e32 v22, v23
; %bb.4480:                             ;   in Loop: Header=BB6_4197 Depth=3
	s_or_b64 exec, exec, s[26:27]
.LBB6_4481:                             ;   in Loop: Header=BB6_4197 Depth=3
	s_or_b64 exec, exec, s[36:37]
                                        ; implicit-def: $vgpr23
.LBB6_4482:                             ;   in Loop: Header=BB6_4197 Depth=3
	s_andn2_saveexec_b64 s[26:27], s[34:35]
; %bb.4483:                             ;   in Loop: Header=BB6_4197 Depth=3
	v_or_b32_e32 v22, 0x7b, v23
; %bb.4484:                             ;   in Loop: Header=BB6_4197 Depth=3
	s_or_b64 exec, exec, s[26:27]
                                        ; implicit-def: $vgpr4
                                        ; implicit-def: $vgpr2_vgpr3
.LBB6_4485:                             ;   in Loop: Header=BB6_4197 Depth=3
	s_andn2_saveexec_b64 s[26:27], s[30:31]
	s_cbranch_execz .LBB6_4491
; %bb.4486:                             ;   in Loop: Header=BB6_4197 Depth=3
	v_cmp_ne_u64_e32 vcc, 0, v[2:3]
                                        ; implicit-def: $vgpr22
	s_and_saveexec_b64 s[62:63], vcc
	s_xor_b64 vcc, exec, s[62:63]
; %bb.4487:                             ;   in Loop: Header=BB6_4197 Depth=3
	v_or_b32_sdwa v22, v4, s44 dst_sel:DWORD dst_unused:UNUSED_PAD src0_sel:BYTE_3 src1_sel:DWORD
                                        ; implicit-def: $vgpr4
; %bb.4488:                             ;   in Loop: Header=BB6_4197 Depth=3
	s_andn2_saveexec_b64 s[30:31], vcc
; %bb.4489:                             ;   in Loop: Header=BB6_4197 Depth=3
	v_cmp_lt_i32_e32 vcc, -1, v4
	v_mov_b32_e32 v2, 0x7c
	v_cndmask_b32_e32 v22, -4, v2, vcc
; %bb.4490:                             ;   in Loop: Header=BB6_4197 Depth=3
	s_or_b64 exec, exec, s[30:31]
.LBB6_4491:                             ;   in Loop: Header=BB6_4197 Depth=3
	s_or_b64 exec, exec, s[26:27]
	flat_load_sbyte v2, v[0:1] offset:576 glc slc
	v_mov_b32_e32 v3, 0
	s_waitcnt vmcnt(0) lgkmcnt(0)
	v_cmp_ne_u16_e32 vcc, 0, v2
	s_and_saveexec_b64 s[26:27], vcc
	s_cbranch_execz .LBB6_4499
; %bb.4492:                             ;   in Loop: Header=BB6_4197 Depth=3
	v_cmp_ne_u16_e32 vcc, s46, v2
	v_bfrev_b32_e32 v3, 1
	s_and_saveexec_b64 s[30:31], vcc
	s_cbranch_execz .LBB6_4498
; %bb.4493:                             ;   in Loop: Header=BB6_4197 Depth=3
	v_and_b32_e32 v3, 0x7c, v2
	v_and_b32_e32 v4, 3, v2
	v_cmp_ne_u32_e32 vcc, s86, v3
                                        ; implicit-def: $vgpr3
	s_and_saveexec_b64 s[62:63], vcc
	s_xor_b64 s[34:35], exec, s[62:63]
	s_cbranch_execz .LBB6_4495
; %bb.4494:                             ;   in Loop: Header=BB6_4197 Depth=3
	v_and_b32_e32 v23, 0xff, v2
	v_bfe_u32 v25, v23, 2, 5
	v_ffbh_u32_e32 v23, v4
	v_min_u32_e32 v26, 32, v23
	v_mov_b32_e32 v3, v33
	v_subrev_u32_e32 v23, 29, v26
	v_lshlrev_b64 v[23:24], v23, v[2:3]
	v_sub_u32_e32 v3, 30, v26
	v_cmp_eq_u32_e32 vcc, 0, v25
	v_and_b32_e32 v23, 3, v23
	v_cndmask_b32_e32 v3, v25, v3, vcc
	v_and_b32_sdwa v2, sext(v2), s87 dst_sel:DWORD dst_unused:UNUSED_PAD src0_sel:WORD_0 src1_sel:DWORD
	v_cndmask_b32_e32 v4, v4, v23, vcc
	v_lshl_add_u32 v2, v3, 23, v2
	v_lshl_or_b32 v2, v4, 21, v2
	v_add_u32_e32 v3, 0x38000000, v2
                                        ; implicit-def: $vgpr4
                                        ; implicit-def: $vgpr2
.LBB6_4495:                             ;   in Loop: Header=BB6_4197 Depth=3
	s_andn2_saveexec_b64 s[34:35], s[34:35]
; %bb.4496:                             ;   in Loop: Header=BB6_4197 Depth=3
	v_cmp_lt_i16_e32 vcc, -1, v2
	v_mov_b32_e32 v2, 0xff800000
	v_mov_b32_e32 v3, 0x7f800000
	v_cndmask_b32_e32 v2, v2, v3, vcc
	v_cmp_eq_u32_e32 vcc, 0, v4
	v_mov_b32_e32 v3, 0x7f800001
	v_cndmask_b32_e32 v3, v3, v2, vcc
; %bb.4497:                             ;   in Loop: Header=BB6_4197 Depth=3
	s_or_b64 exec, exec, s[34:35]
.LBB6_4498:                             ;   in Loop: Header=BB6_4197 Depth=3
	s_or_b64 exec, exec, s[30:31]
.LBB6_4499:                             ;   in Loop: Header=BB6_4197 Depth=3
	s_or_b64 exec, exec, s[26:27]
	v_mul_f32_e32 v4, v14, v3
	v_and_b32_e32 v23, 0x7f800000, v4
	v_mov_b32_e32 v24, v33
	v_cmp_ne_u64_e32 vcc, s[76:77], v[23:24]
	v_and_b32_e32 v2, 0x7fffff, v4
	v_mov_b32_e32 v3, v33
                                        ; implicit-def: $vgpr23
	s_and_saveexec_b64 s[26:27], vcc
	s_xor_b64 s[30:31], exec, s[26:27]
	s_cbranch_execz .LBB6_4517
; %bb.4500:                             ;   in Loop: Header=BB6_4197 Depth=3
	v_and_b32_e32 v23, 0x7fffffff, v4
	v_mov_b32_e32 v24, v33
	v_cmp_gt_u64_e32 vcc, s[78:79], v[23:24]
	v_and_b32_sdwa v24, v4, s97 dst_sel:DWORD dst_unused:UNUSED_PAD src0_sel:BYTE_3 src1_sel:DWORD
                                        ; implicit-def: $vgpr23
	s_and_saveexec_b64 s[26:27], vcc
	s_xor_b64 s[34:35], exec, s[26:27]
	s_cbranch_execz .LBB6_4514
; %bb.4501:                             ;   in Loop: Header=BB6_4197 Depth=3
	v_cmp_ne_u32_e32 vcc, 0, v4
	v_mov_b32_e32 v23, 0
	s_and_saveexec_b64 s[36:37], vcc
	s_cbranch_execz .LBB6_4513
; %bb.4502:                             ;   in Loop: Header=BB6_4197 Depth=3
	v_bfe_u32 v23, v4, 23, 8
	v_cmp_gt_u32_e64 s[26:27], s47, v23
	v_sub_u32_e32 v4, 0x71, v23
	v_cmp_eq_u32_e32 vcc, 0, v23
	v_cndmask_b32_e64 v4, 0, v4, s[26:27]
	v_mov_b32_e32 v25, 0x70
	v_cndmask_b32_e32 v25, v4, v25, vcc
	v_or_b32_e32 v26, 0x800000, v2
	v_add_u32_e32 v4, 21, v25
	v_cndmask_b32_e32 v2, v26, v2, vcc
	v_lshlrev_b64 v[26:27], v4, -1
	v_add_u32_e32 v4, 20, v25
	v_bfi_b32 v26, v26, 0, v2
	v_lshlrev_b64 v[28:29], v4, 1
	v_lshrrev_b64 v[2:3], v25, v[2:3]
	v_bfi_b32 v27, v27, 0, 0
	v_cmp_eq_u64_e64 s[26:27], v[26:27], v[28:29]
	v_mov_b32_e32 v4, v3
	v_mov_b32_e32 v3, v2
	s_and_saveexec_b64 s[38:39], s[26:27]
; %bb.4503:                             ;   in Loop: Header=BB6_4197 Depth=3
	v_bfe_u32 v3, v2, 21, 1
	v_add_co_u32_e64 v3, s[26:27], v2, v3
	v_add_co_u32_e64 v3, s[26:27], -1, v3
; %bb.4504:                             ;   in Loop: Header=BB6_4197 Depth=3
	s_or_b64 exec, exec, s[38:39]
	v_add_u32_e32 v4, 0xffffff81, v23
	v_mov_b32_e32 v23, 0xffffff82
	v_cndmask_b32_e32 v4, v4, v23, vcc
	v_lshrrev_b32_e32 v23, 23, v2
	v_add3_u32 v25, v25, v4, v23
	v_add_u32_e32 v23, 14, v25
	v_and_b32_e32 v3, 0x1fffff, v3
	v_add_u32_e32 v2, v3, v2
	v_mov_b32_e32 v3, v33
	v_cmp_ne_u32_e32 vcc, 0, v23
                                        ; implicit-def: $vgpr4
	s_and_saveexec_b64 s[26:27], vcc
	s_xor_b64 s[26:27], exec, s[26:27]
; %bb.4505:                             ;   in Loop: Header=BB6_4197 Depth=3
	v_cmp_lt_u64_e32 vcc, s[88:89], v[2:3]
	v_add_u32_e32 v4, 15, v25
	v_cndmask_b32_e32 v4, v23, v4, vcc
	v_cndmask_b32_e64 v23, 0, 1, vcc
	v_lshrrev_b64 v[2:3], v23, v[2:3]
; %bb.4506:                             ;   in Loop: Header=BB6_4197 Depth=3
	s_andn2_saveexec_b64 s[26:27], s[26:27]
; %bb.4507:                             ;   in Loop: Header=BB6_4197 Depth=3
	v_bfe_u32 v4, v2, 23, 1
; %bb.4508:                             ;   in Loop: Header=BB6_4197 Depth=3
	s_or_b64 exec, exec, s[26:27]
	v_lshrrev_b64 v[2:3], 21, v[2:3]
	v_cmp_gt_i32_e32 vcc, 32, v4
	v_cndmask_b32_e32 v3, 0, v3, vcc
	v_cndmask_b32_e32 v2, 3, v2, vcc
	v_cmp_ne_u64_e32 vcc, 0, v[2:3]
	v_cmp_ne_u32_e64 s[26:27], 0, v4
	s_or_b64 s[26:27], s[26:27], vcc
                                        ; implicit-def: $vgpr23
	s_and_saveexec_b64 s[62:63], s[26:27]
	s_xor_b64 s[26:27], exec, s[62:63]
; %bb.4509:                             ;   in Loop: Header=BB6_4197 Depth=3
	v_min_i32_e32 v3, 31, v4
	v_lshl_or_b32 v3, v3, 2, v24
	v_and_or_b32 v23, v2, 3, v3
                                        ; implicit-def: $vgpr24
; %bb.4510:                             ;   in Loop: Header=BB6_4197 Depth=3
	s_andn2_saveexec_b64 s[26:27], s[26:27]
; %bb.4511:                             ;   in Loop: Header=BB6_4197 Depth=3
	v_mov_b32_e32 v23, v24
; %bb.4512:                             ;   in Loop: Header=BB6_4197 Depth=3
	s_or_b64 exec, exec, s[26:27]
.LBB6_4513:                             ;   in Loop: Header=BB6_4197 Depth=3
	s_or_b64 exec, exec, s[36:37]
                                        ; implicit-def: $vgpr24
.LBB6_4514:                             ;   in Loop: Header=BB6_4197 Depth=3
	s_andn2_saveexec_b64 s[26:27], s[34:35]
; %bb.4515:                             ;   in Loop: Header=BB6_4197 Depth=3
	v_or_b32_e32 v23, 0x7b, v24
; %bb.4516:                             ;   in Loop: Header=BB6_4197 Depth=3
	s_or_b64 exec, exec, s[26:27]
                                        ; implicit-def: $vgpr4
                                        ; implicit-def: $vgpr2_vgpr3
.LBB6_4517:                             ;   in Loop: Header=BB6_4197 Depth=3
	s_andn2_saveexec_b64 s[26:27], s[30:31]
	s_cbranch_execz .LBB6_4523
; %bb.4518:                             ;   in Loop: Header=BB6_4197 Depth=3
	v_cmp_ne_u64_e32 vcc, 0, v[2:3]
                                        ; implicit-def: $vgpr23
	s_and_saveexec_b64 s[62:63], vcc
	s_xor_b64 vcc, exec, s[62:63]
; %bb.4519:                             ;   in Loop: Header=BB6_4197 Depth=3
	v_or_b32_sdwa v23, v4, s44 dst_sel:DWORD dst_unused:UNUSED_PAD src0_sel:BYTE_3 src1_sel:DWORD
                                        ; implicit-def: $vgpr4
; %bb.4520:                             ;   in Loop: Header=BB6_4197 Depth=3
	s_andn2_saveexec_b64 s[30:31], vcc
; %bb.4521:                             ;   in Loop: Header=BB6_4197 Depth=3
	v_cmp_lt_i32_e32 vcc, -1, v4
	v_mov_b32_e32 v2, 0x7c
	v_cndmask_b32_e32 v23, -4, v2, vcc
; %bb.4522:                             ;   in Loop: Header=BB6_4197 Depth=3
	s_or_b64 exec, exec, s[30:31]
.LBB6_4523:                             ;   in Loop: Header=BB6_4197 Depth=3
	s_or_b64 exec, exec, s[26:27]
	flat_load_sbyte v2, v[0:1] offset:640 glc slc
	v_mov_b32_e32 v3, 0
	s_waitcnt vmcnt(0) lgkmcnt(0)
	v_cmp_ne_u16_e32 vcc, 0, v2
	s_and_saveexec_b64 s[26:27], vcc
	s_cbranch_execz .LBB6_4531
; %bb.4524:                             ;   in Loop: Header=BB6_4197 Depth=3
	v_cmp_ne_u16_e32 vcc, s46, v2
	v_bfrev_b32_e32 v3, 1
	s_and_saveexec_b64 s[30:31], vcc
	s_cbranch_execz .LBB6_4530
; %bb.4525:                             ;   in Loop: Header=BB6_4197 Depth=3
	v_and_b32_e32 v3, 0x7c, v2
	v_and_b32_e32 v4, 3, v2
	v_cmp_ne_u32_e32 vcc, s86, v3
                                        ; implicit-def: $vgpr3
	s_and_saveexec_b64 s[62:63], vcc
	s_xor_b64 s[34:35], exec, s[62:63]
	s_cbranch_execz .LBB6_4527
; %bb.4526:                             ;   in Loop: Header=BB6_4197 Depth=3
	v_and_b32_e32 v24, 0xff, v2
	v_bfe_u32 v26, v24, 2, 5
	v_ffbh_u32_e32 v24, v4
	v_min_u32_e32 v27, 32, v24
	v_mov_b32_e32 v3, v33
	v_subrev_u32_e32 v24, 29, v27
	v_lshlrev_b64 v[24:25], v24, v[2:3]
	v_sub_u32_e32 v3, 30, v27
	v_cmp_eq_u32_e32 vcc, 0, v26
	v_and_b32_e32 v24, 3, v24
	v_cndmask_b32_e32 v3, v26, v3, vcc
	v_and_b32_sdwa v2, sext(v2), s87 dst_sel:DWORD dst_unused:UNUSED_PAD src0_sel:WORD_0 src1_sel:DWORD
	v_cndmask_b32_e32 v4, v4, v24, vcc
	v_lshl_add_u32 v2, v3, 23, v2
	v_lshl_or_b32 v2, v4, 21, v2
	v_add_u32_e32 v3, 0x38000000, v2
                                        ; implicit-def: $vgpr4
                                        ; implicit-def: $vgpr2
.LBB6_4527:                             ;   in Loop: Header=BB6_4197 Depth=3
	s_andn2_saveexec_b64 s[34:35], s[34:35]
; %bb.4528:                             ;   in Loop: Header=BB6_4197 Depth=3
	v_cmp_lt_i16_e32 vcc, -1, v2
	v_mov_b32_e32 v2, 0xff800000
	v_mov_b32_e32 v3, 0x7f800000
	v_cndmask_b32_e32 v2, v2, v3, vcc
	v_cmp_eq_u32_e32 vcc, 0, v4
	v_mov_b32_e32 v3, 0x7f800001
	v_cndmask_b32_e32 v3, v3, v2, vcc
; %bb.4529:                             ;   in Loop: Header=BB6_4197 Depth=3
	s_or_b64 exec, exec, s[34:35]
.LBB6_4530:                             ;   in Loop: Header=BB6_4197 Depth=3
	s_or_b64 exec, exec, s[30:31]
.LBB6_4531:                             ;   in Loop: Header=BB6_4197 Depth=3
	s_or_b64 exec, exec, s[26:27]
	v_mul_f32_e32 v4, v14, v3
	v_and_b32_e32 v24, 0x7f800000, v4
	v_mov_b32_e32 v25, v33
	v_cmp_ne_u64_e32 vcc, s[76:77], v[24:25]
	v_and_b32_e32 v2, 0x7fffff, v4
	v_mov_b32_e32 v3, v33
                                        ; implicit-def: $vgpr25
	s_and_saveexec_b64 s[26:27], vcc
	s_xor_b64 s[30:31], exec, s[26:27]
	s_cbranch_execz .LBB6_4549
; %bb.4532:                             ;   in Loop: Header=BB6_4197 Depth=3
	v_and_b32_e32 v24, 0x7fffffff, v4
	v_mov_b32_e32 v25, v33
	v_cmp_gt_u64_e32 vcc, s[78:79], v[24:25]
	v_and_b32_sdwa v24, v4, s97 dst_sel:DWORD dst_unused:UNUSED_PAD src0_sel:BYTE_3 src1_sel:DWORD
                                        ; implicit-def: $vgpr25
	s_and_saveexec_b64 s[26:27], vcc
	s_xor_b64 s[34:35], exec, s[26:27]
	s_cbranch_execz .LBB6_4546
; %bb.4533:                             ;   in Loop: Header=BB6_4197 Depth=3
	v_cmp_ne_u32_e32 vcc, 0, v4
	v_mov_b32_e32 v25, 0
	s_and_saveexec_b64 s[36:37], vcc
	s_cbranch_execz .LBB6_4545
; %bb.4534:                             ;   in Loop: Header=BB6_4197 Depth=3
	v_bfe_u32 v25, v4, 23, 8
	v_cmp_gt_u32_e64 s[26:27], s47, v25
	v_sub_u32_e32 v4, 0x71, v25
	v_cmp_eq_u32_e32 vcc, 0, v25
	v_cndmask_b32_e64 v4, 0, v4, s[26:27]
	v_mov_b32_e32 v26, 0x70
	v_cndmask_b32_e32 v26, v4, v26, vcc
	v_or_b32_e32 v27, 0x800000, v2
	v_add_u32_e32 v4, 21, v26
	v_cndmask_b32_e32 v2, v27, v2, vcc
	v_lshlrev_b64 v[27:28], v4, -1
	v_add_u32_e32 v4, 20, v26
	v_bfi_b32 v27, v27, 0, v2
	v_lshlrev_b64 v[29:30], v4, 1
	v_lshrrev_b64 v[2:3], v26, v[2:3]
	v_bfi_b32 v28, v28, 0, 0
	v_cmp_eq_u64_e64 s[26:27], v[27:28], v[29:30]
	v_mov_b32_e32 v4, v3
	v_mov_b32_e32 v3, v2
	s_and_saveexec_b64 s[38:39], s[26:27]
; %bb.4535:                             ;   in Loop: Header=BB6_4197 Depth=3
	v_bfe_u32 v3, v2, 21, 1
	v_add_co_u32_e64 v3, s[26:27], v2, v3
	v_add_co_u32_e64 v3, s[26:27], -1, v3
; %bb.4536:                             ;   in Loop: Header=BB6_4197 Depth=3
	s_or_b64 exec, exec, s[38:39]
	v_add_u32_e32 v4, 0xffffff81, v25
	v_mov_b32_e32 v25, 0xffffff82
	v_cndmask_b32_e32 v4, v4, v25, vcc
	v_lshrrev_b32_e32 v25, 23, v2
	v_add3_u32 v26, v26, v4, v25
	v_add_u32_e32 v25, 14, v26
	v_and_b32_e32 v3, 0x1fffff, v3
	v_add_u32_e32 v2, v3, v2
	v_mov_b32_e32 v3, v33
	v_cmp_ne_u32_e32 vcc, 0, v25
                                        ; implicit-def: $vgpr4
	s_and_saveexec_b64 s[26:27], vcc
	s_xor_b64 s[26:27], exec, s[26:27]
; %bb.4537:                             ;   in Loop: Header=BB6_4197 Depth=3
	v_cmp_lt_u64_e32 vcc, s[88:89], v[2:3]
	v_add_u32_e32 v4, 15, v26
	v_cndmask_b32_e32 v4, v25, v4, vcc
	v_cndmask_b32_e64 v25, 0, 1, vcc
	v_lshrrev_b64 v[2:3], v25, v[2:3]
; %bb.4538:                             ;   in Loop: Header=BB6_4197 Depth=3
	s_andn2_saveexec_b64 s[26:27], s[26:27]
; %bb.4539:                             ;   in Loop: Header=BB6_4197 Depth=3
	v_bfe_u32 v4, v2, 23, 1
; %bb.4540:                             ;   in Loop: Header=BB6_4197 Depth=3
	s_or_b64 exec, exec, s[26:27]
	v_lshrrev_b64 v[2:3], 21, v[2:3]
	v_cmp_gt_i32_e32 vcc, 32, v4
	v_cndmask_b32_e32 v3, 0, v3, vcc
	v_cndmask_b32_e32 v2, 3, v2, vcc
	v_cmp_ne_u64_e32 vcc, 0, v[2:3]
	v_cmp_ne_u32_e64 s[26:27], 0, v4
	s_or_b64 s[26:27], s[26:27], vcc
                                        ; implicit-def: $vgpr25
	s_and_saveexec_b64 s[62:63], s[26:27]
	s_xor_b64 s[26:27], exec, s[62:63]
; %bb.4541:                             ;   in Loop: Header=BB6_4197 Depth=3
	v_min_i32_e32 v3, 31, v4
	v_lshl_or_b32 v3, v3, 2, v24
	v_and_or_b32 v25, v2, 3, v3
                                        ; implicit-def: $vgpr24
; %bb.4542:                             ;   in Loop: Header=BB6_4197 Depth=3
	s_andn2_saveexec_b64 s[26:27], s[26:27]
; %bb.4543:                             ;   in Loop: Header=BB6_4197 Depth=3
	v_mov_b32_e32 v25, v24
; %bb.4544:                             ;   in Loop: Header=BB6_4197 Depth=3
	s_or_b64 exec, exec, s[26:27]
.LBB6_4545:                             ;   in Loop: Header=BB6_4197 Depth=3
	s_or_b64 exec, exec, s[36:37]
                                        ; implicit-def: $vgpr24
.LBB6_4546:                             ;   in Loop: Header=BB6_4197 Depth=3
	s_andn2_saveexec_b64 s[26:27], s[34:35]
; %bb.4547:                             ;   in Loop: Header=BB6_4197 Depth=3
	v_or_b32_e32 v25, 0x7b, v24
; %bb.4548:                             ;   in Loop: Header=BB6_4197 Depth=3
	s_or_b64 exec, exec, s[26:27]
                                        ; implicit-def: $vgpr4
                                        ; implicit-def: $vgpr2_vgpr3
.LBB6_4549:                             ;   in Loop: Header=BB6_4197 Depth=3
	s_andn2_saveexec_b64 s[26:27], s[30:31]
	s_cbranch_execz .LBB6_4555
; %bb.4550:                             ;   in Loop: Header=BB6_4197 Depth=3
	v_cmp_ne_u64_e32 vcc, 0, v[2:3]
                                        ; implicit-def: $vgpr25
	s_and_saveexec_b64 s[62:63], vcc
	s_xor_b64 vcc, exec, s[62:63]
; %bb.4551:                             ;   in Loop: Header=BB6_4197 Depth=3
	v_or_b32_sdwa v25, v4, s44 dst_sel:DWORD dst_unused:UNUSED_PAD src0_sel:BYTE_3 src1_sel:DWORD
                                        ; implicit-def: $vgpr4
; %bb.4552:                             ;   in Loop: Header=BB6_4197 Depth=3
	s_andn2_saveexec_b64 s[30:31], vcc
; %bb.4553:                             ;   in Loop: Header=BB6_4197 Depth=3
	v_cmp_lt_i32_e32 vcc, -1, v4
	v_mov_b32_e32 v2, 0x7c
	v_cndmask_b32_e32 v25, -4, v2, vcc
; %bb.4554:                             ;   in Loop: Header=BB6_4197 Depth=3
	s_or_b64 exec, exec, s[30:31]
.LBB6_4555:                             ;   in Loop: Header=BB6_4197 Depth=3
	s_or_b64 exec, exec, s[26:27]
	flat_load_sbyte v2, v[0:1] offset:704 glc slc
	v_mov_b32_e32 v3, 0
	s_waitcnt vmcnt(0) lgkmcnt(0)
	v_cmp_ne_u16_e32 vcc, 0, v2
	s_and_saveexec_b64 s[26:27], vcc
	s_cbranch_execz .LBB6_4563
; %bb.4556:                             ;   in Loop: Header=BB6_4197 Depth=3
	v_cmp_ne_u16_e32 vcc, s46, v2
	v_bfrev_b32_e32 v3, 1
	s_and_saveexec_b64 s[30:31], vcc
	s_cbranch_execz .LBB6_4562
; %bb.4557:                             ;   in Loop: Header=BB6_4197 Depth=3
	v_and_b32_e32 v3, 0x7c, v2
	v_and_b32_e32 v4, 3, v2
	v_cmp_ne_u32_e32 vcc, s86, v3
                                        ; implicit-def: $vgpr3
	s_and_saveexec_b64 s[62:63], vcc
	s_xor_b64 s[34:35], exec, s[62:63]
	s_cbranch_execz .LBB6_4559
; %bb.4558:                             ;   in Loop: Header=BB6_4197 Depth=3
	v_ffbh_u32_e32 v26, v4
	v_min_u32_e32 v28, 32, v26
	v_and_b32_e32 v24, 0xff, v2
	v_mov_b32_e32 v3, v33
	v_subrev_u32_e32 v26, 29, v28
	v_bfe_u32 v24, v24, 2, 5
	v_lshlrev_b64 v[26:27], v26, v[2:3]
	v_sub_u32_e32 v3, 30, v28
	v_cmp_eq_u32_e32 vcc, 0, v24
	v_and_b32_e32 v26, 3, v26
	v_cndmask_b32_e32 v3, v24, v3, vcc
	v_and_b32_sdwa v2, sext(v2), s87 dst_sel:DWORD dst_unused:UNUSED_PAD src0_sel:WORD_0 src1_sel:DWORD
	v_cndmask_b32_e32 v4, v4, v26, vcc
	v_lshl_add_u32 v2, v3, 23, v2
	v_lshl_or_b32 v2, v4, 21, v2
	v_add_u32_e32 v3, 0x38000000, v2
                                        ; implicit-def: $vgpr4
                                        ; implicit-def: $vgpr2
.LBB6_4559:                             ;   in Loop: Header=BB6_4197 Depth=3
	s_andn2_saveexec_b64 s[34:35], s[34:35]
; %bb.4560:                             ;   in Loop: Header=BB6_4197 Depth=3
	v_cmp_lt_i16_e32 vcc, -1, v2
	v_mov_b32_e32 v2, 0xff800000
	v_mov_b32_e32 v3, 0x7f800000
	v_cndmask_b32_e32 v2, v2, v3, vcc
	v_cmp_eq_u32_e32 vcc, 0, v4
	v_mov_b32_e32 v3, 0x7f800001
	v_cndmask_b32_e32 v3, v3, v2, vcc
; %bb.4561:                             ;   in Loop: Header=BB6_4197 Depth=3
	s_or_b64 exec, exec, s[34:35]
.LBB6_4562:                             ;   in Loop: Header=BB6_4197 Depth=3
	s_or_b64 exec, exec, s[30:31]
.LBB6_4563:                             ;   in Loop: Header=BB6_4197 Depth=3
	s_or_b64 exec, exec, s[26:27]
	v_mul_f32_e32 v4, v14, v3
	v_and_b32_e32 v26, 0x7f800000, v4
	v_mov_b32_e32 v27, v33
	v_cmp_ne_u64_e32 vcc, s[76:77], v[26:27]
	v_and_b32_e32 v2, 0x7fffff, v4
	v_mov_b32_e32 v3, v33
                                        ; implicit-def: $vgpr26
	s_and_saveexec_b64 s[26:27], vcc
	s_xor_b64 s[30:31], exec, s[26:27]
	s_cbranch_execz .LBB6_4581
; %bb.4564:                             ;   in Loop: Header=BB6_4197 Depth=3
	v_and_b32_e32 v26, 0x7fffffff, v4
	v_mov_b32_e32 v27, v33
	v_cmp_gt_u64_e32 vcc, s[78:79], v[26:27]
	v_and_b32_sdwa v24, v4, s97 dst_sel:DWORD dst_unused:UNUSED_PAD src0_sel:BYTE_3 src1_sel:DWORD
                                        ; implicit-def: $vgpr26
	s_and_saveexec_b64 s[26:27], vcc
	s_xor_b64 s[34:35], exec, s[26:27]
	s_cbranch_execz .LBB6_4578
; %bb.4565:                             ;   in Loop: Header=BB6_4197 Depth=3
	v_cmp_ne_u32_e32 vcc, 0, v4
	v_mov_b32_e32 v26, 0
	s_and_saveexec_b64 s[36:37], vcc
	s_cbranch_execz .LBB6_4577
; %bb.4566:                             ;   in Loop: Header=BB6_4197 Depth=3
	v_bfe_u32 v26, v4, 23, 8
	v_cmp_gt_u32_e64 s[26:27], s47, v26
	v_sub_u32_e32 v4, 0x71, v26
	v_cmp_eq_u32_e32 vcc, 0, v26
	v_cndmask_b32_e64 v4, 0, v4, s[26:27]
	v_mov_b32_e32 v27, 0x70
	v_cndmask_b32_e32 v27, v4, v27, vcc
	v_or_b32_e32 v28, 0x800000, v2
	v_add_u32_e32 v4, 21, v27
	v_cndmask_b32_e32 v2, v28, v2, vcc
	v_lshlrev_b64 v[28:29], v4, -1
	v_add_u32_e32 v4, 20, v27
	v_bfi_b32 v28, v28, 0, v2
	v_lshlrev_b64 v[30:31], v4, 1
	v_lshrrev_b64 v[2:3], v27, v[2:3]
	v_bfi_b32 v29, v29, 0, 0
	v_cmp_eq_u64_e64 s[26:27], v[28:29], v[30:31]
	v_mov_b32_e32 v4, v3
	v_mov_b32_e32 v3, v2
	s_and_saveexec_b64 s[38:39], s[26:27]
; %bb.4567:                             ;   in Loop: Header=BB6_4197 Depth=3
	v_bfe_u32 v3, v2, 21, 1
	v_add_co_u32_e64 v3, s[26:27], v2, v3
	v_add_co_u32_e64 v3, s[26:27], -1, v3
; %bb.4568:                             ;   in Loop: Header=BB6_4197 Depth=3
	s_or_b64 exec, exec, s[38:39]
	v_add_u32_e32 v4, 0xffffff81, v26
	v_mov_b32_e32 v26, 0xffffff82
	v_cndmask_b32_e32 v4, v4, v26, vcc
	v_lshrrev_b32_e32 v26, 23, v2
	v_add3_u32 v27, v27, v4, v26
	v_add_u32_e32 v26, 14, v27
	v_and_b32_e32 v3, 0x1fffff, v3
	v_add_u32_e32 v2, v3, v2
	v_mov_b32_e32 v3, v33
	v_cmp_ne_u32_e32 vcc, 0, v26
                                        ; implicit-def: $vgpr4
	s_and_saveexec_b64 s[26:27], vcc
	s_xor_b64 s[26:27], exec, s[26:27]
; %bb.4569:                             ;   in Loop: Header=BB6_4197 Depth=3
	v_cmp_lt_u64_e32 vcc, s[88:89], v[2:3]
	v_add_u32_e32 v4, 15, v27
	v_cndmask_b32_e32 v4, v26, v4, vcc
	v_cndmask_b32_e64 v26, 0, 1, vcc
	v_lshrrev_b64 v[2:3], v26, v[2:3]
; %bb.4570:                             ;   in Loop: Header=BB6_4197 Depth=3
	s_andn2_saveexec_b64 s[26:27], s[26:27]
; %bb.4571:                             ;   in Loop: Header=BB6_4197 Depth=3
	v_bfe_u32 v4, v2, 23, 1
; %bb.4572:                             ;   in Loop: Header=BB6_4197 Depth=3
	s_or_b64 exec, exec, s[26:27]
	v_lshrrev_b64 v[2:3], 21, v[2:3]
	v_cmp_gt_i32_e32 vcc, 32, v4
	v_cndmask_b32_e32 v3, 0, v3, vcc
	v_cndmask_b32_e32 v2, 3, v2, vcc
	v_cmp_ne_u64_e32 vcc, 0, v[2:3]
	v_cmp_ne_u32_e64 s[26:27], 0, v4
	s_or_b64 s[26:27], s[26:27], vcc
                                        ; implicit-def: $vgpr26
	s_and_saveexec_b64 s[62:63], s[26:27]
	s_xor_b64 s[26:27], exec, s[62:63]
; %bb.4573:                             ;   in Loop: Header=BB6_4197 Depth=3
	v_min_i32_e32 v3, 31, v4
	v_lshl_or_b32 v3, v3, 2, v24
	v_and_or_b32 v26, v2, 3, v3
                                        ; implicit-def: $vgpr24
; %bb.4574:                             ;   in Loop: Header=BB6_4197 Depth=3
	s_andn2_saveexec_b64 s[26:27], s[26:27]
; %bb.4575:                             ;   in Loop: Header=BB6_4197 Depth=3
	v_mov_b32_e32 v26, v24
; %bb.4576:                             ;   in Loop: Header=BB6_4197 Depth=3
	s_or_b64 exec, exec, s[26:27]
.LBB6_4577:                             ;   in Loop: Header=BB6_4197 Depth=3
	s_or_b64 exec, exec, s[36:37]
                                        ; implicit-def: $vgpr24
.LBB6_4578:                             ;   in Loop: Header=BB6_4197 Depth=3
	s_andn2_saveexec_b64 s[26:27], s[34:35]
; %bb.4579:                             ;   in Loop: Header=BB6_4197 Depth=3
	v_or_b32_e32 v26, 0x7b, v24
; %bb.4580:                             ;   in Loop: Header=BB6_4197 Depth=3
	s_or_b64 exec, exec, s[26:27]
                                        ; implicit-def: $vgpr4
                                        ; implicit-def: $vgpr2_vgpr3
.LBB6_4581:                             ;   in Loop: Header=BB6_4197 Depth=3
	s_andn2_saveexec_b64 s[26:27], s[30:31]
	s_cbranch_execz .LBB6_4587
; %bb.4582:                             ;   in Loop: Header=BB6_4197 Depth=3
	v_cmp_ne_u64_e32 vcc, 0, v[2:3]
                                        ; implicit-def: $vgpr26
	s_and_saveexec_b64 s[62:63], vcc
	s_xor_b64 vcc, exec, s[62:63]
; %bb.4583:                             ;   in Loop: Header=BB6_4197 Depth=3
	v_or_b32_sdwa v26, v4, s44 dst_sel:DWORD dst_unused:UNUSED_PAD src0_sel:BYTE_3 src1_sel:DWORD
                                        ; implicit-def: $vgpr4
; %bb.4584:                             ;   in Loop: Header=BB6_4197 Depth=3
	s_andn2_saveexec_b64 s[30:31], vcc
; %bb.4585:                             ;   in Loop: Header=BB6_4197 Depth=3
	v_cmp_lt_i32_e32 vcc, -1, v4
	v_mov_b32_e32 v2, 0x7c
	v_cndmask_b32_e32 v26, -4, v2, vcc
; %bb.4586:                             ;   in Loop: Header=BB6_4197 Depth=3
	s_or_b64 exec, exec, s[30:31]
.LBB6_4587:                             ;   in Loop: Header=BB6_4197 Depth=3
	s_or_b64 exec, exec, s[26:27]
	flat_load_sbyte v2, v[0:1] offset:768 glc slc
	v_mov_b32_e32 v3, 0
	s_waitcnt vmcnt(0) lgkmcnt(0)
	v_cmp_ne_u16_e32 vcc, 0, v2
	s_and_saveexec_b64 s[26:27], vcc
	s_cbranch_execz .LBB6_4595
; %bb.4588:                             ;   in Loop: Header=BB6_4197 Depth=3
	v_cmp_ne_u16_e32 vcc, s46, v2
	v_bfrev_b32_e32 v3, 1
	s_and_saveexec_b64 s[30:31], vcc
	s_cbranch_execz .LBB6_4594
; %bb.4589:                             ;   in Loop: Header=BB6_4197 Depth=3
	v_and_b32_e32 v3, 0x7c, v2
	v_and_b32_e32 v4, 3, v2
	v_cmp_ne_u32_e32 vcc, s86, v3
                                        ; implicit-def: $vgpr3
	s_and_saveexec_b64 s[62:63], vcc
	s_xor_b64 s[34:35], exec, s[62:63]
	s_cbranch_execz .LBB6_4591
; %bb.4590:                             ;   in Loop: Header=BB6_4197 Depth=3
	v_ffbh_u32_e32 v27, v4
	v_min_u32_e32 v29, 32, v27
	v_and_b32_e32 v24, 0xff, v2
	v_mov_b32_e32 v3, v33
	v_subrev_u32_e32 v27, 29, v29
	v_bfe_u32 v24, v24, 2, 5
	v_lshlrev_b64 v[27:28], v27, v[2:3]
	v_sub_u32_e32 v3, 30, v29
	v_cmp_eq_u32_e32 vcc, 0, v24
	v_and_b32_e32 v27, 3, v27
	v_cndmask_b32_e32 v3, v24, v3, vcc
	v_and_b32_sdwa v2, sext(v2), s87 dst_sel:DWORD dst_unused:UNUSED_PAD src0_sel:WORD_0 src1_sel:DWORD
	v_cndmask_b32_e32 v4, v4, v27, vcc
	v_lshl_add_u32 v2, v3, 23, v2
	v_lshl_or_b32 v2, v4, 21, v2
	v_add_u32_e32 v3, 0x38000000, v2
                                        ; implicit-def: $vgpr4
                                        ; implicit-def: $vgpr2
.LBB6_4591:                             ;   in Loop: Header=BB6_4197 Depth=3
	s_andn2_saveexec_b64 s[34:35], s[34:35]
; %bb.4592:                             ;   in Loop: Header=BB6_4197 Depth=3
	v_cmp_lt_i16_e32 vcc, -1, v2
	v_mov_b32_e32 v2, 0xff800000
	v_mov_b32_e32 v3, 0x7f800000
	v_cndmask_b32_e32 v2, v2, v3, vcc
	v_cmp_eq_u32_e32 vcc, 0, v4
	v_mov_b32_e32 v3, 0x7f800001
	v_cndmask_b32_e32 v3, v3, v2, vcc
; %bb.4593:                             ;   in Loop: Header=BB6_4197 Depth=3
	s_or_b64 exec, exec, s[34:35]
.LBB6_4594:                             ;   in Loop: Header=BB6_4197 Depth=3
	s_or_b64 exec, exec, s[30:31]
.LBB6_4595:                             ;   in Loop: Header=BB6_4197 Depth=3
	s_or_b64 exec, exec, s[26:27]
	v_mul_f32_e32 v4, v14, v3
	v_and_b32_e32 v27, 0x7f800000, v4
	v_mov_b32_e32 v28, v33
	v_cmp_ne_u64_e32 vcc, s[76:77], v[27:28]
	v_and_b32_e32 v2, 0x7fffff, v4
	v_mov_b32_e32 v3, v33
                                        ; implicit-def: $vgpr27
	s_and_saveexec_b64 s[26:27], vcc
	s_xor_b64 s[30:31], exec, s[26:27]
	s_cbranch_execz .LBB6_4613
; %bb.4596:                             ;   in Loop: Header=BB6_4197 Depth=3
	v_and_b32_e32 v27, 0x7fffffff, v4
	v_mov_b32_e32 v28, v33
	v_cmp_gt_u64_e32 vcc, s[78:79], v[27:28]
	v_and_b32_sdwa v24, v4, s97 dst_sel:DWORD dst_unused:UNUSED_PAD src0_sel:BYTE_3 src1_sel:DWORD
                                        ; implicit-def: $vgpr27
	s_and_saveexec_b64 s[26:27], vcc
	s_xor_b64 s[34:35], exec, s[26:27]
	s_cbranch_execz .LBB6_4610
; %bb.4597:                             ;   in Loop: Header=BB6_4197 Depth=3
	v_cmp_ne_u32_e32 vcc, 0, v4
	v_mov_b32_e32 v27, 0
	s_and_saveexec_b64 s[36:37], vcc
	s_cbranch_execz .LBB6_4609
; %bb.4598:                             ;   in Loop: Header=BB6_4197 Depth=3
	v_bfe_u32 v27, v4, 23, 8
	v_cmp_gt_u32_e64 s[26:27], s47, v27
	v_sub_u32_e32 v4, 0x71, v27
	v_cmp_eq_u32_e32 vcc, 0, v27
	v_cndmask_b32_e64 v4, 0, v4, s[26:27]
	v_mov_b32_e32 v28, 0x70
	v_cndmask_b32_e32 v28, v4, v28, vcc
	v_or_b32_e32 v29, 0x800000, v2
	v_add_u32_e32 v4, 21, v28
	v_cndmask_b32_e32 v2, v29, v2, vcc
	v_lshlrev_b64 v[29:30], v4, -1
	v_add_u32_e32 v4, 20, v28
	v_bfi_b32 v29, v29, 0, v2
	v_lshlrev_b64 v[31:32], v4, 1
	v_lshrrev_b64 v[2:3], v28, v[2:3]
	v_bfi_b32 v30, v30, 0, 0
	v_cmp_eq_u64_e64 s[26:27], v[29:30], v[31:32]
	v_mov_b32_e32 v4, v3
	v_mov_b32_e32 v3, v2
	s_and_saveexec_b64 s[38:39], s[26:27]
; %bb.4599:                             ;   in Loop: Header=BB6_4197 Depth=3
	v_bfe_u32 v3, v2, 21, 1
	v_add_co_u32_e64 v3, s[26:27], v2, v3
	v_add_co_u32_e64 v3, s[26:27], -1, v3
; %bb.4600:                             ;   in Loop: Header=BB6_4197 Depth=3
	s_or_b64 exec, exec, s[38:39]
	v_add_u32_e32 v4, 0xffffff81, v27
	v_mov_b32_e32 v27, 0xffffff82
	v_cndmask_b32_e32 v4, v4, v27, vcc
	v_lshrrev_b32_e32 v27, 23, v2
	v_add3_u32 v28, v28, v4, v27
	v_add_u32_e32 v27, 14, v28
	v_and_b32_e32 v3, 0x1fffff, v3
	v_add_u32_e32 v2, v3, v2
	v_mov_b32_e32 v3, v33
	v_cmp_ne_u32_e32 vcc, 0, v27
                                        ; implicit-def: $vgpr4
	s_and_saveexec_b64 s[26:27], vcc
	s_xor_b64 s[26:27], exec, s[26:27]
; %bb.4601:                             ;   in Loop: Header=BB6_4197 Depth=3
	v_cmp_lt_u64_e32 vcc, s[88:89], v[2:3]
	v_add_u32_e32 v4, 15, v28
	v_cndmask_b32_e32 v4, v27, v4, vcc
	v_cndmask_b32_e64 v27, 0, 1, vcc
	v_lshrrev_b64 v[2:3], v27, v[2:3]
; %bb.4602:                             ;   in Loop: Header=BB6_4197 Depth=3
	s_andn2_saveexec_b64 s[26:27], s[26:27]
; %bb.4603:                             ;   in Loop: Header=BB6_4197 Depth=3
	v_bfe_u32 v4, v2, 23, 1
; %bb.4604:                             ;   in Loop: Header=BB6_4197 Depth=3
	s_or_b64 exec, exec, s[26:27]
	v_lshrrev_b64 v[2:3], 21, v[2:3]
	v_cmp_gt_i32_e32 vcc, 32, v4
	v_cndmask_b32_e32 v3, 0, v3, vcc
	v_cndmask_b32_e32 v2, 3, v2, vcc
	v_cmp_ne_u64_e32 vcc, 0, v[2:3]
	v_cmp_ne_u32_e64 s[26:27], 0, v4
	s_or_b64 s[26:27], s[26:27], vcc
                                        ; implicit-def: $vgpr27
	s_and_saveexec_b64 s[62:63], s[26:27]
	s_xor_b64 s[26:27], exec, s[62:63]
; %bb.4605:                             ;   in Loop: Header=BB6_4197 Depth=3
	v_min_i32_e32 v3, 31, v4
	v_lshl_or_b32 v3, v3, 2, v24
	v_and_or_b32 v27, v2, 3, v3
                                        ; implicit-def: $vgpr24
; %bb.4606:                             ;   in Loop: Header=BB6_4197 Depth=3
	s_andn2_saveexec_b64 s[26:27], s[26:27]
; %bb.4607:                             ;   in Loop: Header=BB6_4197 Depth=3
	v_mov_b32_e32 v27, v24
; %bb.4608:                             ;   in Loop: Header=BB6_4197 Depth=3
	s_or_b64 exec, exec, s[26:27]
.LBB6_4609:                             ;   in Loop: Header=BB6_4197 Depth=3
	s_or_b64 exec, exec, s[36:37]
                                        ; implicit-def: $vgpr24
.LBB6_4610:                             ;   in Loop: Header=BB6_4197 Depth=3
	s_andn2_saveexec_b64 s[26:27], s[34:35]
; %bb.4611:                             ;   in Loop: Header=BB6_4197 Depth=3
	v_or_b32_e32 v27, 0x7b, v24
; %bb.4612:                             ;   in Loop: Header=BB6_4197 Depth=3
	s_or_b64 exec, exec, s[26:27]
                                        ; implicit-def: $vgpr4
                                        ; implicit-def: $vgpr2_vgpr3
.LBB6_4613:                             ;   in Loop: Header=BB6_4197 Depth=3
	s_andn2_saveexec_b64 s[26:27], s[30:31]
	s_cbranch_execz .LBB6_4619
; %bb.4614:                             ;   in Loop: Header=BB6_4197 Depth=3
	v_cmp_ne_u64_e32 vcc, 0, v[2:3]
                                        ; implicit-def: $vgpr27
	s_and_saveexec_b64 s[62:63], vcc
	s_xor_b64 vcc, exec, s[62:63]
; %bb.4615:                             ;   in Loop: Header=BB6_4197 Depth=3
	v_or_b32_sdwa v27, v4, s44 dst_sel:DWORD dst_unused:UNUSED_PAD src0_sel:BYTE_3 src1_sel:DWORD
                                        ; implicit-def: $vgpr4
; %bb.4616:                             ;   in Loop: Header=BB6_4197 Depth=3
	s_andn2_saveexec_b64 s[30:31], vcc
; %bb.4617:                             ;   in Loop: Header=BB6_4197 Depth=3
	v_cmp_lt_i32_e32 vcc, -1, v4
	v_mov_b32_e32 v2, 0x7c
	v_cndmask_b32_e32 v27, -4, v2, vcc
; %bb.4618:                             ;   in Loop: Header=BB6_4197 Depth=3
	s_or_b64 exec, exec, s[30:31]
.LBB6_4619:                             ;   in Loop: Header=BB6_4197 Depth=3
	s_or_b64 exec, exec, s[26:27]
	flat_load_sbyte v2, v[0:1] offset:832 glc slc
	v_mov_b32_e32 v3, 0
	s_waitcnt vmcnt(0) lgkmcnt(0)
	v_cmp_ne_u16_e32 vcc, 0, v2
	s_and_saveexec_b64 s[26:27], vcc
	s_cbranch_execz .LBB6_4627
; %bb.4620:                             ;   in Loop: Header=BB6_4197 Depth=3
	v_cmp_ne_u16_e32 vcc, s46, v2
	v_bfrev_b32_e32 v3, 1
	s_and_saveexec_b64 s[30:31], vcc
	s_cbranch_execz .LBB6_4626
; %bb.4621:                             ;   in Loop: Header=BB6_4197 Depth=3
	v_and_b32_e32 v3, 0x7c, v2
	v_and_b32_e32 v4, 3, v2
	v_cmp_ne_u32_e32 vcc, s86, v3
                                        ; implicit-def: $vgpr3
	s_and_saveexec_b64 s[62:63], vcc
	s_xor_b64 s[34:35], exec, s[62:63]
	s_cbranch_execz .LBB6_4623
; %bb.4622:                             ;   in Loop: Header=BB6_4197 Depth=3
	v_ffbh_u32_e32 v28, v4
	v_min_u32_e32 v30, 32, v28
	v_and_b32_e32 v24, 0xff, v2
	v_mov_b32_e32 v3, v33
	v_subrev_u32_e32 v28, 29, v30
	v_bfe_u32 v24, v24, 2, 5
	v_lshlrev_b64 v[28:29], v28, v[2:3]
	v_sub_u32_e32 v3, 30, v30
	v_cmp_eq_u32_e32 vcc, 0, v24
	v_and_b32_e32 v28, 3, v28
	v_cndmask_b32_e32 v3, v24, v3, vcc
	v_and_b32_sdwa v2, sext(v2), s87 dst_sel:DWORD dst_unused:UNUSED_PAD src0_sel:WORD_0 src1_sel:DWORD
	v_cndmask_b32_e32 v4, v4, v28, vcc
	v_lshl_add_u32 v2, v3, 23, v2
	v_lshl_or_b32 v2, v4, 21, v2
	v_add_u32_e32 v3, 0x38000000, v2
                                        ; implicit-def: $vgpr4
                                        ; implicit-def: $vgpr2
.LBB6_4623:                             ;   in Loop: Header=BB6_4197 Depth=3
	s_andn2_saveexec_b64 s[34:35], s[34:35]
; %bb.4624:                             ;   in Loop: Header=BB6_4197 Depth=3
	v_cmp_lt_i16_e32 vcc, -1, v2
	v_mov_b32_e32 v2, 0xff800000
	v_mov_b32_e32 v3, 0x7f800000
	v_cndmask_b32_e32 v2, v2, v3, vcc
	v_cmp_eq_u32_e32 vcc, 0, v4
	v_mov_b32_e32 v3, 0x7f800001
	v_cndmask_b32_e32 v3, v3, v2, vcc
; %bb.4625:                             ;   in Loop: Header=BB6_4197 Depth=3
	s_or_b64 exec, exec, s[34:35]
.LBB6_4626:                             ;   in Loop: Header=BB6_4197 Depth=3
	s_or_b64 exec, exec, s[30:31]
.LBB6_4627:                             ;   in Loop: Header=BB6_4197 Depth=3
	s_or_b64 exec, exec, s[26:27]
	v_mul_f32_e32 v4, v14, v3
	v_and_b32_e32 v28, 0x7f800000, v4
	v_mov_b32_e32 v29, v33
	v_cmp_ne_u64_e32 vcc, s[76:77], v[28:29]
	v_and_b32_e32 v2, 0x7fffff, v4
	v_mov_b32_e32 v3, v33
                                        ; implicit-def: $vgpr28
	s_and_saveexec_b64 s[26:27], vcc
	s_xor_b64 s[30:31], exec, s[26:27]
	s_cbranch_execz .LBB6_4645
; %bb.4628:                             ;   in Loop: Header=BB6_4197 Depth=3
	v_and_b32_e32 v28, 0x7fffffff, v4
	v_mov_b32_e32 v29, v33
	v_cmp_gt_u64_e32 vcc, s[78:79], v[28:29]
	v_and_b32_sdwa v24, v4, s97 dst_sel:DWORD dst_unused:UNUSED_PAD src0_sel:BYTE_3 src1_sel:DWORD
                                        ; implicit-def: $vgpr28
	s_and_saveexec_b64 s[26:27], vcc
	s_xor_b64 s[34:35], exec, s[26:27]
	s_cbranch_execz .LBB6_4642
; %bb.4629:                             ;   in Loop: Header=BB6_4197 Depth=3
	v_cmp_ne_u32_e32 vcc, 0, v4
	v_mov_b32_e32 v28, 0
	s_and_saveexec_b64 s[36:37], vcc
	s_cbranch_execz .LBB6_4641
; %bb.4630:                             ;   in Loop: Header=BB6_4197 Depth=3
	v_bfe_u32 v28, v4, 23, 8
	v_cmp_gt_u32_e64 s[26:27], s47, v28
	v_sub_u32_e32 v4, 0x71, v28
	v_cmp_eq_u32_e32 vcc, 0, v28
	v_cndmask_b32_e64 v4, 0, v4, s[26:27]
	v_mov_b32_e32 v29, 0x70
	v_cndmask_b32_e32 v29, v4, v29, vcc
	v_or_b32_e32 v30, 0x800000, v2
	v_add_u32_e32 v4, 21, v29
	v_cndmask_b32_e32 v2, v30, v2, vcc
	v_lshlrev_b64 v[30:31], v4, -1
	v_add_u32_e32 v4, 20, v29
	v_bfi_b32 v30, v30, 0, v2
	v_lshlrev_b64 v[34:35], v4, 1
	v_lshrrev_b64 v[2:3], v29, v[2:3]
	v_bfi_b32 v31, v31, 0, 0
	v_cmp_eq_u64_e64 s[26:27], v[30:31], v[34:35]
	v_mov_b32_e32 v4, v3
	v_mov_b32_e32 v3, v2
	s_and_saveexec_b64 s[38:39], s[26:27]
; %bb.4631:                             ;   in Loop: Header=BB6_4197 Depth=3
	v_bfe_u32 v3, v2, 21, 1
	v_add_co_u32_e64 v3, s[26:27], v2, v3
	v_add_co_u32_e64 v3, s[26:27], -1, v3
; %bb.4632:                             ;   in Loop: Header=BB6_4197 Depth=3
	s_or_b64 exec, exec, s[38:39]
	v_add_u32_e32 v4, 0xffffff81, v28
	v_mov_b32_e32 v28, 0xffffff82
	v_cndmask_b32_e32 v4, v4, v28, vcc
	v_lshrrev_b32_e32 v28, 23, v2
	v_add3_u32 v29, v29, v4, v28
	v_add_u32_e32 v28, 14, v29
	v_and_b32_e32 v3, 0x1fffff, v3
	v_add_u32_e32 v2, v3, v2
	v_mov_b32_e32 v3, v33
	v_cmp_ne_u32_e32 vcc, 0, v28
                                        ; implicit-def: $vgpr4
	s_and_saveexec_b64 s[26:27], vcc
	s_xor_b64 s[26:27], exec, s[26:27]
; %bb.4633:                             ;   in Loop: Header=BB6_4197 Depth=3
	v_cmp_lt_u64_e32 vcc, s[88:89], v[2:3]
	v_add_u32_e32 v4, 15, v29
	v_cndmask_b32_e32 v4, v28, v4, vcc
	v_cndmask_b32_e64 v28, 0, 1, vcc
	v_lshrrev_b64 v[2:3], v28, v[2:3]
; %bb.4634:                             ;   in Loop: Header=BB6_4197 Depth=3
	s_andn2_saveexec_b64 s[26:27], s[26:27]
; %bb.4635:                             ;   in Loop: Header=BB6_4197 Depth=3
	v_bfe_u32 v4, v2, 23, 1
; %bb.4636:                             ;   in Loop: Header=BB6_4197 Depth=3
	s_or_b64 exec, exec, s[26:27]
	v_lshrrev_b64 v[2:3], 21, v[2:3]
	v_cmp_gt_i32_e32 vcc, 32, v4
	v_cndmask_b32_e32 v3, 0, v3, vcc
	v_cndmask_b32_e32 v2, 3, v2, vcc
	v_cmp_ne_u64_e32 vcc, 0, v[2:3]
	v_cmp_ne_u32_e64 s[26:27], 0, v4
	s_or_b64 s[26:27], s[26:27], vcc
                                        ; implicit-def: $vgpr28
	s_and_saveexec_b64 s[62:63], s[26:27]
	s_xor_b64 s[26:27], exec, s[62:63]
; %bb.4637:                             ;   in Loop: Header=BB6_4197 Depth=3
	v_min_i32_e32 v3, 31, v4
	v_lshl_or_b32 v3, v3, 2, v24
	v_and_or_b32 v28, v2, 3, v3
                                        ; implicit-def: $vgpr24
; %bb.4638:                             ;   in Loop: Header=BB6_4197 Depth=3
	s_andn2_saveexec_b64 s[26:27], s[26:27]
; %bb.4639:                             ;   in Loop: Header=BB6_4197 Depth=3
	v_mov_b32_e32 v28, v24
; %bb.4640:                             ;   in Loop: Header=BB6_4197 Depth=3
	s_or_b64 exec, exec, s[26:27]
.LBB6_4641:                             ;   in Loop: Header=BB6_4197 Depth=3
	s_or_b64 exec, exec, s[36:37]
                                        ; implicit-def: $vgpr24
.LBB6_4642:                             ;   in Loop: Header=BB6_4197 Depth=3
	s_andn2_saveexec_b64 s[26:27], s[34:35]
; %bb.4643:                             ;   in Loop: Header=BB6_4197 Depth=3
	v_or_b32_e32 v28, 0x7b, v24
; %bb.4644:                             ;   in Loop: Header=BB6_4197 Depth=3
	s_or_b64 exec, exec, s[26:27]
                                        ; implicit-def: $vgpr4
                                        ; implicit-def: $vgpr2_vgpr3
.LBB6_4645:                             ;   in Loop: Header=BB6_4197 Depth=3
	s_andn2_saveexec_b64 s[26:27], s[30:31]
	s_cbranch_execz .LBB6_4651
; %bb.4646:                             ;   in Loop: Header=BB6_4197 Depth=3
	v_cmp_ne_u64_e32 vcc, 0, v[2:3]
                                        ; implicit-def: $vgpr28
	s_and_saveexec_b64 s[62:63], vcc
	s_xor_b64 vcc, exec, s[62:63]
; %bb.4647:                             ;   in Loop: Header=BB6_4197 Depth=3
	v_or_b32_sdwa v28, v4, s44 dst_sel:DWORD dst_unused:UNUSED_PAD src0_sel:BYTE_3 src1_sel:DWORD
                                        ; implicit-def: $vgpr4
; %bb.4648:                             ;   in Loop: Header=BB6_4197 Depth=3
	s_andn2_saveexec_b64 s[30:31], vcc
; %bb.4649:                             ;   in Loop: Header=BB6_4197 Depth=3
	v_cmp_lt_i32_e32 vcc, -1, v4
	v_mov_b32_e32 v2, 0x7c
	v_cndmask_b32_e32 v28, -4, v2, vcc
; %bb.4650:                             ;   in Loop: Header=BB6_4197 Depth=3
	s_or_b64 exec, exec, s[30:31]
.LBB6_4651:                             ;   in Loop: Header=BB6_4197 Depth=3
	s_or_b64 exec, exec, s[26:27]
	flat_load_sbyte v2, v[0:1] offset:896 glc slc
	v_mov_b32_e32 v3, 0
	s_waitcnt vmcnt(0) lgkmcnt(0)
	v_cmp_ne_u16_e32 vcc, 0, v2
	s_and_saveexec_b64 s[26:27], vcc
	s_cbranch_execz .LBB6_4659
; %bb.4652:                             ;   in Loop: Header=BB6_4197 Depth=3
	v_cmp_ne_u16_e32 vcc, s46, v2
	v_bfrev_b32_e32 v3, 1
	s_and_saveexec_b64 s[30:31], vcc
	s_cbranch_execz .LBB6_4658
; %bb.4653:                             ;   in Loop: Header=BB6_4197 Depth=3
	v_and_b32_e32 v3, 0x7c, v2
	v_and_b32_e32 v4, 3, v2
	v_cmp_ne_u32_e32 vcc, s86, v3
                                        ; implicit-def: $vgpr3
	s_and_saveexec_b64 s[62:63], vcc
	s_xor_b64 s[34:35], exec, s[62:63]
	s_cbranch_execz .LBB6_4655
; %bb.4654:                             ;   in Loop: Header=BB6_4197 Depth=3
	v_ffbh_u32_e32 v29, v4
	v_min_u32_e32 v31, 32, v29
	v_and_b32_e32 v24, 0xff, v2
	v_mov_b32_e32 v3, v33
	v_subrev_u32_e32 v29, 29, v31
	v_bfe_u32 v24, v24, 2, 5
	v_lshlrev_b64 v[29:30], v29, v[2:3]
	v_sub_u32_e32 v3, 30, v31
	v_cmp_eq_u32_e32 vcc, 0, v24
	v_and_b32_e32 v29, 3, v29
	v_cndmask_b32_e32 v3, v24, v3, vcc
	v_and_b32_sdwa v2, sext(v2), s87 dst_sel:DWORD dst_unused:UNUSED_PAD src0_sel:WORD_0 src1_sel:DWORD
	v_cndmask_b32_e32 v4, v4, v29, vcc
	v_lshl_add_u32 v2, v3, 23, v2
	v_lshl_or_b32 v2, v4, 21, v2
	v_add_u32_e32 v3, 0x38000000, v2
                                        ; implicit-def: $vgpr4
                                        ; implicit-def: $vgpr2
.LBB6_4655:                             ;   in Loop: Header=BB6_4197 Depth=3
	s_andn2_saveexec_b64 s[34:35], s[34:35]
; %bb.4656:                             ;   in Loop: Header=BB6_4197 Depth=3
	v_cmp_lt_i16_e32 vcc, -1, v2
	v_mov_b32_e32 v2, 0xff800000
	v_mov_b32_e32 v3, 0x7f800000
	v_cndmask_b32_e32 v2, v2, v3, vcc
	v_cmp_eq_u32_e32 vcc, 0, v4
	v_mov_b32_e32 v3, 0x7f800001
	v_cndmask_b32_e32 v3, v3, v2, vcc
; %bb.4657:                             ;   in Loop: Header=BB6_4197 Depth=3
	s_or_b64 exec, exec, s[34:35]
.LBB6_4658:                             ;   in Loop: Header=BB6_4197 Depth=3
	s_or_b64 exec, exec, s[30:31]
.LBB6_4659:                             ;   in Loop: Header=BB6_4197 Depth=3
	s_or_b64 exec, exec, s[26:27]
	v_mul_f32_e32 v4, v14, v3
	v_and_b32_e32 v29, 0x7f800000, v4
	v_mov_b32_e32 v30, v33
	v_cmp_ne_u64_e32 vcc, s[76:77], v[29:30]
	v_and_b32_e32 v2, 0x7fffff, v4
	v_mov_b32_e32 v3, v33
                                        ; implicit-def: $vgpr29
	s_and_saveexec_b64 s[26:27], vcc
	s_xor_b64 s[30:31], exec, s[26:27]
	s_cbranch_execz .LBB6_4677
; %bb.4660:                             ;   in Loop: Header=BB6_4197 Depth=3
	v_and_b32_e32 v29, 0x7fffffff, v4
	v_mov_b32_e32 v30, v33
	v_cmp_gt_u64_e32 vcc, s[78:79], v[29:30]
	v_and_b32_sdwa v24, v4, s97 dst_sel:DWORD dst_unused:UNUSED_PAD src0_sel:BYTE_3 src1_sel:DWORD
                                        ; implicit-def: $vgpr29
	s_and_saveexec_b64 s[26:27], vcc
	s_xor_b64 s[34:35], exec, s[26:27]
	s_cbranch_execz .LBB6_4674
; %bb.4661:                             ;   in Loop: Header=BB6_4197 Depth=3
	v_cmp_ne_u32_e32 vcc, 0, v4
	v_mov_b32_e32 v29, 0
	s_and_saveexec_b64 s[36:37], vcc
	s_cbranch_execz .LBB6_4673
; %bb.4662:                             ;   in Loop: Header=BB6_4197 Depth=3
	v_bfe_u32 v29, v4, 23, 8
	v_cmp_gt_u32_e64 s[26:27], s47, v29
	v_sub_u32_e32 v4, 0x71, v29
	v_cmp_eq_u32_e32 vcc, 0, v29
	v_cndmask_b32_e64 v4, 0, v4, s[26:27]
	v_mov_b32_e32 v30, 0x70
	v_cndmask_b32_e32 v30, v4, v30, vcc
	v_or_b32_e32 v31, 0x800000, v2
	v_add_u32_e32 v4, 21, v30
	v_cndmask_b32_e32 v2, v31, v2, vcc
	v_lshlrev_b64 v[31:32], v4, -1
	v_add_u32_e32 v4, 20, v30
	v_bfi_b32 v31, v31, 0, v2
	v_lshlrev_b64 v[34:35], v4, 1
	v_lshrrev_b64 v[2:3], v30, v[2:3]
	v_bfi_b32 v32, v32, 0, 0
	v_cmp_eq_u64_e64 s[26:27], v[31:32], v[34:35]
	v_mov_b32_e32 v4, v3
	v_mov_b32_e32 v3, v2
	s_and_saveexec_b64 s[38:39], s[26:27]
; %bb.4663:                             ;   in Loop: Header=BB6_4197 Depth=3
	v_bfe_u32 v3, v2, 21, 1
	v_add_co_u32_e64 v3, s[26:27], v2, v3
	v_add_co_u32_e64 v3, s[26:27], -1, v3
; %bb.4664:                             ;   in Loop: Header=BB6_4197 Depth=3
	s_or_b64 exec, exec, s[38:39]
	v_add_u32_e32 v4, 0xffffff81, v29
	v_mov_b32_e32 v29, 0xffffff82
	v_cndmask_b32_e32 v4, v4, v29, vcc
	v_lshrrev_b32_e32 v29, 23, v2
	v_add3_u32 v30, v30, v4, v29
	v_add_u32_e32 v29, 14, v30
	v_and_b32_e32 v3, 0x1fffff, v3
	v_add_u32_e32 v2, v3, v2
	v_mov_b32_e32 v3, v33
	v_cmp_ne_u32_e32 vcc, 0, v29
                                        ; implicit-def: $vgpr4
	s_and_saveexec_b64 s[26:27], vcc
	s_xor_b64 s[26:27], exec, s[26:27]
; %bb.4665:                             ;   in Loop: Header=BB6_4197 Depth=3
	v_cmp_lt_u64_e32 vcc, s[88:89], v[2:3]
	v_add_u32_e32 v4, 15, v30
	v_cndmask_b32_e32 v4, v29, v4, vcc
	v_cndmask_b32_e64 v29, 0, 1, vcc
	v_lshrrev_b64 v[2:3], v29, v[2:3]
; %bb.4666:                             ;   in Loop: Header=BB6_4197 Depth=3
	s_andn2_saveexec_b64 s[26:27], s[26:27]
; %bb.4667:                             ;   in Loop: Header=BB6_4197 Depth=3
	v_bfe_u32 v4, v2, 23, 1
; %bb.4668:                             ;   in Loop: Header=BB6_4197 Depth=3
	s_or_b64 exec, exec, s[26:27]
	v_lshrrev_b64 v[2:3], 21, v[2:3]
	v_cmp_gt_i32_e32 vcc, 32, v4
	v_cndmask_b32_e32 v3, 0, v3, vcc
	v_cndmask_b32_e32 v2, 3, v2, vcc
	v_cmp_ne_u64_e32 vcc, 0, v[2:3]
	v_cmp_ne_u32_e64 s[26:27], 0, v4
	s_or_b64 s[26:27], s[26:27], vcc
                                        ; implicit-def: $vgpr29
	s_and_saveexec_b64 s[62:63], s[26:27]
	s_xor_b64 s[26:27], exec, s[62:63]
; %bb.4669:                             ;   in Loop: Header=BB6_4197 Depth=3
	v_min_i32_e32 v3, 31, v4
	v_lshl_or_b32 v3, v3, 2, v24
	v_and_or_b32 v29, v2, 3, v3
                                        ; implicit-def: $vgpr24
; %bb.4670:                             ;   in Loop: Header=BB6_4197 Depth=3
	s_andn2_saveexec_b64 s[26:27], s[26:27]
; %bb.4671:                             ;   in Loop: Header=BB6_4197 Depth=3
	v_mov_b32_e32 v29, v24
; %bb.4672:                             ;   in Loop: Header=BB6_4197 Depth=3
	s_or_b64 exec, exec, s[26:27]
.LBB6_4673:                             ;   in Loop: Header=BB6_4197 Depth=3
	s_or_b64 exec, exec, s[36:37]
                                        ; implicit-def: $vgpr24
.LBB6_4674:                             ;   in Loop: Header=BB6_4197 Depth=3
	s_andn2_saveexec_b64 s[26:27], s[34:35]
; %bb.4675:                             ;   in Loop: Header=BB6_4197 Depth=3
	v_or_b32_e32 v29, 0x7b, v24
; %bb.4676:                             ;   in Loop: Header=BB6_4197 Depth=3
	s_or_b64 exec, exec, s[26:27]
                                        ; implicit-def: $vgpr4
                                        ; implicit-def: $vgpr2_vgpr3
.LBB6_4677:                             ;   in Loop: Header=BB6_4197 Depth=3
	s_andn2_saveexec_b64 s[26:27], s[30:31]
	s_cbranch_execz .LBB6_4683
; %bb.4678:                             ;   in Loop: Header=BB6_4197 Depth=3
	v_cmp_ne_u64_e32 vcc, 0, v[2:3]
                                        ; implicit-def: $vgpr29
	s_and_saveexec_b64 s[62:63], vcc
	s_xor_b64 vcc, exec, s[62:63]
; %bb.4679:                             ;   in Loop: Header=BB6_4197 Depth=3
	v_or_b32_sdwa v29, v4, s44 dst_sel:DWORD dst_unused:UNUSED_PAD src0_sel:BYTE_3 src1_sel:DWORD
                                        ; implicit-def: $vgpr4
; %bb.4680:                             ;   in Loop: Header=BB6_4197 Depth=3
	s_andn2_saveexec_b64 s[30:31], vcc
; %bb.4681:                             ;   in Loop: Header=BB6_4197 Depth=3
	v_cmp_lt_i32_e32 vcc, -1, v4
	v_mov_b32_e32 v2, 0x7c
	v_cndmask_b32_e32 v29, -4, v2, vcc
; %bb.4682:                             ;   in Loop: Header=BB6_4197 Depth=3
	s_or_b64 exec, exec, s[30:31]
.LBB6_4683:                             ;   in Loop: Header=BB6_4197 Depth=3
	s_or_b64 exec, exec, s[26:27]
	flat_load_sbyte v2, v[0:1] offset:960 glc slc
	v_mov_b32_e32 v3, 0
	s_waitcnt vmcnt(0) lgkmcnt(0)
	v_cmp_ne_u16_e32 vcc, 0, v2
	s_and_saveexec_b64 s[26:27], vcc
	s_cbranch_execz .LBB6_4691
; %bb.4684:                             ;   in Loop: Header=BB6_4197 Depth=3
	v_cmp_ne_u16_e32 vcc, s46, v2
	v_bfrev_b32_e32 v3, 1
	s_and_saveexec_b64 s[30:31], vcc
	s_cbranch_execz .LBB6_4690
; %bb.4685:                             ;   in Loop: Header=BB6_4197 Depth=3
	v_and_b32_e32 v3, 0x7c, v2
	v_and_b32_e32 v4, 3, v2
	v_cmp_ne_u32_e32 vcc, s86, v3
                                        ; implicit-def: $vgpr3
	s_and_saveexec_b64 s[62:63], vcc
	s_xor_b64 s[34:35], exec, s[62:63]
	s_cbranch_execz .LBB6_4687
; %bb.4686:                             ;   in Loop: Header=BB6_4197 Depth=3
	v_ffbh_u32_e32 v30, v4
	v_min_u32_e32 v32, 32, v30
	v_and_b32_e32 v24, 0xff, v2
	v_mov_b32_e32 v3, v33
	v_subrev_u32_e32 v30, 29, v32
	v_bfe_u32 v24, v24, 2, 5
	v_lshlrev_b64 v[30:31], v30, v[2:3]
	v_sub_u32_e32 v3, 30, v32
	v_cmp_eq_u32_e32 vcc, 0, v24
	v_and_b32_e32 v30, 3, v30
	v_cndmask_b32_e32 v3, v24, v3, vcc
	v_and_b32_sdwa v2, sext(v2), s87 dst_sel:DWORD dst_unused:UNUSED_PAD src0_sel:WORD_0 src1_sel:DWORD
	v_cndmask_b32_e32 v4, v4, v30, vcc
	v_lshl_add_u32 v2, v3, 23, v2
	v_lshl_or_b32 v2, v4, 21, v2
	v_add_u32_e32 v3, 0x38000000, v2
                                        ; implicit-def: $vgpr4
                                        ; implicit-def: $vgpr2
.LBB6_4687:                             ;   in Loop: Header=BB6_4197 Depth=3
	s_andn2_saveexec_b64 s[34:35], s[34:35]
; %bb.4688:                             ;   in Loop: Header=BB6_4197 Depth=3
	v_cmp_lt_i16_e32 vcc, -1, v2
	v_mov_b32_e32 v2, 0xff800000
	v_mov_b32_e32 v3, 0x7f800000
	v_cndmask_b32_e32 v2, v2, v3, vcc
	v_cmp_eq_u32_e32 vcc, 0, v4
	v_mov_b32_e32 v3, 0x7f800001
	v_cndmask_b32_e32 v3, v3, v2, vcc
; %bb.4689:                             ;   in Loop: Header=BB6_4197 Depth=3
	s_or_b64 exec, exec, s[34:35]
.LBB6_4690:                             ;   in Loop: Header=BB6_4197 Depth=3
	s_or_b64 exec, exec, s[30:31]
.LBB6_4691:                             ;   in Loop: Header=BB6_4197 Depth=3
	s_or_b64 exec, exec, s[26:27]
	v_mul_f32_e32 v4, v14, v3
	v_and_b32_e32 v30, 0x7f800000, v4
	v_mov_b32_e32 v31, v33
	v_cmp_ne_u64_e32 vcc, s[76:77], v[30:31]
	v_and_b32_e32 v2, 0x7fffff, v4
	v_mov_b32_e32 v3, v33
                                        ; implicit-def: $vgpr24
	s_and_saveexec_b64 s[26:27], vcc
	s_xor_b64 s[30:31], exec, s[26:27]
	s_cbranch_execz .LBB6_4709
; %bb.4692:                             ;   in Loop: Header=BB6_4197 Depth=3
	v_and_b32_e32 v30, 0x7fffffff, v4
	v_mov_b32_e32 v31, v33
	v_cmp_gt_u64_e32 vcc, s[78:79], v[30:31]
	v_and_b32_sdwa v30, v4, s97 dst_sel:DWORD dst_unused:UNUSED_PAD src0_sel:BYTE_3 src1_sel:DWORD
                                        ; implicit-def: $vgpr24
	s_and_saveexec_b64 s[26:27], vcc
	s_xor_b64 s[34:35], exec, s[26:27]
	s_cbranch_execz .LBB6_4706
; %bb.4693:                             ;   in Loop: Header=BB6_4197 Depth=3
	v_cmp_ne_u32_e32 vcc, 0, v4
	v_mov_b32_e32 v24, 0
	s_and_saveexec_b64 s[36:37], vcc
	s_cbranch_execz .LBB6_4705
; %bb.4694:                             ;   in Loop: Header=BB6_4197 Depth=3
	v_bfe_u32 v24, v4, 23, 8
	v_cmp_gt_u32_e64 s[26:27], s47, v24
	v_sub_u32_e32 v4, 0x71, v24
	v_cmp_eq_u32_e32 vcc, 0, v24
	v_cndmask_b32_e64 v4, 0, v4, s[26:27]
	v_mov_b32_e32 v31, 0x70
	v_cndmask_b32_e32 v31, v4, v31, vcc
	v_add_u32_e32 v4, 21, v31
	v_or_b32_e32 v32, 0x800000, v2
	v_lshlrev_b64 v[34:35], v4, -1
	v_cndmask_b32_e32 v2, v32, v2, vcc
	v_add_u32_e32 v4, 20, v31
	v_bfi_b32 v34, v34, 0, v2
	v_lshlrev_b64 v[36:37], v4, 1
	v_lshrrev_b64 v[2:3], v31, v[2:3]
	v_bfi_b32 v35, v35, 0, 0
	v_cmp_eq_u64_e64 s[26:27], v[34:35], v[36:37]
	v_mov_b32_e32 v4, v3
	v_mov_b32_e32 v3, v2
	s_and_saveexec_b64 s[38:39], s[26:27]
; %bb.4695:                             ;   in Loop: Header=BB6_4197 Depth=3
	v_bfe_u32 v3, v2, 21, 1
	v_add_co_u32_e64 v3, s[26:27], v2, v3
	v_add_co_u32_e64 v3, s[26:27], -1, v3
; %bb.4696:                             ;   in Loop: Header=BB6_4197 Depth=3
	s_or_b64 exec, exec, s[38:39]
	v_add_u32_e32 v4, 0xffffff81, v24
	v_mov_b32_e32 v24, 0xffffff82
	v_cndmask_b32_e32 v4, v4, v24, vcc
	v_lshrrev_b32_e32 v24, 23, v2
	v_add3_u32 v31, v31, v4, v24
	v_add_u32_e32 v24, 14, v31
	v_and_b32_e32 v3, 0x1fffff, v3
	v_add_u32_e32 v2, v3, v2
	v_mov_b32_e32 v3, v33
	v_cmp_ne_u32_e32 vcc, 0, v24
                                        ; implicit-def: $vgpr4
	s_and_saveexec_b64 s[26:27], vcc
	s_xor_b64 s[26:27], exec, s[26:27]
; %bb.4697:                             ;   in Loop: Header=BB6_4197 Depth=3
	v_cmp_lt_u64_e32 vcc, s[88:89], v[2:3]
	v_add_u32_e32 v4, 15, v31
	v_cndmask_b32_e32 v4, v24, v4, vcc
	v_cndmask_b32_e64 v24, 0, 1, vcc
	v_lshrrev_b64 v[2:3], v24, v[2:3]
; %bb.4698:                             ;   in Loop: Header=BB6_4197 Depth=3
	s_andn2_saveexec_b64 s[26:27], s[26:27]
; %bb.4699:                             ;   in Loop: Header=BB6_4197 Depth=3
	v_bfe_u32 v4, v2, 23, 1
; %bb.4700:                             ;   in Loop: Header=BB6_4197 Depth=3
	s_or_b64 exec, exec, s[26:27]
	v_lshrrev_b64 v[2:3], 21, v[2:3]
	v_cmp_gt_i32_e32 vcc, 32, v4
	v_cndmask_b32_e32 v3, 0, v3, vcc
	v_cndmask_b32_e32 v2, 3, v2, vcc
	v_cmp_ne_u64_e32 vcc, 0, v[2:3]
	v_cmp_ne_u32_e64 s[26:27], 0, v4
	s_or_b64 s[26:27], s[26:27], vcc
                                        ; implicit-def: $vgpr24
	s_and_saveexec_b64 s[62:63], s[26:27]
	s_xor_b64 s[26:27], exec, s[62:63]
; %bb.4701:                             ;   in Loop: Header=BB6_4197 Depth=3
	v_min_i32_e32 v3, 31, v4
	v_lshl_or_b32 v3, v3, 2, v30
	v_and_or_b32 v24, v2, 3, v3
                                        ; implicit-def: $vgpr30
; %bb.4702:                             ;   in Loop: Header=BB6_4197 Depth=3
	s_andn2_saveexec_b64 s[26:27], s[26:27]
; %bb.4703:                             ;   in Loop: Header=BB6_4197 Depth=3
	v_mov_b32_e32 v24, v30
; %bb.4704:                             ;   in Loop: Header=BB6_4197 Depth=3
	s_or_b64 exec, exec, s[26:27]
.LBB6_4705:                             ;   in Loop: Header=BB6_4197 Depth=3
	s_or_b64 exec, exec, s[36:37]
                                        ; implicit-def: $vgpr30
.LBB6_4706:                             ;   in Loop: Header=BB6_4197 Depth=3
	s_andn2_saveexec_b64 s[26:27], s[34:35]
; %bb.4707:                             ;   in Loop: Header=BB6_4197 Depth=3
	v_or_b32_e32 v24, 0x7b, v30
; %bb.4708:                             ;   in Loop: Header=BB6_4197 Depth=3
	s_or_b64 exec, exec, s[26:27]
                                        ; implicit-def: $vgpr4
                                        ; implicit-def: $vgpr2_vgpr3
.LBB6_4709:                             ;   in Loop: Header=BB6_4197 Depth=3
	s_andn2_saveexec_b64 s[26:27], s[30:31]
	s_cbranch_execz .LBB6_4715
; %bb.4710:                             ;   in Loop: Header=BB6_4197 Depth=3
	v_cmp_ne_u64_e32 vcc, 0, v[2:3]
                                        ; implicit-def: $vgpr24
	s_and_saveexec_b64 s[62:63], vcc
	s_xor_b64 vcc, exec, s[62:63]
; %bb.4711:                             ;   in Loop: Header=BB6_4197 Depth=3
	v_or_b32_sdwa v24, v4, s44 dst_sel:DWORD dst_unused:UNUSED_PAD src0_sel:BYTE_3 src1_sel:DWORD
                                        ; implicit-def: $vgpr4
; %bb.4712:                             ;   in Loop: Header=BB6_4197 Depth=3
	s_andn2_saveexec_b64 s[30:31], vcc
; %bb.4713:                             ;   in Loop: Header=BB6_4197 Depth=3
	v_cmp_lt_i32_e32 vcc, -1, v4
	v_mov_b32_e32 v2, 0x7c
	v_cndmask_b32_e32 v24, -4, v2, vcc
; %bb.4714:                             ;   in Loop: Header=BB6_4197 Depth=3
	s_or_b64 exec, exec, s[30:31]
.LBB6_4715:                             ;   in Loop: Header=BB6_4197 Depth=3
	s_or_b64 exec, exec, s[26:27]
	flat_load_sbyte v2, v[0:1] offset:1024 glc slc
	v_mov_b32_e32 v3, 0
	s_waitcnt vmcnt(0) lgkmcnt(0)
	v_cmp_ne_u16_e32 vcc, 0, v2
	s_and_saveexec_b64 s[26:27], vcc
	s_cbranch_execz .LBB6_4723
; %bb.4716:                             ;   in Loop: Header=BB6_4197 Depth=3
	v_cmp_ne_u16_e32 vcc, s46, v2
	v_bfrev_b32_e32 v3, 1
	s_and_saveexec_b64 s[30:31], vcc
	s_cbranch_execz .LBB6_4722
; %bb.4717:                             ;   in Loop: Header=BB6_4197 Depth=3
	v_and_b32_e32 v3, 0x7c, v2
	v_and_b32_e32 v4, 3, v2
	v_cmp_ne_u32_e32 vcc, s86, v3
                                        ; implicit-def: $vgpr3
	s_and_saveexec_b64 s[62:63], vcc
	s_xor_b64 s[34:35], exec, s[62:63]
	s_cbranch_execz .LBB6_4719
; %bb.4718:                             ;   in Loop: Header=BB6_4197 Depth=3
	v_and_b32_e32 v30, 0xff, v2
	v_bfe_u32 v32, v30, 2, 5
	v_ffbh_u32_e32 v30, v4
	v_min_u32_e32 v34, 32, v30
	v_mov_b32_e32 v3, v33
	v_subrev_u32_e32 v30, 29, v34
	v_lshlrev_b64 v[30:31], v30, v[2:3]
	v_sub_u32_e32 v3, 30, v34
	v_cmp_eq_u32_e32 vcc, 0, v32
	v_and_b32_e32 v30, 3, v30
	v_cndmask_b32_e32 v3, v32, v3, vcc
	v_and_b32_sdwa v2, sext(v2), s87 dst_sel:DWORD dst_unused:UNUSED_PAD src0_sel:WORD_0 src1_sel:DWORD
	v_cndmask_b32_e32 v4, v4, v30, vcc
	v_lshl_add_u32 v2, v3, 23, v2
	v_lshl_or_b32 v2, v4, 21, v2
	v_add_u32_e32 v3, 0x38000000, v2
                                        ; implicit-def: $vgpr4
                                        ; implicit-def: $vgpr2
.LBB6_4719:                             ;   in Loop: Header=BB6_4197 Depth=3
	s_andn2_saveexec_b64 s[34:35], s[34:35]
; %bb.4720:                             ;   in Loop: Header=BB6_4197 Depth=3
	v_cmp_lt_i16_e32 vcc, -1, v2
	v_mov_b32_e32 v2, 0xff800000
	v_mov_b32_e32 v3, 0x7f800000
	v_cndmask_b32_e32 v2, v2, v3, vcc
	v_cmp_eq_u32_e32 vcc, 0, v4
	v_mov_b32_e32 v3, 0x7f800001
	v_cndmask_b32_e32 v3, v3, v2, vcc
; %bb.4721:                             ;   in Loop: Header=BB6_4197 Depth=3
	s_or_b64 exec, exec, s[34:35]
.LBB6_4722:                             ;   in Loop: Header=BB6_4197 Depth=3
	s_or_b64 exec, exec, s[30:31]
.LBB6_4723:                             ;   in Loop: Header=BB6_4197 Depth=3
	s_or_b64 exec, exec, s[26:27]
	v_mul_f32_e32 v4, v14, v3
	v_and_b32_e32 v30, 0x7f800000, v4
	v_mov_b32_e32 v31, v33
	v_cmp_ne_u64_e32 vcc, s[76:77], v[30:31]
	v_and_b32_e32 v2, 0x7fffff, v4
	v_mov_b32_e32 v3, v33
                                        ; implicit-def: $vgpr30
	s_and_saveexec_b64 s[26:27], vcc
	s_xor_b64 s[30:31], exec, s[26:27]
	s_cbranch_execz .LBB6_4741
; %bb.4724:                             ;   in Loop: Header=BB6_4197 Depth=3
	v_and_b32_e32 v30, 0x7fffffff, v4
	v_mov_b32_e32 v31, v33
	v_cmp_gt_u64_e32 vcc, s[78:79], v[30:31]
	v_and_b32_sdwa v31, v4, s97 dst_sel:DWORD dst_unused:UNUSED_PAD src0_sel:BYTE_3 src1_sel:DWORD
                                        ; implicit-def: $vgpr30
	s_and_saveexec_b64 s[26:27], vcc
	s_xor_b64 s[34:35], exec, s[26:27]
	s_cbranch_execz .LBB6_4738
; %bb.4725:                             ;   in Loop: Header=BB6_4197 Depth=3
	v_cmp_ne_u32_e32 vcc, 0, v4
	v_mov_b32_e32 v30, 0
	s_and_saveexec_b64 s[36:37], vcc
	s_cbranch_execz .LBB6_4737
; %bb.4726:                             ;   in Loop: Header=BB6_4197 Depth=3
	v_bfe_u32 v30, v4, 23, 8
	v_cmp_gt_u32_e64 s[26:27], s47, v30
	v_sub_u32_e32 v4, 0x71, v30
	v_cmp_eq_u32_e32 vcc, 0, v30
	v_cndmask_b32_e64 v4, 0, v4, s[26:27]
	v_mov_b32_e32 v32, 0x70
	v_cndmask_b32_e32 v32, v4, v32, vcc
	v_or_b32_e32 v34, 0x800000, v2
	v_add_u32_e32 v4, 21, v32
	v_cndmask_b32_e32 v2, v34, v2, vcc
	v_lshlrev_b64 v[34:35], v4, -1
	v_add_u32_e32 v4, 20, v32
	v_bfi_b32 v34, v34, 0, v2
	v_lshlrev_b64 v[36:37], v4, 1
	v_lshrrev_b64 v[2:3], v32, v[2:3]
	v_bfi_b32 v35, v35, 0, 0
	v_cmp_eq_u64_e64 s[26:27], v[34:35], v[36:37]
	v_mov_b32_e32 v4, v3
	v_mov_b32_e32 v3, v2
	s_and_saveexec_b64 s[38:39], s[26:27]
; %bb.4727:                             ;   in Loop: Header=BB6_4197 Depth=3
	v_bfe_u32 v3, v2, 21, 1
	v_add_co_u32_e64 v3, s[26:27], v2, v3
	v_add_co_u32_e64 v3, s[26:27], -1, v3
; %bb.4728:                             ;   in Loop: Header=BB6_4197 Depth=3
	s_or_b64 exec, exec, s[38:39]
	v_add_u32_e32 v4, 0xffffff81, v30
	v_mov_b32_e32 v30, 0xffffff82
	v_cndmask_b32_e32 v4, v4, v30, vcc
	v_lshrrev_b32_e32 v30, 23, v2
	v_add3_u32 v32, v32, v4, v30
	v_add_u32_e32 v30, 14, v32
	v_and_b32_e32 v3, 0x1fffff, v3
	v_add_u32_e32 v2, v3, v2
	v_mov_b32_e32 v3, v33
	v_cmp_ne_u32_e32 vcc, 0, v30
                                        ; implicit-def: $vgpr4
	s_and_saveexec_b64 s[26:27], vcc
	s_xor_b64 s[26:27], exec, s[26:27]
; %bb.4729:                             ;   in Loop: Header=BB6_4197 Depth=3
	v_cmp_lt_u64_e32 vcc, s[88:89], v[2:3]
	v_add_u32_e32 v4, 15, v32
	v_cndmask_b32_e32 v4, v30, v4, vcc
	v_cndmask_b32_e64 v30, 0, 1, vcc
	v_lshrrev_b64 v[2:3], v30, v[2:3]
; %bb.4730:                             ;   in Loop: Header=BB6_4197 Depth=3
	s_andn2_saveexec_b64 s[26:27], s[26:27]
; %bb.4731:                             ;   in Loop: Header=BB6_4197 Depth=3
	v_bfe_u32 v4, v2, 23, 1
; %bb.4732:                             ;   in Loop: Header=BB6_4197 Depth=3
	s_or_b64 exec, exec, s[26:27]
	v_lshrrev_b64 v[2:3], 21, v[2:3]
	v_cmp_gt_i32_e32 vcc, 32, v4
	v_cndmask_b32_e32 v3, 0, v3, vcc
	v_cndmask_b32_e32 v2, 3, v2, vcc
	v_cmp_ne_u64_e32 vcc, 0, v[2:3]
	v_cmp_ne_u32_e64 s[26:27], 0, v4
	s_or_b64 s[26:27], s[26:27], vcc
                                        ; implicit-def: $vgpr30
	s_and_saveexec_b64 s[62:63], s[26:27]
	s_xor_b64 s[26:27], exec, s[62:63]
; %bb.4733:                             ;   in Loop: Header=BB6_4197 Depth=3
	v_min_i32_e32 v3, 31, v4
	v_lshl_or_b32 v3, v3, 2, v31
	v_and_or_b32 v30, v2, 3, v3
                                        ; implicit-def: $vgpr31
; %bb.4734:                             ;   in Loop: Header=BB6_4197 Depth=3
	s_andn2_saveexec_b64 s[26:27], s[26:27]
; %bb.4735:                             ;   in Loop: Header=BB6_4197 Depth=3
	v_mov_b32_e32 v30, v31
; %bb.4736:                             ;   in Loop: Header=BB6_4197 Depth=3
	s_or_b64 exec, exec, s[26:27]
.LBB6_4737:                             ;   in Loop: Header=BB6_4197 Depth=3
	s_or_b64 exec, exec, s[36:37]
                                        ; implicit-def: $vgpr31
.LBB6_4738:                             ;   in Loop: Header=BB6_4197 Depth=3
	s_andn2_saveexec_b64 s[26:27], s[34:35]
; %bb.4739:                             ;   in Loop: Header=BB6_4197 Depth=3
	v_or_b32_e32 v30, 0x7b, v31
; %bb.4740:                             ;   in Loop: Header=BB6_4197 Depth=3
	s_or_b64 exec, exec, s[26:27]
                                        ; implicit-def: $vgpr4
                                        ; implicit-def: $vgpr2_vgpr3
.LBB6_4741:                             ;   in Loop: Header=BB6_4197 Depth=3
	s_andn2_saveexec_b64 s[26:27], s[30:31]
	s_cbranch_execz .LBB6_4747
; %bb.4742:                             ;   in Loop: Header=BB6_4197 Depth=3
	v_cmp_ne_u64_e32 vcc, 0, v[2:3]
                                        ; implicit-def: $vgpr30
	s_and_saveexec_b64 s[62:63], vcc
	s_xor_b64 vcc, exec, s[62:63]
; %bb.4743:                             ;   in Loop: Header=BB6_4197 Depth=3
	v_or_b32_sdwa v30, v4, s44 dst_sel:DWORD dst_unused:UNUSED_PAD src0_sel:BYTE_3 src1_sel:DWORD
                                        ; implicit-def: $vgpr4
; %bb.4744:                             ;   in Loop: Header=BB6_4197 Depth=3
	s_andn2_saveexec_b64 s[30:31], vcc
; %bb.4745:                             ;   in Loop: Header=BB6_4197 Depth=3
	v_cmp_lt_i32_e32 vcc, -1, v4
	v_mov_b32_e32 v2, 0x7c
	v_cndmask_b32_e32 v30, -4, v2, vcc
; %bb.4746:                             ;   in Loop: Header=BB6_4197 Depth=3
	s_or_b64 exec, exec, s[30:31]
.LBB6_4747:                             ;   in Loop: Header=BB6_4197 Depth=3
	s_or_b64 exec, exec, s[26:27]
	flat_load_sbyte v2, v[0:1] offset:1088 glc slc
	v_mov_b32_e32 v3, 0
	s_waitcnt vmcnt(0) lgkmcnt(0)
	v_cmp_ne_u16_e32 vcc, 0, v2
	s_and_saveexec_b64 s[26:27], vcc
	s_cbranch_execz .LBB6_4755
; %bb.4748:                             ;   in Loop: Header=BB6_4197 Depth=3
	v_cmp_ne_u16_e32 vcc, s46, v2
	v_bfrev_b32_e32 v3, 1
	s_and_saveexec_b64 s[30:31], vcc
	s_cbranch_execz .LBB6_4754
; %bb.4749:                             ;   in Loop: Header=BB6_4197 Depth=3
	v_and_b32_e32 v3, 0x7c, v2
	v_and_b32_e32 v4, 3, v2
	v_cmp_ne_u32_e32 vcc, s86, v3
                                        ; implicit-def: $vgpr3
	s_and_saveexec_b64 s[62:63], vcc
	s_xor_b64 s[34:35], exec, s[62:63]
	s_cbranch_execz .LBB6_4751
; %bb.4750:                             ;   in Loop: Header=BB6_4197 Depth=3
	v_and_b32_e32 v31, 0xff, v2
	v_bfe_u32 v34, v31, 2, 5
	v_ffbh_u32_e32 v31, v4
	v_min_u32_e32 v35, 32, v31
	v_mov_b32_e32 v3, v33
	v_subrev_u32_e32 v31, 29, v35
	v_lshlrev_b64 v[31:32], v31, v[2:3]
	v_sub_u32_e32 v3, 30, v35
	v_cmp_eq_u32_e32 vcc, 0, v34
	v_and_b32_e32 v31, 3, v31
	v_cndmask_b32_e32 v3, v34, v3, vcc
	v_and_b32_sdwa v2, sext(v2), s87 dst_sel:DWORD dst_unused:UNUSED_PAD src0_sel:WORD_0 src1_sel:DWORD
	v_cndmask_b32_e32 v4, v4, v31, vcc
	v_lshl_add_u32 v2, v3, 23, v2
	v_lshl_or_b32 v2, v4, 21, v2
	v_add_u32_e32 v3, 0x38000000, v2
                                        ; implicit-def: $vgpr4
                                        ; implicit-def: $vgpr2
.LBB6_4751:                             ;   in Loop: Header=BB6_4197 Depth=3
	s_andn2_saveexec_b64 s[34:35], s[34:35]
; %bb.4752:                             ;   in Loop: Header=BB6_4197 Depth=3
	v_cmp_lt_i16_e32 vcc, -1, v2
	v_mov_b32_e32 v2, 0xff800000
	v_mov_b32_e32 v3, 0x7f800000
	v_cndmask_b32_e32 v2, v2, v3, vcc
	v_cmp_eq_u32_e32 vcc, 0, v4
	v_mov_b32_e32 v3, 0x7f800001
	v_cndmask_b32_e32 v3, v3, v2, vcc
; %bb.4753:                             ;   in Loop: Header=BB6_4197 Depth=3
	s_or_b64 exec, exec, s[34:35]
.LBB6_4754:                             ;   in Loop: Header=BB6_4197 Depth=3
	s_or_b64 exec, exec, s[30:31]
.LBB6_4755:                             ;   in Loop: Header=BB6_4197 Depth=3
	s_or_b64 exec, exec, s[26:27]
	v_mul_f32_e32 v4, v14, v3
	v_and_b32_e32 v31, 0x7f800000, v4
	v_mov_b32_e32 v32, v33
	v_cmp_ne_u64_e32 vcc, s[76:77], v[31:32]
	v_and_b32_e32 v2, 0x7fffff, v4
	v_mov_b32_e32 v3, v33
                                        ; implicit-def: $vgpr31
	s_and_saveexec_b64 s[26:27], vcc
	s_xor_b64 s[30:31], exec, s[26:27]
	s_cbranch_execz .LBB6_4773
; %bb.4756:                             ;   in Loop: Header=BB6_4197 Depth=3
	v_and_b32_e32 v31, 0x7fffffff, v4
	v_mov_b32_e32 v32, v33
	v_cmp_gt_u64_e32 vcc, s[78:79], v[31:32]
	v_and_b32_sdwa v32, v4, s97 dst_sel:DWORD dst_unused:UNUSED_PAD src0_sel:BYTE_3 src1_sel:DWORD
                                        ; implicit-def: $vgpr31
	s_and_saveexec_b64 s[26:27], vcc
	s_xor_b64 s[34:35], exec, s[26:27]
	s_cbranch_execz .LBB6_4770
; %bb.4757:                             ;   in Loop: Header=BB6_4197 Depth=3
	v_cmp_ne_u32_e32 vcc, 0, v4
	v_mov_b32_e32 v31, 0
	s_and_saveexec_b64 s[36:37], vcc
	s_cbranch_execz .LBB6_4769
; %bb.4758:                             ;   in Loop: Header=BB6_4197 Depth=3
	v_bfe_u32 v31, v4, 23, 8
	v_cmp_gt_u32_e64 s[26:27], s47, v31
	v_sub_u32_e32 v4, 0x71, v31
	v_cmp_eq_u32_e32 vcc, 0, v31
	v_cndmask_b32_e64 v4, 0, v4, s[26:27]
	v_mov_b32_e32 v34, 0x70
	v_cndmask_b32_e32 v34, v4, v34, vcc
	v_or_b32_e32 v35, 0x800000, v2
	v_add_u32_e32 v4, 21, v34
	v_cndmask_b32_e32 v2, v35, v2, vcc
	v_lshlrev_b64 v[35:36], v4, -1
	v_add_u32_e32 v4, 20, v34
	v_bfi_b32 v35, v35, 0, v2
	v_lshlrev_b64 v[37:38], v4, 1
	v_lshrrev_b64 v[2:3], v34, v[2:3]
	v_bfi_b32 v36, v36, 0, 0
	v_cmp_eq_u64_e64 s[26:27], v[35:36], v[37:38]
	v_mov_b32_e32 v4, v3
	v_mov_b32_e32 v3, v2
	s_and_saveexec_b64 s[38:39], s[26:27]
; %bb.4759:                             ;   in Loop: Header=BB6_4197 Depth=3
	v_bfe_u32 v3, v2, 21, 1
	v_add_co_u32_e64 v3, s[26:27], v2, v3
	v_add_co_u32_e64 v3, s[26:27], -1, v3
; %bb.4760:                             ;   in Loop: Header=BB6_4197 Depth=3
	s_or_b64 exec, exec, s[38:39]
	v_add_u32_e32 v4, 0xffffff81, v31
	v_mov_b32_e32 v31, 0xffffff82
	v_cndmask_b32_e32 v4, v4, v31, vcc
	v_lshrrev_b32_e32 v31, 23, v2
	v_add3_u32 v34, v34, v4, v31
	v_add_u32_e32 v31, 14, v34
	v_and_b32_e32 v3, 0x1fffff, v3
	v_add_u32_e32 v2, v3, v2
	v_mov_b32_e32 v3, v33
	v_cmp_ne_u32_e32 vcc, 0, v31
                                        ; implicit-def: $vgpr4
	s_and_saveexec_b64 s[26:27], vcc
	s_xor_b64 s[26:27], exec, s[26:27]
; %bb.4761:                             ;   in Loop: Header=BB6_4197 Depth=3
	v_cmp_lt_u64_e32 vcc, s[88:89], v[2:3]
	v_add_u32_e32 v4, 15, v34
	v_cndmask_b32_e32 v4, v31, v4, vcc
	v_cndmask_b32_e64 v31, 0, 1, vcc
	v_lshrrev_b64 v[2:3], v31, v[2:3]
; %bb.4762:                             ;   in Loop: Header=BB6_4197 Depth=3
	s_andn2_saveexec_b64 s[26:27], s[26:27]
; %bb.4763:                             ;   in Loop: Header=BB6_4197 Depth=3
	v_bfe_u32 v4, v2, 23, 1
; %bb.4764:                             ;   in Loop: Header=BB6_4197 Depth=3
	s_or_b64 exec, exec, s[26:27]
	v_lshrrev_b64 v[2:3], 21, v[2:3]
	v_cmp_gt_i32_e32 vcc, 32, v4
	v_cndmask_b32_e32 v3, 0, v3, vcc
	v_cndmask_b32_e32 v2, 3, v2, vcc
	v_cmp_ne_u64_e32 vcc, 0, v[2:3]
	v_cmp_ne_u32_e64 s[26:27], 0, v4
	s_or_b64 s[26:27], s[26:27], vcc
                                        ; implicit-def: $vgpr31
	s_and_saveexec_b64 s[62:63], s[26:27]
	s_xor_b64 s[26:27], exec, s[62:63]
; %bb.4765:                             ;   in Loop: Header=BB6_4197 Depth=3
	v_min_i32_e32 v3, 31, v4
	v_lshl_or_b32 v3, v3, 2, v32
	v_and_or_b32 v31, v2, 3, v3
                                        ; implicit-def: $vgpr32
; %bb.4766:                             ;   in Loop: Header=BB6_4197 Depth=3
	s_andn2_saveexec_b64 s[26:27], s[26:27]
; %bb.4767:                             ;   in Loop: Header=BB6_4197 Depth=3
	v_mov_b32_e32 v31, v32
; %bb.4768:                             ;   in Loop: Header=BB6_4197 Depth=3
	s_or_b64 exec, exec, s[26:27]
.LBB6_4769:                             ;   in Loop: Header=BB6_4197 Depth=3
	s_or_b64 exec, exec, s[36:37]
                                        ; implicit-def: $vgpr32
.LBB6_4770:                             ;   in Loop: Header=BB6_4197 Depth=3
	s_andn2_saveexec_b64 s[26:27], s[34:35]
; %bb.4771:                             ;   in Loop: Header=BB6_4197 Depth=3
	v_or_b32_e32 v31, 0x7b, v32
; %bb.4772:                             ;   in Loop: Header=BB6_4197 Depth=3
	s_or_b64 exec, exec, s[26:27]
                                        ; implicit-def: $vgpr4
                                        ; implicit-def: $vgpr2_vgpr3
.LBB6_4773:                             ;   in Loop: Header=BB6_4197 Depth=3
	s_andn2_saveexec_b64 s[26:27], s[30:31]
	s_cbranch_execz .LBB6_4779
; %bb.4774:                             ;   in Loop: Header=BB6_4197 Depth=3
	v_cmp_ne_u64_e32 vcc, 0, v[2:3]
                                        ; implicit-def: $vgpr31
	s_and_saveexec_b64 s[62:63], vcc
	s_xor_b64 vcc, exec, s[62:63]
; %bb.4775:                             ;   in Loop: Header=BB6_4197 Depth=3
	v_or_b32_sdwa v31, v4, s44 dst_sel:DWORD dst_unused:UNUSED_PAD src0_sel:BYTE_3 src1_sel:DWORD
                                        ; implicit-def: $vgpr4
; %bb.4776:                             ;   in Loop: Header=BB6_4197 Depth=3
	s_andn2_saveexec_b64 s[30:31], vcc
; %bb.4777:                             ;   in Loop: Header=BB6_4197 Depth=3
	v_cmp_lt_i32_e32 vcc, -1, v4
	v_mov_b32_e32 v2, 0x7c
	v_cndmask_b32_e32 v31, -4, v2, vcc
; %bb.4778:                             ;   in Loop: Header=BB6_4197 Depth=3
	s_or_b64 exec, exec, s[30:31]
.LBB6_4779:                             ;   in Loop: Header=BB6_4197 Depth=3
	s_or_b64 exec, exec, s[26:27]
	flat_load_sbyte v2, v[0:1] offset:1152 glc slc
	v_mov_b32_e32 v3, 0
	s_waitcnt vmcnt(0) lgkmcnt(0)
	v_cmp_ne_u16_e32 vcc, 0, v2
	s_and_saveexec_b64 s[26:27], vcc
	s_cbranch_execz .LBB6_4787
; %bb.4780:                             ;   in Loop: Header=BB6_4197 Depth=3
	v_cmp_ne_u16_e32 vcc, s46, v2
	v_bfrev_b32_e32 v3, 1
	s_and_saveexec_b64 s[30:31], vcc
	s_cbranch_execz .LBB6_4786
; %bb.4781:                             ;   in Loop: Header=BB6_4197 Depth=3
	v_and_b32_e32 v3, 0x7c, v2
	v_and_b32_e32 v4, 3, v2
	v_cmp_ne_u32_e32 vcc, s86, v3
                                        ; implicit-def: $vgpr3
	s_and_saveexec_b64 s[62:63], vcc
	s_xor_b64 s[34:35], exec, s[62:63]
	s_cbranch_execz .LBB6_4783
; %bb.4782:                             ;   in Loop: Header=BB6_4197 Depth=3
	v_ffbh_u32_e32 v34, v4
	v_min_u32_e32 v36, 32, v34
	v_and_b32_e32 v32, 0xff, v2
	v_mov_b32_e32 v3, v33
	v_subrev_u32_e32 v34, 29, v36
	v_bfe_u32 v32, v32, 2, 5
	v_lshlrev_b64 v[34:35], v34, v[2:3]
	v_sub_u32_e32 v3, 30, v36
	v_cmp_eq_u32_e32 vcc, 0, v32
	v_and_b32_e32 v34, 3, v34
	v_cndmask_b32_e32 v3, v32, v3, vcc
	v_and_b32_sdwa v2, sext(v2), s87 dst_sel:DWORD dst_unused:UNUSED_PAD src0_sel:WORD_0 src1_sel:DWORD
	v_cndmask_b32_e32 v4, v4, v34, vcc
	v_lshl_add_u32 v2, v3, 23, v2
	v_lshl_or_b32 v2, v4, 21, v2
	v_add_u32_e32 v3, 0x38000000, v2
                                        ; implicit-def: $vgpr4
                                        ; implicit-def: $vgpr2
.LBB6_4783:                             ;   in Loop: Header=BB6_4197 Depth=3
	s_andn2_saveexec_b64 s[34:35], s[34:35]
; %bb.4784:                             ;   in Loop: Header=BB6_4197 Depth=3
	v_cmp_lt_i16_e32 vcc, -1, v2
	v_mov_b32_e32 v2, 0xff800000
	v_mov_b32_e32 v3, 0x7f800000
	v_cndmask_b32_e32 v2, v2, v3, vcc
	v_cmp_eq_u32_e32 vcc, 0, v4
	v_mov_b32_e32 v3, 0x7f800001
	v_cndmask_b32_e32 v3, v3, v2, vcc
; %bb.4785:                             ;   in Loop: Header=BB6_4197 Depth=3
	s_or_b64 exec, exec, s[34:35]
.LBB6_4786:                             ;   in Loop: Header=BB6_4197 Depth=3
	s_or_b64 exec, exec, s[30:31]
.LBB6_4787:                             ;   in Loop: Header=BB6_4197 Depth=3
	s_or_b64 exec, exec, s[26:27]
	v_mul_f32_e32 v4, v14, v3
	v_and_b32_e32 v34, 0x7f800000, v4
	v_mov_b32_e32 v35, v33
	v_cmp_ne_u64_e32 vcc, s[76:77], v[34:35]
	v_and_b32_e32 v2, 0x7fffff, v4
	v_mov_b32_e32 v3, v33
                                        ; implicit-def: $vgpr32
	s_and_saveexec_b64 s[26:27], vcc
	s_xor_b64 s[30:31], exec, s[26:27]
	s_cbranch_execz .LBB6_4805
; %bb.4788:                             ;   in Loop: Header=BB6_4197 Depth=3
	v_and_b32_e32 v34, 0x7fffffff, v4
	v_mov_b32_e32 v35, v33
	v_cmp_gt_u64_e32 vcc, s[78:79], v[34:35]
	v_and_b32_sdwa v34, v4, s97 dst_sel:DWORD dst_unused:UNUSED_PAD src0_sel:BYTE_3 src1_sel:DWORD
                                        ; implicit-def: $vgpr32
	s_and_saveexec_b64 s[26:27], vcc
	s_xor_b64 s[34:35], exec, s[26:27]
	s_cbranch_execz .LBB6_4802
; %bb.4789:                             ;   in Loop: Header=BB6_4197 Depth=3
	v_cmp_ne_u32_e32 vcc, 0, v4
	v_mov_b32_e32 v32, 0
	s_and_saveexec_b64 s[36:37], vcc
	s_cbranch_execz .LBB6_4801
; %bb.4790:                             ;   in Loop: Header=BB6_4197 Depth=3
	v_bfe_u32 v32, v4, 23, 8
	v_cmp_gt_u32_e64 s[26:27], s47, v32
	v_sub_u32_e32 v4, 0x71, v32
	v_cmp_eq_u32_e32 vcc, 0, v32
	v_cndmask_b32_e64 v4, 0, v4, s[26:27]
	v_mov_b32_e32 v35, 0x70
	v_cndmask_b32_e32 v35, v4, v35, vcc
	v_or_b32_e32 v36, 0x800000, v2
	v_add_u32_e32 v4, 21, v35
	v_cndmask_b32_e32 v2, v36, v2, vcc
	v_lshlrev_b64 v[36:37], v4, -1
	v_add_u32_e32 v4, 20, v35
	v_bfi_b32 v36, v36, 0, v2
	v_lshlrev_b64 v[38:39], v4, 1
	v_lshrrev_b64 v[2:3], v35, v[2:3]
	v_bfi_b32 v37, v37, 0, 0
	v_cmp_eq_u64_e64 s[26:27], v[36:37], v[38:39]
	v_mov_b32_e32 v4, v3
	v_mov_b32_e32 v3, v2
	s_and_saveexec_b64 s[38:39], s[26:27]
; %bb.4791:                             ;   in Loop: Header=BB6_4197 Depth=3
	v_bfe_u32 v3, v2, 21, 1
	v_add_co_u32_e64 v3, s[26:27], v2, v3
	v_add_co_u32_e64 v3, s[26:27], -1, v3
; %bb.4792:                             ;   in Loop: Header=BB6_4197 Depth=3
	s_or_b64 exec, exec, s[38:39]
	v_add_u32_e32 v4, 0xffffff81, v32
	v_mov_b32_e32 v32, 0xffffff82
	v_cndmask_b32_e32 v4, v4, v32, vcc
	v_lshrrev_b32_e32 v32, 23, v2
	v_add3_u32 v35, v35, v4, v32
	v_add_u32_e32 v32, 14, v35
	v_and_b32_e32 v3, 0x1fffff, v3
	v_add_u32_e32 v2, v3, v2
	v_mov_b32_e32 v3, v33
	v_cmp_ne_u32_e32 vcc, 0, v32
                                        ; implicit-def: $vgpr4
	s_and_saveexec_b64 s[26:27], vcc
	s_xor_b64 s[26:27], exec, s[26:27]
; %bb.4793:                             ;   in Loop: Header=BB6_4197 Depth=3
	v_cmp_lt_u64_e32 vcc, s[88:89], v[2:3]
	v_add_u32_e32 v4, 15, v35
	v_cndmask_b32_e32 v4, v32, v4, vcc
	v_cndmask_b32_e64 v32, 0, 1, vcc
	v_lshrrev_b64 v[2:3], v32, v[2:3]
; %bb.4794:                             ;   in Loop: Header=BB6_4197 Depth=3
	s_andn2_saveexec_b64 s[26:27], s[26:27]
; %bb.4795:                             ;   in Loop: Header=BB6_4197 Depth=3
	v_bfe_u32 v4, v2, 23, 1
; %bb.4796:                             ;   in Loop: Header=BB6_4197 Depth=3
	s_or_b64 exec, exec, s[26:27]
	v_lshrrev_b64 v[2:3], 21, v[2:3]
	v_cmp_gt_i32_e32 vcc, 32, v4
	v_cndmask_b32_e32 v3, 0, v3, vcc
	v_cndmask_b32_e32 v2, 3, v2, vcc
	v_cmp_ne_u64_e32 vcc, 0, v[2:3]
	v_cmp_ne_u32_e64 s[26:27], 0, v4
	s_or_b64 s[26:27], s[26:27], vcc
                                        ; implicit-def: $vgpr32
	s_and_saveexec_b64 s[62:63], s[26:27]
	s_xor_b64 s[26:27], exec, s[62:63]
; %bb.4797:                             ;   in Loop: Header=BB6_4197 Depth=3
	v_min_i32_e32 v3, 31, v4
	v_lshl_or_b32 v3, v3, 2, v34
	v_and_or_b32 v32, v2, 3, v3
                                        ; implicit-def: $vgpr34
; %bb.4798:                             ;   in Loop: Header=BB6_4197 Depth=3
	s_andn2_saveexec_b64 s[26:27], s[26:27]
; %bb.4799:                             ;   in Loop: Header=BB6_4197 Depth=3
	v_mov_b32_e32 v32, v34
; %bb.4800:                             ;   in Loop: Header=BB6_4197 Depth=3
	s_or_b64 exec, exec, s[26:27]
.LBB6_4801:                             ;   in Loop: Header=BB6_4197 Depth=3
	s_or_b64 exec, exec, s[36:37]
                                        ; implicit-def: $vgpr34
.LBB6_4802:                             ;   in Loop: Header=BB6_4197 Depth=3
	s_andn2_saveexec_b64 s[26:27], s[34:35]
; %bb.4803:                             ;   in Loop: Header=BB6_4197 Depth=3
	v_or_b32_e32 v32, 0x7b, v34
; %bb.4804:                             ;   in Loop: Header=BB6_4197 Depth=3
	s_or_b64 exec, exec, s[26:27]
                                        ; implicit-def: $vgpr4
                                        ; implicit-def: $vgpr2_vgpr3
.LBB6_4805:                             ;   in Loop: Header=BB6_4197 Depth=3
	s_andn2_saveexec_b64 s[26:27], s[30:31]
	s_cbranch_execz .LBB6_4811
; %bb.4806:                             ;   in Loop: Header=BB6_4197 Depth=3
	v_cmp_ne_u64_e32 vcc, 0, v[2:3]
                                        ; implicit-def: $vgpr32
	s_and_saveexec_b64 s[62:63], vcc
	s_xor_b64 vcc, exec, s[62:63]
; %bb.4807:                             ;   in Loop: Header=BB6_4197 Depth=3
	v_or_b32_sdwa v32, v4, s44 dst_sel:DWORD dst_unused:UNUSED_PAD src0_sel:BYTE_3 src1_sel:DWORD
                                        ; implicit-def: $vgpr4
; %bb.4808:                             ;   in Loop: Header=BB6_4197 Depth=3
	s_andn2_saveexec_b64 s[30:31], vcc
; %bb.4809:                             ;   in Loop: Header=BB6_4197 Depth=3
	v_cmp_lt_i32_e32 vcc, -1, v4
	v_mov_b32_e32 v2, 0x7c
	v_cndmask_b32_e32 v32, -4, v2, vcc
; %bb.4810:                             ;   in Loop: Header=BB6_4197 Depth=3
	s_or_b64 exec, exec, s[30:31]
.LBB6_4811:                             ;   in Loop: Header=BB6_4197 Depth=3
	s_or_b64 exec, exec, s[26:27]
	flat_load_sbyte v2, v[0:1] offset:1216 glc slc
	v_mov_b32_e32 v3, 0
	s_waitcnt vmcnt(0) lgkmcnt(0)
	v_cmp_ne_u16_e32 vcc, 0, v2
	s_and_saveexec_b64 s[26:27], vcc
	s_cbranch_execz .LBB6_4819
; %bb.4812:                             ;   in Loop: Header=BB6_4197 Depth=3
	v_cmp_ne_u16_e32 vcc, s46, v2
	v_bfrev_b32_e32 v3, 1
	s_and_saveexec_b64 s[30:31], vcc
	s_cbranch_execz .LBB6_4818
; %bb.4813:                             ;   in Loop: Header=BB6_4197 Depth=3
	v_and_b32_e32 v3, 0x7c, v2
	v_and_b32_e32 v4, 3, v2
	v_cmp_ne_u32_e32 vcc, s86, v3
                                        ; implicit-def: $vgpr3
	s_and_saveexec_b64 s[62:63], vcc
	s_xor_b64 s[34:35], exec, s[62:63]
	s_cbranch_execz .LBB6_4815
; %bb.4814:                             ;   in Loop: Header=BB6_4197 Depth=3
	v_and_b32_e32 v34, 0xff, v2
	v_bfe_u32 v36, v34, 2, 5
	v_ffbh_u32_e32 v34, v4
	v_min_u32_e32 v37, 32, v34
	v_mov_b32_e32 v3, v33
	v_subrev_u32_e32 v34, 29, v37
	v_lshlrev_b64 v[34:35], v34, v[2:3]
	v_sub_u32_e32 v3, 30, v37
	v_cmp_eq_u32_e32 vcc, 0, v36
	v_and_b32_e32 v34, 3, v34
	v_cndmask_b32_e32 v3, v36, v3, vcc
	v_and_b32_sdwa v2, sext(v2), s87 dst_sel:DWORD dst_unused:UNUSED_PAD src0_sel:WORD_0 src1_sel:DWORD
	v_cndmask_b32_e32 v4, v4, v34, vcc
	v_lshl_add_u32 v2, v3, 23, v2
	v_lshl_or_b32 v2, v4, 21, v2
	v_add_u32_e32 v3, 0x38000000, v2
                                        ; implicit-def: $vgpr4
                                        ; implicit-def: $vgpr2
.LBB6_4815:                             ;   in Loop: Header=BB6_4197 Depth=3
	s_andn2_saveexec_b64 s[34:35], s[34:35]
; %bb.4816:                             ;   in Loop: Header=BB6_4197 Depth=3
	v_cmp_lt_i16_e32 vcc, -1, v2
	v_mov_b32_e32 v2, 0xff800000
	v_mov_b32_e32 v3, 0x7f800000
	v_cndmask_b32_e32 v2, v2, v3, vcc
	v_cmp_eq_u32_e32 vcc, 0, v4
	v_mov_b32_e32 v3, 0x7f800001
	v_cndmask_b32_e32 v3, v3, v2, vcc
; %bb.4817:                             ;   in Loop: Header=BB6_4197 Depth=3
	s_or_b64 exec, exec, s[34:35]
.LBB6_4818:                             ;   in Loop: Header=BB6_4197 Depth=3
	s_or_b64 exec, exec, s[30:31]
.LBB6_4819:                             ;   in Loop: Header=BB6_4197 Depth=3
	s_or_b64 exec, exec, s[26:27]
	v_mul_f32_e32 v4, v14, v3
	v_and_b32_e32 v34, 0x7f800000, v4
	v_mov_b32_e32 v35, v33
	v_cmp_ne_u64_e32 vcc, s[76:77], v[34:35]
	v_and_b32_e32 v2, 0x7fffff, v4
	v_mov_b32_e32 v3, v33
                                        ; implicit-def: $vgpr34
	s_and_saveexec_b64 s[26:27], vcc
	s_xor_b64 s[30:31], exec, s[26:27]
	s_cbranch_execz .LBB6_4837
; %bb.4820:                             ;   in Loop: Header=BB6_4197 Depth=3
	v_and_b32_e32 v34, 0x7fffffff, v4
	v_mov_b32_e32 v35, v33
	v_cmp_gt_u64_e32 vcc, s[78:79], v[34:35]
	v_and_b32_sdwa v35, v4, s97 dst_sel:DWORD dst_unused:UNUSED_PAD src0_sel:BYTE_3 src1_sel:DWORD
                                        ; implicit-def: $vgpr34
	s_and_saveexec_b64 s[26:27], vcc
	s_xor_b64 s[34:35], exec, s[26:27]
	s_cbranch_execz .LBB6_4834
; %bb.4821:                             ;   in Loop: Header=BB6_4197 Depth=3
	v_cmp_ne_u32_e32 vcc, 0, v4
	v_mov_b32_e32 v34, 0
	s_and_saveexec_b64 s[36:37], vcc
	s_cbranch_execz .LBB6_4833
; %bb.4822:                             ;   in Loop: Header=BB6_4197 Depth=3
	v_bfe_u32 v34, v4, 23, 8
	v_cmp_gt_u32_e64 s[26:27], s47, v34
	v_sub_u32_e32 v4, 0x71, v34
	v_cmp_eq_u32_e32 vcc, 0, v34
	v_cndmask_b32_e64 v4, 0, v4, s[26:27]
	v_mov_b32_e32 v36, 0x70
	v_cndmask_b32_e32 v36, v4, v36, vcc
	v_or_b32_e32 v37, 0x800000, v2
	v_add_u32_e32 v4, 21, v36
	v_cndmask_b32_e32 v2, v37, v2, vcc
	v_lshlrev_b64 v[37:38], v4, -1
	v_add_u32_e32 v4, 20, v36
	v_bfi_b32 v37, v37, 0, v2
	v_lshlrev_b64 v[48:49], v4, 1
	v_lshrrev_b64 v[2:3], v36, v[2:3]
	v_bfi_b32 v38, v38, 0, 0
	v_cmp_eq_u64_e64 s[26:27], v[37:38], v[48:49]
	v_mov_b32_e32 v4, v3
	v_mov_b32_e32 v3, v2
	s_and_saveexec_b64 s[38:39], s[26:27]
; %bb.4823:                             ;   in Loop: Header=BB6_4197 Depth=3
	v_bfe_u32 v3, v2, 21, 1
	v_add_co_u32_e64 v3, s[26:27], v2, v3
	v_add_co_u32_e64 v3, s[26:27], -1, v3
; %bb.4824:                             ;   in Loop: Header=BB6_4197 Depth=3
	s_or_b64 exec, exec, s[38:39]
	v_add_u32_e32 v4, 0xffffff81, v34
	v_mov_b32_e32 v34, 0xffffff82
	v_cndmask_b32_e32 v4, v4, v34, vcc
	v_lshrrev_b32_e32 v34, 23, v2
	v_add3_u32 v36, v36, v4, v34
	v_add_u32_e32 v34, 14, v36
	v_and_b32_e32 v3, 0x1fffff, v3
	v_add_u32_e32 v2, v3, v2
	v_mov_b32_e32 v3, v33
	v_cmp_ne_u32_e32 vcc, 0, v34
                                        ; implicit-def: $vgpr4
	s_and_saveexec_b64 s[26:27], vcc
	s_xor_b64 s[26:27], exec, s[26:27]
; %bb.4825:                             ;   in Loop: Header=BB6_4197 Depth=3
	v_cmp_lt_u64_e32 vcc, s[88:89], v[2:3]
	v_add_u32_e32 v4, 15, v36
	v_cndmask_b32_e32 v4, v34, v4, vcc
	v_cndmask_b32_e64 v34, 0, 1, vcc
	v_lshrrev_b64 v[2:3], v34, v[2:3]
; %bb.4826:                             ;   in Loop: Header=BB6_4197 Depth=3
	s_andn2_saveexec_b64 s[26:27], s[26:27]
; %bb.4827:                             ;   in Loop: Header=BB6_4197 Depth=3
	v_bfe_u32 v4, v2, 23, 1
; %bb.4828:                             ;   in Loop: Header=BB6_4197 Depth=3
	s_or_b64 exec, exec, s[26:27]
	v_lshrrev_b64 v[2:3], 21, v[2:3]
	v_cmp_gt_i32_e32 vcc, 32, v4
	v_cndmask_b32_e32 v3, 0, v3, vcc
	v_cndmask_b32_e32 v2, 3, v2, vcc
	v_cmp_ne_u64_e32 vcc, 0, v[2:3]
	v_cmp_ne_u32_e64 s[26:27], 0, v4
	s_or_b64 s[26:27], s[26:27], vcc
                                        ; implicit-def: $vgpr34
	s_and_saveexec_b64 s[62:63], s[26:27]
	s_xor_b64 s[26:27], exec, s[62:63]
; %bb.4829:                             ;   in Loop: Header=BB6_4197 Depth=3
	v_min_i32_e32 v3, 31, v4
	v_lshl_or_b32 v3, v3, 2, v35
	v_and_or_b32 v34, v2, 3, v3
                                        ; implicit-def: $vgpr35
; %bb.4830:                             ;   in Loop: Header=BB6_4197 Depth=3
	s_andn2_saveexec_b64 s[26:27], s[26:27]
; %bb.4831:                             ;   in Loop: Header=BB6_4197 Depth=3
	v_mov_b32_e32 v34, v35
; %bb.4832:                             ;   in Loop: Header=BB6_4197 Depth=3
	s_or_b64 exec, exec, s[26:27]
.LBB6_4833:                             ;   in Loop: Header=BB6_4197 Depth=3
	s_or_b64 exec, exec, s[36:37]
                                        ; implicit-def: $vgpr35
.LBB6_4834:                             ;   in Loop: Header=BB6_4197 Depth=3
	s_andn2_saveexec_b64 s[26:27], s[34:35]
; %bb.4835:                             ;   in Loop: Header=BB6_4197 Depth=3
	v_or_b32_e32 v34, 0x7b, v35
; %bb.4836:                             ;   in Loop: Header=BB6_4197 Depth=3
	s_or_b64 exec, exec, s[26:27]
                                        ; implicit-def: $vgpr4
                                        ; implicit-def: $vgpr2_vgpr3
.LBB6_4837:                             ;   in Loop: Header=BB6_4197 Depth=3
	s_andn2_saveexec_b64 s[26:27], s[30:31]
	s_cbranch_execz .LBB6_4843
; %bb.4838:                             ;   in Loop: Header=BB6_4197 Depth=3
	v_cmp_ne_u64_e32 vcc, 0, v[2:3]
                                        ; implicit-def: $vgpr34
	s_and_saveexec_b64 s[62:63], vcc
	s_xor_b64 vcc, exec, s[62:63]
; %bb.4839:                             ;   in Loop: Header=BB6_4197 Depth=3
	v_or_b32_sdwa v34, v4, s44 dst_sel:DWORD dst_unused:UNUSED_PAD src0_sel:BYTE_3 src1_sel:DWORD
                                        ; implicit-def: $vgpr4
; %bb.4840:                             ;   in Loop: Header=BB6_4197 Depth=3
	s_andn2_saveexec_b64 s[30:31], vcc
; %bb.4841:                             ;   in Loop: Header=BB6_4197 Depth=3
	v_cmp_lt_i32_e32 vcc, -1, v4
	v_mov_b32_e32 v2, 0x7c
	v_cndmask_b32_e32 v34, -4, v2, vcc
; %bb.4842:                             ;   in Loop: Header=BB6_4197 Depth=3
	s_or_b64 exec, exec, s[30:31]
.LBB6_4843:                             ;   in Loop: Header=BB6_4197 Depth=3
	s_or_b64 exec, exec, s[26:27]
	flat_load_sbyte v2, v[0:1] offset:1280 glc slc
	v_mov_b32_e32 v3, 0
	s_waitcnt vmcnt(0) lgkmcnt(0)
	v_cmp_ne_u16_e32 vcc, 0, v2
	s_and_saveexec_b64 s[26:27], vcc
	s_cbranch_execz .LBB6_4851
; %bb.4844:                             ;   in Loop: Header=BB6_4197 Depth=3
	v_cmp_ne_u16_e32 vcc, s46, v2
	v_bfrev_b32_e32 v3, 1
	s_and_saveexec_b64 s[30:31], vcc
	s_cbranch_execz .LBB6_4850
; %bb.4845:                             ;   in Loop: Header=BB6_4197 Depth=3
	v_and_b32_e32 v3, 0x7c, v2
	v_and_b32_e32 v4, 3, v2
	v_cmp_ne_u32_e32 vcc, s86, v3
                                        ; implicit-def: $vgpr3
	s_and_saveexec_b64 s[62:63], vcc
	s_xor_b64 s[34:35], exec, s[62:63]
	s_cbranch_execz .LBB6_4847
; %bb.4846:                             ;   in Loop: Header=BB6_4197 Depth=3
	v_and_b32_e32 v35, 0xff, v2
	v_bfe_u32 v37, v35, 2, 5
	v_ffbh_u32_e32 v35, v4
	v_min_u32_e32 v38, 32, v35
	v_mov_b32_e32 v3, v33
	v_subrev_u32_e32 v35, 29, v38
	v_lshlrev_b64 v[35:36], v35, v[2:3]
	v_sub_u32_e32 v3, 30, v38
	v_cmp_eq_u32_e32 vcc, 0, v37
	v_and_b32_e32 v35, 3, v35
	v_cndmask_b32_e32 v3, v37, v3, vcc
	v_and_b32_sdwa v2, sext(v2), s87 dst_sel:DWORD dst_unused:UNUSED_PAD src0_sel:WORD_0 src1_sel:DWORD
	v_cndmask_b32_e32 v4, v4, v35, vcc
	v_lshl_add_u32 v2, v3, 23, v2
	v_lshl_or_b32 v2, v4, 21, v2
	v_add_u32_e32 v3, 0x38000000, v2
                                        ; implicit-def: $vgpr4
                                        ; implicit-def: $vgpr2
.LBB6_4847:                             ;   in Loop: Header=BB6_4197 Depth=3
	s_andn2_saveexec_b64 s[34:35], s[34:35]
; %bb.4848:                             ;   in Loop: Header=BB6_4197 Depth=3
	v_cmp_lt_i16_e32 vcc, -1, v2
	v_mov_b32_e32 v2, 0xff800000
	v_mov_b32_e32 v3, 0x7f800000
	v_cndmask_b32_e32 v2, v2, v3, vcc
	v_cmp_eq_u32_e32 vcc, 0, v4
	v_mov_b32_e32 v3, 0x7f800001
	v_cndmask_b32_e32 v3, v3, v2, vcc
; %bb.4849:                             ;   in Loop: Header=BB6_4197 Depth=3
	s_or_b64 exec, exec, s[34:35]
.LBB6_4850:                             ;   in Loop: Header=BB6_4197 Depth=3
	s_or_b64 exec, exec, s[30:31]
.LBB6_4851:                             ;   in Loop: Header=BB6_4197 Depth=3
	s_or_b64 exec, exec, s[26:27]
	v_mul_f32_e32 v4, v14, v3
	v_and_b32_e32 v35, 0x7f800000, v4
	v_mov_b32_e32 v36, v33
	v_cmp_ne_u64_e32 vcc, s[76:77], v[35:36]
	v_and_b32_e32 v2, 0x7fffff, v4
	v_mov_b32_e32 v3, v33
                                        ; implicit-def: $vgpr35
	s_and_saveexec_b64 s[26:27], vcc
	s_xor_b64 s[30:31], exec, s[26:27]
	s_cbranch_execz .LBB6_4869
; %bb.4852:                             ;   in Loop: Header=BB6_4197 Depth=3
	v_and_b32_e32 v35, 0x7fffffff, v4
	v_mov_b32_e32 v36, v33
	v_cmp_gt_u64_e32 vcc, s[78:79], v[35:36]
	v_and_b32_sdwa v36, v4, s97 dst_sel:DWORD dst_unused:UNUSED_PAD src0_sel:BYTE_3 src1_sel:DWORD
                                        ; implicit-def: $vgpr35
	s_and_saveexec_b64 s[26:27], vcc
	s_xor_b64 s[34:35], exec, s[26:27]
	s_cbranch_execz .LBB6_4866
; %bb.4853:                             ;   in Loop: Header=BB6_4197 Depth=3
	v_cmp_ne_u32_e32 vcc, 0, v4
	v_mov_b32_e32 v35, 0
	s_and_saveexec_b64 s[36:37], vcc
	s_cbranch_execz .LBB6_4865
; %bb.4854:                             ;   in Loop: Header=BB6_4197 Depth=3
	v_bfe_u32 v35, v4, 23, 8
	v_cmp_gt_u32_e64 s[26:27], s47, v35
	v_sub_u32_e32 v4, 0x71, v35
	v_cmp_eq_u32_e32 vcc, 0, v35
	v_cndmask_b32_e64 v4, 0, v4, s[26:27]
	v_mov_b32_e32 v37, 0x70
	v_cndmask_b32_e32 v37, v4, v37, vcc
	v_or_b32_e32 v38, 0x800000, v2
	v_add_u32_e32 v4, 21, v37
	v_cndmask_b32_e32 v2, v38, v2, vcc
	v_lshlrev_b64 v[38:39], v4, -1
	v_add_u32_e32 v4, 20, v37
	v_bfi_b32 v38, v38, 0, v2
	v_lshlrev_b64 v[48:49], v4, 1
	v_lshrrev_b64 v[2:3], v37, v[2:3]
	v_bfi_b32 v39, v39, 0, 0
	v_cmp_eq_u64_e64 s[26:27], v[38:39], v[48:49]
	v_mov_b32_e32 v4, v3
	v_mov_b32_e32 v3, v2
	s_and_saveexec_b64 s[38:39], s[26:27]
; %bb.4855:                             ;   in Loop: Header=BB6_4197 Depth=3
	v_bfe_u32 v3, v2, 21, 1
	v_add_co_u32_e64 v3, s[26:27], v2, v3
	v_add_co_u32_e64 v3, s[26:27], -1, v3
; %bb.4856:                             ;   in Loop: Header=BB6_4197 Depth=3
	s_or_b64 exec, exec, s[38:39]
	v_add_u32_e32 v4, 0xffffff81, v35
	v_mov_b32_e32 v35, 0xffffff82
	v_cndmask_b32_e32 v4, v4, v35, vcc
	v_lshrrev_b32_e32 v35, 23, v2
	v_add3_u32 v37, v37, v4, v35
	v_add_u32_e32 v35, 14, v37
	v_and_b32_e32 v3, 0x1fffff, v3
	v_add_u32_e32 v2, v3, v2
	v_mov_b32_e32 v3, v33
	v_cmp_ne_u32_e32 vcc, 0, v35
                                        ; implicit-def: $vgpr4
	s_and_saveexec_b64 s[26:27], vcc
	s_xor_b64 s[26:27], exec, s[26:27]
; %bb.4857:                             ;   in Loop: Header=BB6_4197 Depth=3
	v_cmp_lt_u64_e32 vcc, s[88:89], v[2:3]
	v_add_u32_e32 v4, 15, v37
	v_cndmask_b32_e32 v4, v35, v4, vcc
	v_cndmask_b32_e64 v35, 0, 1, vcc
	v_lshrrev_b64 v[2:3], v35, v[2:3]
; %bb.4858:                             ;   in Loop: Header=BB6_4197 Depth=3
	s_andn2_saveexec_b64 s[26:27], s[26:27]
; %bb.4859:                             ;   in Loop: Header=BB6_4197 Depth=3
	v_bfe_u32 v4, v2, 23, 1
; %bb.4860:                             ;   in Loop: Header=BB6_4197 Depth=3
	s_or_b64 exec, exec, s[26:27]
	v_lshrrev_b64 v[2:3], 21, v[2:3]
	v_cmp_gt_i32_e32 vcc, 32, v4
	v_cndmask_b32_e32 v3, 0, v3, vcc
	v_cndmask_b32_e32 v2, 3, v2, vcc
	v_cmp_ne_u64_e32 vcc, 0, v[2:3]
	v_cmp_ne_u32_e64 s[26:27], 0, v4
	s_or_b64 s[26:27], s[26:27], vcc
                                        ; implicit-def: $vgpr35
	s_and_saveexec_b64 s[62:63], s[26:27]
	s_xor_b64 s[26:27], exec, s[62:63]
; %bb.4861:                             ;   in Loop: Header=BB6_4197 Depth=3
	v_min_i32_e32 v3, 31, v4
	v_lshl_or_b32 v3, v3, 2, v36
	v_and_or_b32 v35, v2, 3, v3
                                        ; implicit-def: $vgpr36
; %bb.4862:                             ;   in Loop: Header=BB6_4197 Depth=3
	s_andn2_saveexec_b64 s[26:27], s[26:27]
; %bb.4863:                             ;   in Loop: Header=BB6_4197 Depth=3
	v_mov_b32_e32 v35, v36
; %bb.4864:                             ;   in Loop: Header=BB6_4197 Depth=3
	s_or_b64 exec, exec, s[26:27]
.LBB6_4865:                             ;   in Loop: Header=BB6_4197 Depth=3
	s_or_b64 exec, exec, s[36:37]
                                        ; implicit-def: $vgpr36
.LBB6_4866:                             ;   in Loop: Header=BB6_4197 Depth=3
	s_andn2_saveexec_b64 s[26:27], s[34:35]
; %bb.4867:                             ;   in Loop: Header=BB6_4197 Depth=3
	v_or_b32_e32 v35, 0x7b, v36
; %bb.4868:                             ;   in Loop: Header=BB6_4197 Depth=3
	s_or_b64 exec, exec, s[26:27]
                                        ; implicit-def: $vgpr4
                                        ; implicit-def: $vgpr2_vgpr3
.LBB6_4869:                             ;   in Loop: Header=BB6_4197 Depth=3
	s_andn2_saveexec_b64 s[26:27], s[30:31]
	s_cbranch_execz .LBB6_4875
; %bb.4870:                             ;   in Loop: Header=BB6_4197 Depth=3
	v_cmp_ne_u64_e32 vcc, 0, v[2:3]
                                        ; implicit-def: $vgpr35
	s_and_saveexec_b64 s[62:63], vcc
	s_xor_b64 vcc, exec, s[62:63]
; %bb.4871:                             ;   in Loop: Header=BB6_4197 Depth=3
	v_or_b32_sdwa v35, v4, s44 dst_sel:DWORD dst_unused:UNUSED_PAD src0_sel:BYTE_3 src1_sel:DWORD
                                        ; implicit-def: $vgpr4
; %bb.4872:                             ;   in Loop: Header=BB6_4197 Depth=3
	s_andn2_saveexec_b64 s[30:31], vcc
; %bb.4873:                             ;   in Loop: Header=BB6_4197 Depth=3
	v_cmp_lt_i32_e32 vcc, -1, v4
	v_mov_b32_e32 v2, 0x7c
	v_cndmask_b32_e32 v35, -4, v2, vcc
; %bb.4874:                             ;   in Loop: Header=BB6_4197 Depth=3
	s_or_b64 exec, exec, s[30:31]
.LBB6_4875:                             ;   in Loop: Header=BB6_4197 Depth=3
	s_or_b64 exec, exec, s[26:27]
	flat_load_sbyte v2, v[0:1] offset:1344 glc slc
	v_mov_b32_e32 v3, 0
	s_waitcnt vmcnt(0) lgkmcnt(0)
	v_cmp_ne_u16_e32 vcc, 0, v2
	s_and_saveexec_b64 s[26:27], vcc
	s_cbranch_execz .LBB6_4883
; %bb.4876:                             ;   in Loop: Header=BB6_4197 Depth=3
	v_cmp_ne_u16_e32 vcc, s46, v2
	v_bfrev_b32_e32 v3, 1
	s_and_saveexec_b64 s[30:31], vcc
	s_cbranch_execz .LBB6_4882
; %bb.4877:                             ;   in Loop: Header=BB6_4197 Depth=3
	v_and_b32_e32 v3, 0x7c, v2
	v_and_b32_e32 v4, 3, v2
	v_cmp_ne_u32_e32 vcc, s86, v3
                                        ; implicit-def: $vgpr3
	s_and_saveexec_b64 s[62:63], vcc
	s_xor_b64 s[34:35], exec, s[62:63]
	s_cbranch_execz .LBB6_4879
; %bb.4878:                             ;   in Loop: Header=BB6_4197 Depth=3
	v_and_b32_e32 v36, 0xff, v2
	v_bfe_u32 v38, v36, 2, 5
	v_ffbh_u32_e32 v36, v4
	v_min_u32_e32 v39, 32, v36
	v_mov_b32_e32 v3, v33
	v_subrev_u32_e32 v36, 29, v39
	v_lshlrev_b64 v[36:37], v36, v[2:3]
	v_sub_u32_e32 v3, 30, v39
	v_cmp_eq_u32_e32 vcc, 0, v38
	v_and_b32_e32 v36, 3, v36
	v_cndmask_b32_e32 v3, v38, v3, vcc
	v_and_b32_sdwa v2, sext(v2), s87 dst_sel:DWORD dst_unused:UNUSED_PAD src0_sel:WORD_0 src1_sel:DWORD
	v_cndmask_b32_e32 v4, v4, v36, vcc
	v_lshl_add_u32 v2, v3, 23, v2
	v_lshl_or_b32 v2, v4, 21, v2
	v_add_u32_e32 v3, 0x38000000, v2
                                        ; implicit-def: $vgpr4
                                        ; implicit-def: $vgpr2
.LBB6_4879:                             ;   in Loop: Header=BB6_4197 Depth=3
	s_andn2_saveexec_b64 s[34:35], s[34:35]
; %bb.4880:                             ;   in Loop: Header=BB6_4197 Depth=3
	v_cmp_lt_i16_e32 vcc, -1, v2
	v_mov_b32_e32 v2, 0xff800000
	v_mov_b32_e32 v3, 0x7f800000
	v_cndmask_b32_e32 v2, v2, v3, vcc
	v_cmp_eq_u32_e32 vcc, 0, v4
	v_mov_b32_e32 v3, 0x7f800001
	v_cndmask_b32_e32 v3, v3, v2, vcc
; %bb.4881:                             ;   in Loop: Header=BB6_4197 Depth=3
	s_or_b64 exec, exec, s[34:35]
.LBB6_4882:                             ;   in Loop: Header=BB6_4197 Depth=3
	s_or_b64 exec, exec, s[30:31]
.LBB6_4883:                             ;   in Loop: Header=BB6_4197 Depth=3
	s_or_b64 exec, exec, s[26:27]
	v_mul_f32_e32 v4, v14, v3
	v_and_b32_e32 v36, 0x7f800000, v4
	v_mov_b32_e32 v37, v33
	v_cmp_ne_u64_e32 vcc, s[76:77], v[36:37]
	v_and_b32_e32 v2, 0x7fffff, v4
	v_mov_b32_e32 v3, v33
                                        ; implicit-def: $vgpr36
	s_and_saveexec_b64 s[26:27], vcc
	s_xor_b64 s[30:31], exec, s[26:27]
	s_cbranch_execz .LBB6_4901
; %bb.4884:                             ;   in Loop: Header=BB6_4197 Depth=3
	v_and_b32_e32 v36, 0x7fffffff, v4
	v_mov_b32_e32 v37, v33
	v_cmp_gt_u64_e32 vcc, s[78:79], v[36:37]
	v_and_b32_sdwa v37, v4, s97 dst_sel:DWORD dst_unused:UNUSED_PAD src0_sel:BYTE_3 src1_sel:DWORD
                                        ; implicit-def: $vgpr36
	s_and_saveexec_b64 s[26:27], vcc
	s_xor_b64 s[34:35], exec, s[26:27]
	s_cbranch_execz .LBB6_4898
; %bb.4885:                             ;   in Loop: Header=BB6_4197 Depth=3
	v_cmp_ne_u32_e32 vcc, 0, v4
	v_mov_b32_e32 v36, 0
	s_and_saveexec_b64 s[36:37], vcc
	s_cbranch_execz .LBB6_4897
; %bb.4886:                             ;   in Loop: Header=BB6_4197 Depth=3
	v_bfe_u32 v36, v4, 23, 8
	v_cmp_gt_u32_e64 s[26:27], s47, v36
	v_sub_u32_e32 v4, 0x71, v36
	v_cmp_eq_u32_e32 vcc, 0, v36
	v_cndmask_b32_e64 v4, 0, v4, s[26:27]
	v_mov_b32_e32 v38, 0x70
	v_cndmask_b32_e32 v38, v4, v38, vcc
	v_add_u32_e32 v4, 21, v38
	v_or_b32_e32 v39, 0x800000, v2
	v_lshlrev_b64 v[48:49], v4, -1
	v_cndmask_b32_e32 v2, v39, v2, vcc
	v_add_u32_e32 v4, 20, v38
	v_bfi_b32 v48, v48, 0, v2
	v_lshlrev_b64 v[50:51], v4, 1
	v_lshrrev_b64 v[2:3], v38, v[2:3]
	v_bfi_b32 v49, v49, 0, 0
	v_cmp_eq_u64_e64 s[26:27], v[48:49], v[50:51]
	v_mov_b32_e32 v4, v3
	v_mov_b32_e32 v3, v2
	s_and_saveexec_b64 s[38:39], s[26:27]
; %bb.4887:                             ;   in Loop: Header=BB6_4197 Depth=3
	v_bfe_u32 v3, v2, 21, 1
	v_add_co_u32_e64 v3, s[26:27], v2, v3
	v_add_co_u32_e64 v3, s[26:27], -1, v3
; %bb.4888:                             ;   in Loop: Header=BB6_4197 Depth=3
	s_or_b64 exec, exec, s[38:39]
	v_add_u32_e32 v4, 0xffffff81, v36
	v_mov_b32_e32 v36, 0xffffff82
	v_cndmask_b32_e32 v4, v4, v36, vcc
	v_lshrrev_b32_e32 v36, 23, v2
	v_add3_u32 v38, v38, v4, v36
	v_add_u32_e32 v36, 14, v38
	v_and_b32_e32 v3, 0x1fffff, v3
	v_add_u32_e32 v2, v3, v2
	v_mov_b32_e32 v3, v33
	v_cmp_ne_u32_e32 vcc, 0, v36
                                        ; implicit-def: $vgpr4
	s_and_saveexec_b64 s[26:27], vcc
	s_xor_b64 s[26:27], exec, s[26:27]
; %bb.4889:                             ;   in Loop: Header=BB6_4197 Depth=3
	v_cmp_lt_u64_e32 vcc, s[88:89], v[2:3]
	v_add_u32_e32 v4, 15, v38
	v_cndmask_b32_e32 v4, v36, v4, vcc
	v_cndmask_b32_e64 v36, 0, 1, vcc
	v_lshrrev_b64 v[2:3], v36, v[2:3]
; %bb.4890:                             ;   in Loop: Header=BB6_4197 Depth=3
	s_andn2_saveexec_b64 s[26:27], s[26:27]
; %bb.4891:                             ;   in Loop: Header=BB6_4197 Depth=3
	v_bfe_u32 v4, v2, 23, 1
; %bb.4892:                             ;   in Loop: Header=BB6_4197 Depth=3
	s_or_b64 exec, exec, s[26:27]
	v_lshrrev_b64 v[2:3], 21, v[2:3]
	v_cmp_gt_i32_e32 vcc, 32, v4
	v_cndmask_b32_e32 v3, 0, v3, vcc
	v_cndmask_b32_e32 v2, 3, v2, vcc
	v_cmp_ne_u64_e32 vcc, 0, v[2:3]
	v_cmp_ne_u32_e64 s[26:27], 0, v4
	s_or_b64 s[26:27], s[26:27], vcc
                                        ; implicit-def: $vgpr36
	s_and_saveexec_b64 s[62:63], s[26:27]
	s_xor_b64 s[26:27], exec, s[62:63]
; %bb.4893:                             ;   in Loop: Header=BB6_4197 Depth=3
	v_min_i32_e32 v3, 31, v4
	v_lshl_or_b32 v3, v3, 2, v37
	v_and_or_b32 v36, v2, 3, v3
                                        ; implicit-def: $vgpr37
; %bb.4894:                             ;   in Loop: Header=BB6_4197 Depth=3
	s_andn2_saveexec_b64 s[26:27], s[26:27]
; %bb.4895:                             ;   in Loop: Header=BB6_4197 Depth=3
	v_mov_b32_e32 v36, v37
; %bb.4896:                             ;   in Loop: Header=BB6_4197 Depth=3
	s_or_b64 exec, exec, s[26:27]
.LBB6_4897:                             ;   in Loop: Header=BB6_4197 Depth=3
	s_or_b64 exec, exec, s[36:37]
                                        ; implicit-def: $vgpr37
.LBB6_4898:                             ;   in Loop: Header=BB6_4197 Depth=3
	s_andn2_saveexec_b64 s[26:27], s[34:35]
; %bb.4899:                             ;   in Loop: Header=BB6_4197 Depth=3
	v_or_b32_e32 v36, 0x7b, v37
; %bb.4900:                             ;   in Loop: Header=BB6_4197 Depth=3
	s_or_b64 exec, exec, s[26:27]
                                        ; implicit-def: $vgpr4
                                        ; implicit-def: $vgpr2_vgpr3
.LBB6_4901:                             ;   in Loop: Header=BB6_4197 Depth=3
	s_andn2_saveexec_b64 s[26:27], s[30:31]
	s_cbranch_execz .LBB6_4907
; %bb.4902:                             ;   in Loop: Header=BB6_4197 Depth=3
	v_cmp_ne_u64_e32 vcc, 0, v[2:3]
                                        ; implicit-def: $vgpr36
	s_and_saveexec_b64 s[62:63], vcc
	s_xor_b64 vcc, exec, s[62:63]
; %bb.4903:                             ;   in Loop: Header=BB6_4197 Depth=3
	v_or_b32_sdwa v36, v4, s44 dst_sel:DWORD dst_unused:UNUSED_PAD src0_sel:BYTE_3 src1_sel:DWORD
                                        ; implicit-def: $vgpr4
; %bb.4904:                             ;   in Loop: Header=BB6_4197 Depth=3
	s_andn2_saveexec_b64 s[30:31], vcc
; %bb.4905:                             ;   in Loop: Header=BB6_4197 Depth=3
	v_cmp_lt_i32_e32 vcc, -1, v4
	v_mov_b32_e32 v2, 0x7c
	v_cndmask_b32_e32 v36, -4, v2, vcc
; %bb.4906:                             ;   in Loop: Header=BB6_4197 Depth=3
	s_or_b64 exec, exec, s[30:31]
.LBB6_4907:                             ;   in Loop: Header=BB6_4197 Depth=3
	s_or_b64 exec, exec, s[26:27]
	flat_load_sbyte v2, v[0:1] offset:1408 glc slc
	v_mov_b32_e32 v3, 0
	s_waitcnt vmcnt(0) lgkmcnt(0)
	v_cmp_ne_u16_e32 vcc, 0, v2
	s_and_saveexec_b64 s[26:27], vcc
	s_cbranch_execz .LBB6_4915
; %bb.4908:                             ;   in Loop: Header=BB6_4197 Depth=3
	v_cmp_ne_u16_e32 vcc, s46, v2
	v_bfrev_b32_e32 v3, 1
	s_and_saveexec_b64 s[30:31], vcc
	s_cbranch_execz .LBB6_4914
; %bb.4909:                             ;   in Loop: Header=BB6_4197 Depth=3
	v_and_b32_e32 v3, 0x7c, v2
	v_and_b32_e32 v4, 3, v2
	v_cmp_ne_u32_e32 vcc, s86, v3
                                        ; implicit-def: $vgpr3
	s_and_saveexec_b64 s[62:63], vcc
	s_xor_b64 s[34:35], exec, s[62:63]
	s_cbranch_execz .LBB6_4911
; %bb.4910:                             ;   in Loop: Header=BB6_4197 Depth=3
	v_and_b32_e32 v37, 0xff, v2
	v_bfe_u32 v39, v37, 2, 5
	v_ffbh_u32_e32 v37, v4
	v_min_u32_e32 v48, 32, v37
	v_mov_b32_e32 v3, v33
	v_subrev_u32_e32 v37, 29, v48
	v_lshlrev_b64 v[37:38], v37, v[2:3]
	v_sub_u32_e32 v3, 30, v48
	v_cmp_eq_u32_e32 vcc, 0, v39
	v_and_b32_e32 v37, 3, v37
	v_cndmask_b32_e32 v3, v39, v3, vcc
	v_and_b32_sdwa v2, sext(v2), s87 dst_sel:DWORD dst_unused:UNUSED_PAD src0_sel:WORD_0 src1_sel:DWORD
	v_cndmask_b32_e32 v4, v4, v37, vcc
	v_lshl_add_u32 v2, v3, 23, v2
	v_lshl_or_b32 v2, v4, 21, v2
	v_add_u32_e32 v3, 0x38000000, v2
                                        ; implicit-def: $vgpr4
                                        ; implicit-def: $vgpr2
.LBB6_4911:                             ;   in Loop: Header=BB6_4197 Depth=3
	s_andn2_saveexec_b64 s[34:35], s[34:35]
; %bb.4912:                             ;   in Loop: Header=BB6_4197 Depth=3
	v_cmp_lt_i16_e32 vcc, -1, v2
	v_mov_b32_e32 v2, 0xff800000
	v_mov_b32_e32 v3, 0x7f800000
	v_cndmask_b32_e32 v2, v2, v3, vcc
	v_cmp_eq_u32_e32 vcc, 0, v4
	v_mov_b32_e32 v3, 0x7f800001
	v_cndmask_b32_e32 v3, v3, v2, vcc
; %bb.4913:                             ;   in Loop: Header=BB6_4197 Depth=3
	s_or_b64 exec, exec, s[34:35]
.LBB6_4914:                             ;   in Loop: Header=BB6_4197 Depth=3
	s_or_b64 exec, exec, s[30:31]
.LBB6_4915:                             ;   in Loop: Header=BB6_4197 Depth=3
	s_or_b64 exec, exec, s[26:27]
	v_mul_f32_e32 v4, v14, v3
	v_and_b32_e32 v37, 0x7f800000, v4
	v_mov_b32_e32 v38, v33
	v_cmp_ne_u64_e32 vcc, s[76:77], v[37:38]
	v_and_b32_e32 v2, 0x7fffff, v4
	v_mov_b32_e32 v3, v33
                                        ; implicit-def: $vgpr37
	s_and_saveexec_b64 s[26:27], vcc
	s_xor_b64 s[30:31], exec, s[26:27]
	s_cbranch_execz .LBB6_4933
; %bb.4916:                             ;   in Loop: Header=BB6_4197 Depth=3
	v_and_b32_e32 v37, 0x7fffffff, v4
	v_mov_b32_e32 v38, v33
	v_cmp_gt_u64_e32 vcc, s[78:79], v[37:38]
	v_and_b32_sdwa v38, v4, s97 dst_sel:DWORD dst_unused:UNUSED_PAD src0_sel:BYTE_3 src1_sel:DWORD
                                        ; implicit-def: $vgpr37
	s_and_saveexec_b64 s[26:27], vcc
	s_xor_b64 s[34:35], exec, s[26:27]
	s_cbranch_execz .LBB6_4930
; %bb.4917:                             ;   in Loop: Header=BB6_4197 Depth=3
	v_cmp_ne_u32_e32 vcc, 0, v4
	v_mov_b32_e32 v37, 0
	s_and_saveexec_b64 s[36:37], vcc
	s_cbranch_execz .LBB6_4929
; %bb.4918:                             ;   in Loop: Header=BB6_4197 Depth=3
	v_bfe_u32 v37, v4, 23, 8
	v_cmp_gt_u32_e64 s[26:27], s47, v37
	v_sub_u32_e32 v4, 0x71, v37
	v_cmp_eq_u32_e32 vcc, 0, v37
	v_cndmask_b32_e64 v4, 0, v4, s[26:27]
	v_mov_b32_e32 v39, 0x70
	v_cndmask_b32_e32 v39, v4, v39, vcc
	v_or_b32_e32 v48, 0x800000, v2
	v_add_u32_e32 v4, 21, v39
	v_cndmask_b32_e32 v2, v48, v2, vcc
	v_lshlrev_b64 v[48:49], v4, -1
	v_add_u32_e32 v4, 20, v39
	v_bfi_b32 v48, v48, 0, v2
	v_lshlrev_b64 v[50:51], v4, 1
	v_lshrrev_b64 v[2:3], v39, v[2:3]
	v_bfi_b32 v49, v49, 0, 0
	v_cmp_eq_u64_e64 s[26:27], v[48:49], v[50:51]
	v_mov_b32_e32 v4, v3
	v_mov_b32_e32 v3, v2
	s_and_saveexec_b64 s[38:39], s[26:27]
; %bb.4919:                             ;   in Loop: Header=BB6_4197 Depth=3
	v_bfe_u32 v3, v2, 21, 1
	v_add_co_u32_e64 v3, s[26:27], v2, v3
	v_add_co_u32_e64 v3, s[26:27], -1, v3
; %bb.4920:                             ;   in Loop: Header=BB6_4197 Depth=3
	s_or_b64 exec, exec, s[38:39]
	v_add_u32_e32 v4, 0xffffff81, v37
	v_mov_b32_e32 v37, 0xffffff82
	v_cndmask_b32_e32 v4, v4, v37, vcc
	v_lshrrev_b32_e32 v37, 23, v2
	v_add3_u32 v39, v39, v4, v37
	v_add_u32_e32 v37, 14, v39
	v_and_b32_e32 v3, 0x1fffff, v3
	v_add_u32_e32 v2, v3, v2
	v_mov_b32_e32 v3, v33
	v_cmp_ne_u32_e32 vcc, 0, v37
                                        ; implicit-def: $vgpr4
	s_and_saveexec_b64 s[26:27], vcc
	s_xor_b64 s[26:27], exec, s[26:27]
; %bb.4921:                             ;   in Loop: Header=BB6_4197 Depth=3
	v_cmp_lt_u64_e32 vcc, s[88:89], v[2:3]
	v_add_u32_e32 v4, 15, v39
	v_cndmask_b32_e32 v4, v37, v4, vcc
	v_cndmask_b32_e64 v37, 0, 1, vcc
	v_lshrrev_b64 v[2:3], v37, v[2:3]
; %bb.4922:                             ;   in Loop: Header=BB6_4197 Depth=3
	s_andn2_saveexec_b64 s[26:27], s[26:27]
; %bb.4923:                             ;   in Loop: Header=BB6_4197 Depth=3
	v_bfe_u32 v4, v2, 23, 1
; %bb.4924:                             ;   in Loop: Header=BB6_4197 Depth=3
	s_or_b64 exec, exec, s[26:27]
	v_lshrrev_b64 v[2:3], 21, v[2:3]
	v_cmp_gt_i32_e32 vcc, 32, v4
	v_cndmask_b32_e32 v3, 0, v3, vcc
	v_cndmask_b32_e32 v2, 3, v2, vcc
	v_cmp_ne_u64_e32 vcc, 0, v[2:3]
	v_cmp_ne_u32_e64 s[26:27], 0, v4
	s_or_b64 s[26:27], s[26:27], vcc
                                        ; implicit-def: $vgpr37
	s_and_saveexec_b64 s[62:63], s[26:27]
	s_xor_b64 s[26:27], exec, s[62:63]
; %bb.4925:                             ;   in Loop: Header=BB6_4197 Depth=3
	v_min_i32_e32 v3, 31, v4
	v_lshl_or_b32 v3, v3, 2, v38
	v_and_or_b32 v37, v2, 3, v3
                                        ; implicit-def: $vgpr38
; %bb.4926:                             ;   in Loop: Header=BB6_4197 Depth=3
	s_andn2_saveexec_b64 s[26:27], s[26:27]
; %bb.4927:                             ;   in Loop: Header=BB6_4197 Depth=3
	v_mov_b32_e32 v37, v38
; %bb.4928:                             ;   in Loop: Header=BB6_4197 Depth=3
	s_or_b64 exec, exec, s[26:27]
.LBB6_4929:                             ;   in Loop: Header=BB6_4197 Depth=3
	s_or_b64 exec, exec, s[36:37]
                                        ; implicit-def: $vgpr38
.LBB6_4930:                             ;   in Loop: Header=BB6_4197 Depth=3
	s_andn2_saveexec_b64 s[26:27], s[34:35]
; %bb.4931:                             ;   in Loop: Header=BB6_4197 Depth=3
	v_or_b32_e32 v37, 0x7b, v38
; %bb.4932:                             ;   in Loop: Header=BB6_4197 Depth=3
	s_or_b64 exec, exec, s[26:27]
                                        ; implicit-def: $vgpr4
                                        ; implicit-def: $vgpr2_vgpr3
.LBB6_4933:                             ;   in Loop: Header=BB6_4197 Depth=3
	s_andn2_saveexec_b64 s[26:27], s[30:31]
	s_cbranch_execz .LBB6_4939
; %bb.4934:                             ;   in Loop: Header=BB6_4197 Depth=3
	v_cmp_ne_u64_e32 vcc, 0, v[2:3]
                                        ; implicit-def: $vgpr37
	s_and_saveexec_b64 s[62:63], vcc
	s_xor_b64 vcc, exec, s[62:63]
; %bb.4935:                             ;   in Loop: Header=BB6_4197 Depth=3
	v_or_b32_sdwa v37, v4, s44 dst_sel:DWORD dst_unused:UNUSED_PAD src0_sel:BYTE_3 src1_sel:DWORD
                                        ; implicit-def: $vgpr4
; %bb.4936:                             ;   in Loop: Header=BB6_4197 Depth=3
	s_andn2_saveexec_b64 s[30:31], vcc
; %bb.4937:                             ;   in Loop: Header=BB6_4197 Depth=3
	v_cmp_lt_i32_e32 vcc, -1, v4
	v_mov_b32_e32 v2, 0x7c
	v_cndmask_b32_e32 v37, -4, v2, vcc
; %bb.4938:                             ;   in Loop: Header=BB6_4197 Depth=3
	s_or_b64 exec, exec, s[30:31]
.LBB6_4939:                             ;   in Loop: Header=BB6_4197 Depth=3
	s_or_b64 exec, exec, s[26:27]
	flat_load_sbyte v2, v[0:1] offset:1472 glc slc
	v_mov_b32_e32 v3, 0
	s_waitcnt vmcnt(0) lgkmcnt(0)
	v_cmp_ne_u16_e32 vcc, 0, v2
	s_and_saveexec_b64 s[26:27], vcc
	s_cbranch_execz .LBB6_4947
; %bb.4940:                             ;   in Loop: Header=BB6_4197 Depth=3
	v_cmp_ne_u16_e32 vcc, s46, v2
	v_bfrev_b32_e32 v3, 1
	s_and_saveexec_b64 s[30:31], vcc
	s_cbranch_execz .LBB6_4946
; %bb.4941:                             ;   in Loop: Header=BB6_4197 Depth=3
	v_and_b32_e32 v3, 0x7c, v2
	v_and_b32_e32 v4, 3, v2
	v_cmp_ne_u32_e32 vcc, s86, v3
                                        ; implicit-def: $vgpr3
	s_and_saveexec_b64 s[62:63], vcc
	s_xor_b64 s[34:35], exec, s[62:63]
	s_cbranch_execz .LBB6_4943
; %bb.4942:                             ;   in Loop: Header=BB6_4197 Depth=3
	v_and_b32_e32 v38, 0xff, v2
	v_bfe_u32 v48, v38, 2, 5
	v_ffbh_u32_e32 v38, v4
	v_min_u32_e32 v49, 32, v38
	v_mov_b32_e32 v3, v33
	v_subrev_u32_e32 v38, 29, v49
	v_lshlrev_b64 v[38:39], v38, v[2:3]
	v_sub_u32_e32 v3, 30, v49
	v_cmp_eq_u32_e32 vcc, 0, v48
	v_and_b32_e32 v38, 3, v38
	v_cndmask_b32_e32 v3, v48, v3, vcc
	v_and_b32_sdwa v2, sext(v2), s87 dst_sel:DWORD dst_unused:UNUSED_PAD src0_sel:WORD_0 src1_sel:DWORD
	v_cndmask_b32_e32 v4, v4, v38, vcc
	v_lshl_add_u32 v2, v3, 23, v2
	v_lshl_or_b32 v2, v4, 21, v2
	v_add_u32_e32 v3, 0x38000000, v2
                                        ; implicit-def: $vgpr4
                                        ; implicit-def: $vgpr2
.LBB6_4943:                             ;   in Loop: Header=BB6_4197 Depth=3
	s_andn2_saveexec_b64 s[34:35], s[34:35]
; %bb.4944:                             ;   in Loop: Header=BB6_4197 Depth=3
	v_cmp_lt_i16_e32 vcc, -1, v2
	v_mov_b32_e32 v2, 0xff800000
	v_mov_b32_e32 v3, 0x7f800000
	v_cndmask_b32_e32 v2, v2, v3, vcc
	v_cmp_eq_u32_e32 vcc, 0, v4
	v_mov_b32_e32 v3, 0x7f800001
	v_cndmask_b32_e32 v3, v3, v2, vcc
; %bb.4945:                             ;   in Loop: Header=BB6_4197 Depth=3
	s_or_b64 exec, exec, s[34:35]
.LBB6_4946:                             ;   in Loop: Header=BB6_4197 Depth=3
	s_or_b64 exec, exec, s[30:31]
.LBB6_4947:                             ;   in Loop: Header=BB6_4197 Depth=3
	s_or_b64 exec, exec, s[26:27]
	v_mul_f32_e32 v4, v14, v3
	v_and_b32_e32 v38, 0x7f800000, v4
	v_mov_b32_e32 v39, v33
	v_cmp_ne_u64_e32 vcc, s[76:77], v[38:39]
	v_and_b32_e32 v2, 0x7fffff, v4
	v_mov_b32_e32 v3, v33
                                        ; implicit-def: $vgpr38
	s_and_saveexec_b64 s[26:27], vcc
	s_xor_b64 s[30:31], exec, s[26:27]
	s_cbranch_execz .LBB6_4965
; %bb.4948:                             ;   in Loop: Header=BB6_4197 Depth=3
	v_and_b32_e32 v38, 0x7fffffff, v4
	v_mov_b32_e32 v39, v33
	v_cmp_gt_u64_e32 vcc, s[78:79], v[38:39]
	v_and_b32_sdwa v39, v4, s97 dst_sel:DWORD dst_unused:UNUSED_PAD src0_sel:BYTE_3 src1_sel:DWORD
                                        ; implicit-def: $vgpr38
	s_and_saveexec_b64 s[26:27], vcc
	s_xor_b64 s[34:35], exec, s[26:27]
	s_cbranch_execz .LBB6_4962
; %bb.4949:                             ;   in Loop: Header=BB6_4197 Depth=3
	v_cmp_ne_u32_e32 vcc, 0, v4
	v_mov_b32_e32 v38, 0
	s_and_saveexec_b64 s[36:37], vcc
	s_cbranch_execz .LBB6_4961
; %bb.4950:                             ;   in Loop: Header=BB6_4197 Depth=3
	v_bfe_u32 v38, v4, 23, 8
	v_cmp_gt_u32_e64 s[26:27], s47, v38
	v_sub_u32_e32 v4, 0x71, v38
	v_cmp_eq_u32_e32 vcc, 0, v38
	v_cndmask_b32_e64 v4, 0, v4, s[26:27]
	v_mov_b32_e32 v48, 0x70
	v_cndmask_b32_e32 v48, v4, v48, vcc
	v_or_b32_e32 v49, 0x800000, v2
	v_add_u32_e32 v4, 21, v48
	v_cndmask_b32_e32 v2, v49, v2, vcc
	v_lshlrev_b64 v[49:50], v4, -1
	v_add_u32_e32 v4, 20, v48
	v_bfi_b32 v49, v49, 0, v2
	v_lshlrev_b64 v[51:52], v4, 1
	v_lshrrev_b64 v[2:3], v48, v[2:3]
	v_bfi_b32 v50, v50, 0, 0
	v_cmp_eq_u64_e64 s[26:27], v[49:50], v[51:52]
	v_mov_b32_e32 v4, v3
	v_mov_b32_e32 v3, v2
	s_and_saveexec_b64 s[38:39], s[26:27]
; %bb.4951:                             ;   in Loop: Header=BB6_4197 Depth=3
	v_bfe_u32 v3, v2, 21, 1
	v_add_co_u32_e64 v3, s[26:27], v2, v3
	v_add_co_u32_e64 v3, s[26:27], -1, v3
; %bb.4952:                             ;   in Loop: Header=BB6_4197 Depth=3
	s_or_b64 exec, exec, s[38:39]
	v_add_u32_e32 v4, 0xffffff81, v38
	v_mov_b32_e32 v38, 0xffffff82
	v_cndmask_b32_e32 v4, v4, v38, vcc
	v_lshrrev_b32_e32 v38, 23, v2
	v_add3_u32 v48, v48, v4, v38
	v_add_u32_e32 v38, 14, v48
	v_and_b32_e32 v3, 0x1fffff, v3
	v_add_u32_e32 v2, v3, v2
	v_mov_b32_e32 v3, v33
	v_cmp_ne_u32_e32 vcc, 0, v38
                                        ; implicit-def: $vgpr4
	s_and_saveexec_b64 s[26:27], vcc
	s_xor_b64 s[26:27], exec, s[26:27]
; %bb.4953:                             ;   in Loop: Header=BB6_4197 Depth=3
	v_cmp_lt_u64_e32 vcc, s[88:89], v[2:3]
	v_add_u32_e32 v4, 15, v48
	v_cndmask_b32_e32 v4, v38, v4, vcc
	v_cndmask_b32_e64 v38, 0, 1, vcc
	v_lshrrev_b64 v[2:3], v38, v[2:3]
; %bb.4954:                             ;   in Loop: Header=BB6_4197 Depth=3
	s_andn2_saveexec_b64 s[26:27], s[26:27]
; %bb.4955:                             ;   in Loop: Header=BB6_4197 Depth=3
	v_bfe_u32 v4, v2, 23, 1
; %bb.4956:                             ;   in Loop: Header=BB6_4197 Depth=3
	s_or_b64 exec, exec, s[26:27]
	v_lshrrev_b64 v[2:3], 21, v[2:3]
	v_cmp_gt_i32_e32 vcc, 32, v4
	v_cndmask_b32_e32 v3, 0, v3, vcc
	v_cndmask_b32_e32 v2, 3, v2, vcc
	v_cmp_ne_u64_e32 vcc, 0, v[2:3]
	v_cmp_ne_u32_e64 s[26:27], 0, v4
	s_or_b64 s[26:27], s[26:27], vcc
                                        ; implicit-def: $vgpr38
	s_and_saveexec_b64 s[62:63], s[26:27]
	s_xor_b64 s[26:27], exec, s[62:63]
; %bb.4957:                             ;   in Loop: Header=BB6_4197 Depth=3
	v_min_i32_e32 v3, 31, v4
	v_lshl_or_b32 v3, v3, 2, v39
	v_and_or_b32 v38, v2, 3, v3
                                        ; implicit-def: $vgpr39
; %bb.4958:                             ;   in Loop: Header=BB6_4197 Depth=3
	s_andn2_saveexec_b64 s[26:27], s[26:27]
; %bb.4959:                             ;   in Loop: Header=BB6_4197 Depth=3
	v_mov_b32_e32 v38, v39
; %bb.4960:                             ;   in Loop: Header=BB6_4197 Depth=3
	s_or_b64 exec, exec, s[26:27]
.LBB6_4961:                             ;   in Loop: Header=BB6_4197 Depth=3
	s_or_b64 exec, exec, s[36:37]
                                        ; implicit-def: $vgpr39
.LBB6_4962:                             ;   in Loop: Header=BB6_4197 Depth=3
	s_andn2_saveexec_b64 s[26:27], s[34:35]
; %bb.4963:                             ;   in Loop: Header=BB6_4197 Depth=3
	v_or_b32_e32 v38, 0x7b, v39
; %bb.4964:                             ;   in Loop: Header=BB6_4197 Depth=3
	s_or_b64 exec, exec, s[26:27]
                                        ; implicit-def: $vgpr4
                                        ; implicit-def: $vgpr2_vgpr3
.LBB6_4965:                             ;   in Loop: Header=BB6_4197 Depth=3
	s_andn2_saveexec_b64 s[26:27], s[30:31]
	s_cbranch_execz .LBB6_4971
; %bb.4966:                             ;   in Loop: Header=BB6_4197 Depth=3
	v_cmp_ne_u64_e32 vcc, 0, v[2:3]
                                        ; implicit-def: $vgpr38
	s_and_saveexec_b64 s[62:63], vcc
	s_xor_b64 vcc, exec, s[62:63]
; %bb.4967:                             ;   in Loop: Header=BB6_4197 Depth=3
	v_or_b32_sdwa v38, v4, s44 dst_sel:DWORD dst_unused:UNUSED_PAD src0_sel:BYTE_3 src1_sel:DWORD
                                        ; implicit-def: $vgpr4
; %bb.4968:                             ;   in Loop: Header=BB6_4197 Depth=3
	s_andn2_saveexec_b64 s[30:31], vcc
; %bb.4969:                             ;   in Loop: Header=BB6_4197 Depth=3
	v_cmp_lt_i32_e32 vcc, -1, v4
	v_mov_b32_e32 v2, 0x7c
	v_cndmask_b32_e32 v38, -4, v2, vcc
; %bb.4970:                             ;   in Loop: Header=BB6_4197 Depth=3
	s_or_b64 exec, exec, s[30:31]
.LBB6_4971:                             ;   in Loop: Header=BB6_4197 Depth=3
	s_or_b64 exec, exec, s[26:27]
	flat_load_sbyte v2, v[0:1] offset:1536 glc slc
	v_mov_b32_e32 v3, 0
	s_waitcnt vmcnt(0) lgkmcnt(0)
	v_cmp_ne_u16_e32 vcc, 0, v2
	s_and_saveexec_b64 s[26:27], vcc
	s_cbranch_execz .LBB6_4979
; %bb.4972:                             ;   in Loop: Header=BB6_4197 Depth=3
	v_cmp_ne_u16_e32 vcc, s46, v2
	v_bfrev_b32_e32 v3, 1
	s_and_saveexec_b64 s[30:31], vcc
	s_cbranch_execz .LBB6_4978
; %bb.4973:                             ;   in Loop: Header=BB6_4197 Depth=3
	v_and_b32_e32 v3, 0x7c, v2
	v_and_b32_e32 v4, 3, v2
	v_cmp_ne_u32_e32 vcc, s86, v3
                                        ; implicit-def: $vgpr3
	s_and_saveexec_b64 s[62:63], vcc
	s_xor_b64 s[34:35], exec, s[62:63]
	s_cbranch_execz .LBB6_4975
; %bb.4974:                             ;   in Loop: Header=BB6_4197 Depth=3
	v_ffbh_u32_e32 v48, v4
	v_min_u32_e32 v50, 32, v48
	v_and_b32_e32 v39, 0xff, v2
	v_mov_b32_e32 v3, v33
	v_subrev_u32_e32 v48, 29, v50
	v_bfe_u32 v39, v39, 2, 5
	v_lshlrev_b64 v[48:49], v48, v[2:3]
	v_sub_u32_e32 v3, 30, v50
	v_cmp_eq_u32_e32 vcc, 0, v39
	v_and_b32_e32 v48, 3, v48
	v_cndmask_b32_e32 v3, v39, v3, vcc
	v_and_b32_sdwa v2, sext(v2), s87 dst_sel:DWORD dst_unused:UNUSED_PAD src0_sel:WORD_0 src1_sel:DWORD
	v_cndmask_b32_e32 v4, v4, v48, vcc
	v_lshl_add_u32 v2, v3, 23, v2
	v_lshl_or_b32 v2, v4, 21, v2
	v_add_u32_e32 v3, 0x38000000, v2
                                        ; implicit-def: $vgpr4
                                        ; implicit-def: $vgpr2
.LBB6_4975:                             ;   in Loop: Header=BB6_4197 Depth=3
	s_andn2_saveexec_b64 s[34:35], s[34:35]
; %bb.4976:                             ;   in Loop: Header=BB6_4197 Depth=3
	v_cmp_lt_i16_e32 vcc, -1, v2
	v_mov_b32_e32 v2, 0xff800000
	v_mov_b32_e32 v3, 0x7f800000
	v_cndmask_b32_e32 v2, v2, v3, vcc
	v_cmp_eq_u32_e32 vcc, 0, v4
	v_mov_b32_e32 v3, 0x7f800001
	v_cndmask_b32_e32 v3, v3, v2, vcc
; %bb.4977:                             ;   in Loop: Header=BB6_4197 Depth=3
	s_or_b64 exec, exec, s[34:35]
.LBB6_4978:                             ;   in Loop: Header=BB6_4197 Depth=3
	s_or_b64 exec, exec, s[30:31]
.LBB6_4979:                             ;   in Loop: Header=BB6_4197 Depth=3
	s_or_b64 exec, exec, s[26:27]
	v_mul_f32_e32 v4, v14, v3
	v_and_b32_e32 v48, 0x7f800000, v4
	v_mov_b32_e32 v49, v33
	v_cmp_ne_u64_e32 vcc, s[76:77], v[48:49]
	v_and_b32_e32 v2, 0x7fffff, v4
	v_mov_b32_e32 v3, v33
                                        ; implicit-def: $vgpr39
	s_and_saveexec_b64 s[26:27], vcc
	s_xor_b64 s[30:31], exec, s[26:27]
	s_cbranch_execz .LBB6_4997
; %bb.4980:                             ;   in Loop: Header=BB6_4197 Depth=3
	v_and_b32_e32 v48, 0x7fffffff, v4
	v_mov_b32_e32 v49, v33
	v_cmp_gt_u64_e32 vcc, s[78:79], v[48:49]
	v_and_b32_sdwa v48, v4, s97 dst_sel:DWORD dst_unused:UNUSED_PAD src0_sel:BYTE_3 src1_sel:DWORD
                                        ; implicit-def: $vgpr39
	s_and_saveexec_b64 s[26:27], vcc
	s_xor_b64 s[34:35], exec, s[26:27]
	s_cbranch_execz .LBB6_4994
; %bb.4981:                             ;   in Loop: Header=BB6_4197 Depth=3
	v_cmp_ne_u32_e32 vcc, 0, v4
	v_mov_b32_e32 v39, 0
	s_and_saveexec_b64 s[36:37], vcc
	s_cbranch_execz .LBB6_4993
; %bb.4982:                             ;   in Loop: Header=BB6_4197 Depth=3
	v_bfe_u32 v39, v4, 23, 8
	v_cmp_gt_u32_e64 s[26:27], s47, v39
	v_sub_u32_e32 v4, 0x71, v39
	v_cmp_eq_u32_e32 vcc, 0, v39
	v_cndmask_b32_e64 v4, 0, v4, s[26:27]
	v_mov_b32_e32 v49, 0x70
	v_cndmask_b32_e32 v49, v4, v49, vcc
	v_or_b32_e32 v50, 0x800000, v2
	v_add_u32_e32 v4, 21, v49
	v_cndmask_b32_e32 v2, v50, v2, vcc
	v_lshlrev_b64 v[50:51], v4, -1
	v_add_u32_e32 v4, 20, v49
	v_bfi_b32 v50, v50, 0, v2
	v_lshlrev_b64 v[52:53], v4, 1
	v_lshrrev_b64 v[2:3], v49, v[2:3]
	v_bfi_b32 v51, v51, 0, 0
	v_cmp_eq_u64_e64 s[26:27], v[50:51], v[52:53]
	v_mov_b32_e32 v4, v3
	v_mov_b32_e32 v3, v2
	s_and_saveexec_b64 s[38:39], s[26:27]
; %bb.4983:                             ;   in Loop: Header=BB6_4197 Depth=3
	v_bfe_u32 v3, v2, 21, 1
	v_add_co_u32_e64 v3, s[26:27], v2, v3
	v_add_co_u32_e64 v3, s[26:27], -1, v3
; %bb.4984:                             ;   in Loop: Header=BB6_4197 Depth=3
	s_or_b64 exec, exec, s[38:39]
	v_add_u32_e32 v4, 0xffffff81, v39
	v_mov_b32_e32 v39, 0xffffff82
	v_cndmask_b32_e32 v4, v4, v39, vcc
	v_lshrrev_b32_e32 v39, 23, v2
	v_add3_u32 v49, v49, v4, v39
	v_add_u32_e32 v39, 14, v49
	v_and_b32_e32 v3, 0x1fffff, v3
	v_add_u32_e32 v2, v3, v2
	v_mov_b32_e32 v3, v33
	v_cmp_ne_u32_e32 vcc, 0, v39
                                        ; implicit-def: $vgpr4
	s_and_saveexec_b64 s[26:27], vcc
	s_xor_b64 s[26:27], exec, s[26:27]
; %bb.4985:                             ;   in Loop: Header=BB6_4197 Depth=3
	v_cmp_lt_u64_e32 vcc, s[88:89], v[2:3]
	v_add_u32_e32 v4, 15, v49
	v_cndmask_b32_e32 v4, v39, v4, vcc
	v_cndmask_b32_e64 v39, 0, 1, vcc
	v_lshrrev_b64 v[2:3], v39, v[2:3]
; %bb.4986:                             ;   in Loop: Header=BB6_4197 Depth=3
	s_andn2_saveexec_b64 s[26:27], s[26:27]
; %bb.4987:                             ;   in Loop: Header=BB6_4197 Depth=3
	v_bfe_u32 v4, v2, 23, 1
; %bb.4988:                             ;   in Loop: Header=BB6_4197 Depth=3
	s_or_b64 exec, exec, s[26:27]
	v_lshrrev_b64 v[2:3], 21, v[2:3]
	v_cmp_gt_i32_e32 vcc, 32, v4
	v_cndmask_b32_e32 v3, 0, v3, vcc
	v_cndmask_b32_e32 v2, 3, v2, vcc
	v_cmp_ne_u64_e32 vcc, 0, v[2:3]
	v_cmp_ne_u32_e64 s[26:27], 0, v4
	s_or_b64 s[26:27], s[26:27], vcc
                                        ; implicit-def: $vgpr39
	s_and_saveexec_b64 s[62:63], s[26:27]
	s_xor_b64 s[26:27], exec, s[62:63]
; %bb.4989:                             ;   in Loop: Header=BB6_4197 Depth=3
	v_min_i32_e32 v3, 31, v4
	v_lshl_or_b32 v3, v3, 2, v48
	v_and_or_b32 v39, v2, 3, v3
                                        ; implicit-def: $vgpr48
; %bb.4990:                             ;   in Loop: Header=BB6_4197 Depth=3
	s_andn2_saveexec_b64 s[26:27], s[26:27]
; %bb.4991:                             ;   in Loop: Header=BB6_4197 Depth=3
	v_mov_b32_e32 v39, v48
; %bb.4992:                             ;   in Loop: Header=BB6_4197 Depth=3
	s_or_b64 exec, exec, s[26:27]
.LBB6_4993:                             ;   in Loop: Header=BB6_4197 Depth=3
	s_or_b64 exec, exec, s[36:37]
                                        ; implicit-def: $vgpr48
.LBB6_4994:                             ;   in Loop: Header=BB6_4197 Depth=3
	s_andn2_saveexec_b64 s[26:27], s[34:35]
; %bb.4995:                             ;   in Loop: Header=BB6_4197 Depth=3
	v_or_b32_e32 v39, 0x7b, v48
; %bb.4996:                             ;   in Loop: Header=BB6_4197 Depth=3
	s_or_b64 exec, exec, s[26:27]
                                        ; implicit-def: $vgpr4
                                        ; implicit-def: $vgpr2_vgpr3
.LBB6_4997:                             ;   in Loop: Header=BB6_4197 Depth=3
	s_andn2_saveexec_b64 s[26:27], s[30:31]
	s_cbranch_execz .LBB6_5003
; %bb.4998:                             ;   in Loop: Header=BB6_4197 Depth=3
	v_cmp_ne_u64_e32 vcc, 0, v[2:3]
                                        ; implicit-def: $vgpr39
	s_and_saveexec_b64 s[62:63], vcc
	s_xor_b64 vcc, exec, s[62:63]
; %bb.4999:                             ;   in Loop: Header=BB6_4197 Depth=3
	v_or_b32_sdwa v39, v4, s44 dst_sel:DWORD dst_unused:UNUSED_PAD src0_sel:BYTE_3 src1_sel:DWORD
                                        ; implicit-def: $vgpr4
; %bb.5000:                             ;   in Loop: Header=BB6_4197 Depth=3
	s_andn2_saveexec_b64 s[30:31], vcc
; %bb.5001:                             ;   in Loop: Header=BB6_4197 Depth=3
	v_cmp_lt_i32_e32 vcc, -1, v4
	v_mov_b32_e32 v2, 0x7c
	v_cndmask_b32_e32 v39, -4, v2, vcc
; %bb.5002:                             ;   in Loop: Header=BB6_4197 Depth=3
	s_or_b64 exec, exec, s[30:31]
.LBB6_5003:                             ;   in Loop: Header=BB6_4197 Depth=3
	s_or_b64 exec, exec, s[26:27]
	flat_load_sbyte v2, v[0:1] offset:1600 glc slc
	v_mov_b32_e32 v3, 0
	s_waitcnt vmcnt(0) lgkmcnt(0)
	v_cmp_ne_u16_e32 vcc, 0, v2
	s_and_saveexec_b64 s[26:27], vcc
	s_cbranch_execz .LBB6_5011
; %bb.5004:                             ;   in Loop: Header=BB6_4197 Depth=3
	v_cmp_ne_u16_e32 vcc, s46, v2
	v_bfrev_b32_e32 v3, 1
	s_and_saveexec_b64 s[30:31], vcc
	s_cbranch_execz .LBB6_5010
; %bb.5005:                             ;   in Loop: Header=BB6_4197 Depth=3
	v_and_b32_e32 v3, 0x7c, v2
	v_and_b32_e32 v4, 3, v2
	v_cmp_ne_u32_e32 vcc, s86, v3
                                        ; implicit-def: $vgpr3
	s_and_saveexec_b64 s[62:63], vcc
	s_xor_b64 s[34:35], exec, s[62:63]
	s_cbranch_execz .LBB6_5007
; %bb.5006:                             ;   in Loop: Header=BB6_4197 Depth=3
	v_and_b32_e32 v48, 0xff, v2
	v_bfe_u32 v50, v48, 2, 5
	v_ffbh_u32_e32 v48, v4
	v_min_u32_e32 v51, 32, v48
	v_mov_b32_e32 v3, v33
	v_subrev_u32_e32 v48, 29, v51
	v_lshlrev_b64 v[48:49], v48, v[2:3]
	v_sub_u32_e32 v3, 30, v51
	v_cmp_eq_u32_e32 vcc, 0, v50
	v_and_b32_e32 v48, 3, v48
	v_cndmask_b32_e32 v3, v50, v3, vcc
	v_and_b32_sdwa v2, sext(v2), s87 dst_sel:DWORD dst_unused:UNUSED_PAD src0_sel:WORD_0 src1_sel:DWORD
	v_cndmask_b32_e32 v4, v4, v48, vcc
	v_lshl_add_u32 v2, v3, 23, v2
	v_lshl_or_b32 v2, v4, 21, v2
	v_add_u32_e32 v3, 0x38000000, v2
                                        ; implicit-def: $vgpr4
                                        ; implicit-def: $vgpr2
.LBB6_5007:                             ;   in Loop: Header=BB6_4197 Depth=3
	s_andn2_saveexec_b64 s[34:35], s[34:35]
; %bb.5008:                             ;   in Loop: Header=BB6_4197 Depth=3
	v_cmp_lt_i16_e32 vcc, -1, v2
	v_mov_b32_e32 v2, 0xff800000
	v_mov_b32_e32 v3, 0x7f800000
	v_cndmask_b32_e32 v2, v2, v3, vcc
	v_cmp_eq_u32_e32 vcc, 0, v4
	v_mov_b32_e32 v3, 0x7f800001
	v_cndmask_b32_e32 v3, v3, v2, vcc
; %bb.5009:                             ;   in Loop: Header=BB6_4197 Depth=3
	s_or_b64 exec, exec, s[34:35]
.LBB6_5010:                             ;   in Loop: Header=BB6_4197 Depth=3
	s_or_b64 exec, exec, s[30:31]
.LBB6_5011:                             ;   in Loop: Header=BB6_4197 Depth=3
	s_or_b64 exec, exec, s[26:27]
	v_mul_f32_e32 v4, v14, v3
	v_and_b32_e32 v48, 0x7f800000, v4
	v_mov_b32_e32 v49, v33
	v_cmp_ne_u64_e32 vcc, s[76:77], v[48:49]
	v_and_b32_e32 v2, 0x7fffff, v4
	v_mov_b32_e32 v3, v33
                                        ; implicit-def: $vgpr48
	s_and_saveexec_b64 s[26:27], vcc
	s_xor_b64 s[30:31], exec, s[26:27]
	s_cbranch_execz .LBB6_5029
; %bb.5012:                             ;   in Loop: Header=BB6_4197 Depth=3
	v_and_b32_e32 v48, 0x7fffffff, v4
	v_mov_b32_e32 v49, v33
	v_cmp_gt_u64_e32 vcc, s[78:79], v[48:49]
	v_and_b32_sdwa v49, v4, s97 dst_sel:DWORD dst_unused:UNUSED_PAD src0_sel:BYTE_3 src1_sel:DWORD
                                        ; implicit-def: $vgpr48
	s_and_saveexec_b64 s[26:27], vcc
	s_xor_b64 s[34:35], exec, s[26:27]
	s_cbranch_execz .LBB6_5026
; %bb.5013:                             ;   in Loop: Header=BB6_4197 Depth=3
	v_cmp_ne_u32_e32 vcc, 0, v4
	v_mov_b32_e32 v48, 0
	s_and_saveexec_b64 s[36:37], vcc
	s_cbranch_execz .LBB6_5025
; %bb.5014:                             ;   in Loop: Header=BB6_4197 Depth=3
	v_bfe_u32 v48, v4, 23, 8
	v_cmp_gt_u32_e64 s[26:27], s47, v48
	v_sub_u32_e32 v4, 0x71, v48
	v_cmp_eq_u32_e32 vcc, 0, v48
	v_cndmask_b32_e64 v4, 0, v4, s[26:27]
	v_mov_b32_e32 v50, 0x70
	v_cndmask_b32_e32 v50, v4, v50, vcc
	v_or_b32_e32 v51, 0x800000, v2
	v_add_u32_e32 v4, 21, v50
	v_cndmask_b32_e32 v2, v51, v2, vcc
	v_lshlrev_b64 v[51:52], v4, -1
	v_add_u32_e32 v4, 20, v50
	v_bfi_b32 v51, v51, 0, v2
	v_lshlrev_b64 v[53:54], v4, 1
	v_lshrrev_b64 v[2:3], v50, v[2:3]
	v_bfi_b32 v52, v52, 0, 0
	v_cmp_eq_u64_e64 s[26:27], v[51:52], v[53:54]
	v_mov_b32_e32 v4, v3
	v_mov_b32_e32 v3, v2
	s_and_saveexec_b64 s[38:39], s[26:27]
; %bb.5015:                             ;   in Loop: Header=BB6_4197 Depth=3
	v_bfe_u32 v3, v2, 21, 1
	v_add_co_u32_e64 v3, s[26:27], v2, v3
	v_add_co_u32_e64 v3, s[26:27], -1, v3
; %bb.5016:                             ;   in Loop: Header=BB6_4197 Depth=3
	s_or_b64 exec, exec, s[38:39]
	v_add_u32_e32 v4, 0xffffff81, v48
	v_mov_b32_e32 v48, 0xffffff82
	v_cndmask_b32_e32 v4, v4, v48, vcc
	v_lshrrev_b32_e32 v48, 23, v2
	v_add3_u32 v50, v50, v4, v48
	v_add_u32_e32 v48, 14, v50
	v_and_b32_e32 v3, 0x1fffff, v3
	v_add_u32_e32 v2, v3, v2
	v_mov_b32_e32 v3, v33
	v_cmp_ne_u32_e32 vcc, 0, v48
                                        ; implicit-def: $vgpr4
	s_and_saveexec_b64 s[26:27], vcc
	s_xor_b64 s[26:27], exec, s[26:27]
; %bb.5017:                             ;   in Loop: Header=BB6_4197 Depth=3
	v_cmp_lt_u64_e32 vcc, s[88:89], v[2:3]
	v_add_u32_e32 v4, 15, v50
	v_cndmask_b32_e32 v4, v48, v4, vcc
	v_cndmask_b32_e64 v48, 0, 1, vcc
	v_lshrrev_b64 v[2:3], v48, v[2:3]
; %bb.5018:                             ;   in Loop: Header=BB6_4197 Depth=3
	s_andn2_saveexec_b64 s[26:27], s[26:27]
; %bb.5019:                             ;   in Loop: Header=BB6_4197 Depth=3
	v_bfe_u32 v4, v2, 23, 1
; %bb.5020:                             ;   in Loop: Header=BB6_4197 Depth=3
	s_or_b64 exec, exec, s[26:27]
	v_lshrrev_b64 v[2:3], 21, v[2:3]
	v_cmp_gt_i32_e32 vcc, 32, v4
	v_cndmask_b32_e32 v3, 0, v3, vcc
	v_cndmask_b32_e32 v2, 3, v2, vcc
	v_cmp_ne_u64_e32 vcc, 0, v[2:3]
	v_cmp_ne_u32_e64 s[26:27], 0, v4
	s_or_b64 s[26:27], s[26:27], vcc
                                        ; implicit-def: $vgpr48
	s_and_saveexec_b64 s[62:63], s[26:27]
	s_xor_b64 s[26:27], exec, s[62:63]
; %bb.5021:                             ;   in Loop: Header=BB6_4197 Depth=3
	v_min_i32_e32 v3, 31, v4
	v_lshl_or_b32 v3, v3, 2, v49
	v_and_or_b32 v48, v2, 3, v3
                                        ; implicit-def: $vgpr49
; %bb.5022:                             ;   in Loop: Header=BB6_4197 Depth=3
	s_andn2_saveexec_b64 s[26:27], s[26:27]
; %bb.5023:                             ;   in Loop: Header=BB6_4197 Depth=3
	v_mov_b32_e32 v48, v49
; %bb.5024:                             ;   in Loop: Header=BB6_4197 Depth=3
	s_or_b64 exec, exec, s[26:27]
.LBB6_5025:                             ;   in Loop: Header=BB6_4197 Depth=3
	s_or_b64 exec, exec, s[36:37]
                                        ; implicit-def: $vgpr49
.LBB6_5026:                             ;   in Loop: Header=BB6_4197 Depth=3
	s_andn2_saveexec_b64 s[26:27], s[34:35]
; %bb.5027:                             ;   in Loop: Header=BB6_4197 Depth=3
	v_or_b32_e32 v48, 0x7b, v49
; %bb.5028:                             ;   in Loop: Header=BB6_4197 Depth=3
	s_or_b64 exec, exec, s[26:27]
                                        ; implicit-def: $vgpr4
                                        ; implicit-def: $vgpr2_vgpr3
.LBB6_5029:                             ;   in Loop: Header=BB6_4197 Depth=3
	s_andn2_saveexec_b64 s[26:27], s[30:31]
	s_cbranch_execz .LBB6_5035
; %bb.5030:                             ;   in Loop: Header=BB6_4197 Depth=3
	v_cmp_ne_u64_e32 vcc, 0, v[2:3]
                                        ; implicit-def: $vgpr48
	s_and_saveexec_b64 s[62:63], vcc
	s_xor_b64 vcc, exec, s[62:63]
; %bb.5031:                             ;   in Loop: Header=BB6_4197 Depth=3
	v_or_b32_sdwa v48, v4, s44 dst_sel:DWORD dst_unused:UNUSED_PAD src0_sel:BYTE_3 src1_sel:DWORD
                                        ; implicit-def: $vgpr4
; %bb.5032:                             ;   in Loop: Header=BB6_4197 Depth=3
	s_andn2_saveexec_b64 s[30:31], vcc
; %bb.5033:                             ;   in Loop: Header=BB6_4197 Depth=3
	v_cmp_lt_i32_e32 vcc, -1, v4
	v_mov_b32_e32 v2, 0x7c
	v_cndmask_b32_e32 v48, -4, v2, vcc
; %bb.5034:                             ;   in Loop: Header=BB6_4197 Depth=3
	s_or_b64 exec, exec, s[30:31]
.LBB6_5035:                             ;   in Loop: Header=BB6_4197 Depth=3
	s_or_b64 exec, exec, s[26:27]
	flat_load_sbyte v2, v[0:1] offset:1664 glc slc
	v_mov_b32_e32 v3, 0
	s_waitcnt vmcnt(0) lgkmcnt(0)
	v_cmp_ne_u16_e32 vcc, 0, v2
	s_and_saveexec_b64 s[26:27], vcc
	s_cbranch_execz .LBB6_5043
; %bb.5036:                             ;   in Loop: Header=BB6_4197 Depth=3
	v_cmp_ne_u16_e32 vcc, s46, v2
	v_bfrev_b32_e32 v3, 1
	s_and_saveexec_b64 s[30:31], vcc
	s_cbranch_execz .LBB6_5042
; %bb.5037:                             ;   in Loop: Header=BB6_4197 Depth=3
	v_and_b32_e32 v3, 0x7c, v2
	v_and_b32_e32 v4, 3, v2
	v_cmp_ne_u32_e32 vcc, s86, v3
                                        ; implicit-def: $vgpr3
	s_and_saveexec_b64 s[62:63], vcc
	s_xor_b64 s[34:35], exec, s[62:63]
	s_cbranch_execz .LBB6_5039
; %bb.5038:                             ;   in Loop: Header=BB6_4197 Depth=3
	v_and_b32_e32 v49, 0xff, v2
	v_bfe_u32 v51, v49, 2, 5
	v_ffbh_u32_e32 v49, v4
	v_min_u32_e32 v52, 32, v49
	v_mov_b32_e32 v3, v33
	v_subrev_u32_e32 v49, 29, v52
	v_lshlrev_b64 v[49:50], v49, v[2:3]
	v_sub_u32_e32 v3, 30, v52
	v_cmp_eq_u32_e32 vcc, 0, v51
	v_and_b32_e32 v49, 3, v49
	v_cndmask_b32_e32 v3, v51, v3, vcc
	v_and_b32_sdwa v2, sext(v2), s87 dst_sel:DWORD dst_unused:UNUSED_PAD src0_sel:WORD_0 src1_sel:DWORD
	v_cndmask_b32_e32 v4, v4, v49, vcc
	v_lshl_add_u32 v2, v3, 23, v2
	v_lshl_or_b32 v2, v4, 21, v2
	v_add_u32_e32 v3, 0x38000000, v2
                                        ; implicit-def: $vgpr4
                                        ; implicit-def: $vgpr2
.LBB6_5039:                             ;   in Loop: Header=BB6_4197 Depth=3
	s_andn2_saveexec_b64 s[34:35], s[34:35]
; %bb.5040:                             ;   in Loop: Header=BB6_4197 Depth=3
	v_cmp_lt_i16_e32 vcc, -1, v2
	v_mov_b32_e32 v2, 0xff800000
	v_mov_b32_e32 v3, 0x7f800000
	v_cndmask_b32_e32 v2, v2, v3, vcc
	v_cmp_eq_u32_e32 vcc, 0, v4
	v_mov_b32_e32 v3, 0x7f800001
	v_cndmask_b32_e32 v3, v3, v2, vcc
; %bb.5041:                             ;   in Loop: Header=BB6_4197 Depth=3
	s_or_b64 exec, exec, s[34:35]
.LBB6_5042:                             ;   in Loop: Header=BB6_4197 Depth=3
	s_or_b64 exec, exec, s[30:31]
.LBB6_5043:                             ;   in Loop: Header=BB6_4197 Depth=3
	s_or_b64 exec, exec, s[26:27]
	v_mul_f32_e32 v4, v14, v3
	v_and_b32_e32 v49, 0x7f800000, v4
	v_mov_b32_e32 v50, v33
	v_cmp_ne_u64_e32 vcc, s[76:77], v[49:50]
	v_and_b32_e32 v2, 0x7fffff, v4
	v_mov_b32_e32 v3, v33
                                        ; implicit-def: $vgpr49
	s_and_saveexec_b64 s[26:27], vcc
	s_xor_b64 s[30:31], exec, s[26:27]
	s_cbranch_execz .LBB6_5061
; %bb.5044:                             ;   in Loop: Header=BB6_4197 Depth=3
	v_and_b32_e32 v49, 0x7fffffff, v4
	v_mov_b32_e32 v50, v33
	v_cmp_gt_u64_e32 vcc, s[78:79], v[49:50]
	v_and_b32_sdwa v50, v4, s97 dst_sel:DWORD dst_unused:UNUSED_PAD src0_sel:BYTE_3 src1_sel:DWORD
                                        ; implicit-def: $vgpr49
	s_and_saveexec_b64 s[26:27], vcc
	s_xor_b64 s[34:35], exec, s[26:27]
	s_cbranch_execz .LBB6_5058
; %bb.5045:                             ;   in Loop: Header=BB6_4197 Depth=3
	v_cmp_ne_u32_e32 vcc, 0, v4
	v_mov_b32_e32 v49, 0
	s_and_saveexec_b64 s[36:37], vcc
	s_cbranch_execz .LBB6_5057
; %bb.5046:                             ;   in Loop: Header=BB6_4197 Depth=3
	v_bfe_u32 v49, v4, 23, 8
	v_cmp_gt_u32_e64 s[26:27], s47, v49
	v_sub_u32_e32 v4, 0x71, v49
	v_cmp_eq_u32_e32 vcc, 0, v49
	v_cndmask_b32_e64 v4, 0, v4, s[26:27]
	v_mov_b32_e32 v51, 0x70
	v_cndmask_b32_e32 v51, v4, v51, vcc
	v_or_b32_e32 v52, 0x800000, v2
	v_add_u32_e32 v4, 21, v51
	v_cndmask_b32_e32 v2, v52, v2, vcc
	v_lshlrev_b64 v[52:53], v4, -1
	v_add_u32_e32 v4, 20, v51
	v_bfi_b32 v52, v52, 0, v2
	v_lshlrev_b64 v[54:55], v4, 1
	v_lshrrev_b64 v[2:3], v51, v[2:3]
	v_bfi_b32 v53, v53, 0, 0
	v_cmp_eq_u64_e64 s[26:27], v[52:53], v[54:55]
	v_mov_b32_e32 v4, v3
	v_mov_b32_e32 v3, v2
	s_and_saveexec_b64 s[38:39], s[26:27]
; %bb.5047:                             ;   in Loop: Header=BB6_4197 Depth=3
	v_bfe_u32 v3, v2, 21, 1
	v_add_co_u32_e64 v3, s[26:27], v2, v3
	v_add_co_u32_e64 v3, s[26:27], -1, v3
; %bb.5048:                             ;   in Loop: Header=BB6_4197 Depth=3
	s_or_b64 exec, exec, s[38:39]
	v_add_u32_e32 v4, 0xffffff81, v49
	v_mov_b32_e32 v49, 0xffffff82
	v_cndmask_b32_e32 v4, v4, v49, vcc
	v_lshrrev_b32_e32 v49, 23, v2
	v_add3_u32 v51, v51, v4, v49
	v_add_u32_e32 v49, 14, v51
	v_and_b32_e32 v3, 0x1fffff, v3
	v_add_u32_e32 v2, v3, v2
	v_mov_b32_e32 v3, v33
	v_cmp_ne_u32_e32 vcc, 0, v49
                                        ; implicit-def: $vgpr4
	s_and_saveexec_b64 s[26:27], vcc
	s_xor_b64 s[26:27], exec, s[26:27]
; %bb.5049:                             ;   in Loop: Header=BB6_4197 Depth=3
	v_cmp_lt_u64_e32 vcc, s[88:89], v[2:3]
	v_add_u32_e32 v4, 15, v51
	v_cndmask_b32_e32 v4, v49, v4, vcc
	v_cndmask_b32_e64 v49, 0, 1, vcc
	v_lshrrev_b64 v[2:3], v49, v[2:3]
; %bb.5050:                             ;   in Loop: Header=BB6_4197 Depth=3
	s_andn2_saveexec_b64 s[26:27], s[26:27]
; %bb.5051:                             ;   in Loop: Header=BB6_4197 Depth=3
	v_bfe_u32 v4, v2, 23, 1
; %bb.5052:                             ;   in Loop: Header=BB6_4197 Depth=3
	s_or_b64 exec, exec, s[26:27]
	v_lshrrev_b64 v[2:3], 21, v[2:3]
	v_cmp_gt_i32_e32 vcc, 32, v4
	v_cndmask_b32_e32 v3, 0, v3, vcc
	v_cndmask_b32_e32 v2, 3, v2, vcc
	v_cmp_ne_u64_e32 vcc, 0, v[2:3]
	v_cmp_ne_u32_e64 s[26:27], 0, v4
	s_or_b64 s[26:27], s[26:27], vcc
                                        ; implicit-def: $vgpr49
	s_and_saveexec_b64 s[62:63], s[26:27]
	s_xor_b64 s[26:27], exec, s[62:63]
; %bb.5053:                             ;   in Loop: Header=BB6_4197 Depth=3
	v_min_i32_e32 v3, 31, v4
	v_lshl_or_b32 v3, v3, 2, v50
	v_and_or_b32 v49, v2, 3, v3
                                        ; implicit-def: $vgpr50
; %bb.5054:                             ;   in Loop: Header=BB6_4197 Depth=3
	s_andn2_saveexec_b64 s[26:27], s[26:27]
; %bb.5055:                             ;   in Loop: Header=BB6_4197 Depth=3
	v_mov_b32_e32 v49, v50
; %bb.5056:                             ;   in Loop: Header=BB6_4197 Depth=3
	s_or_b64 exec, exec, s[26:27]
.LBB6_5057:                             ;   in Loop: Header=BB6_4197 Depth=3
	s_or_b64 exec, exec, s[36:37]
                                        ; implicit-def: $vgpr50
.LBB6_5058:                             ;   in Loop: Header=BB6_4197 Depth=3
	s_andn2_saveexec_b64 s[26:27], s[34:35]
; %bb.5059:                             ;   in Loop: Header=BB6_4197 Depth=3
	v_or_b32_e32 v49, 0x7b, v50
; %bb.5060:                             ;   in Loop: Header=BB6_4197 Depth=3
	s_or_b64 exec, exec, s[26:27]
                                        ; implicit-def: $vgpr4
                                        ; implicit-def: $vgpr2_vgpr3
.LBB6_5061:                             ;   in Loop: Header=BB6_4197 Depth=3
	s_andn2_saveexec_b64 s[26:27], s[30:31]
	s_cbranch_execz .LBB6_5067
; %bb.5062:                             ;   in Loop: Header=BB6_4197 Depth=3
	v_cmp_ne_u64_e32 vcc, 0, v[2:3]
                                        ; implicit-def: $vgpr49
	s_and_saveexec_b64 s[62:63], vcc
	s_xor_b64 vcc, exec, s[62:63]
; %bb.5063:                             ;   in Loop: Header=BB6_4197 Depth=3
	v_or_b32_sdwa v49, v4, s44 dst_sel:DWORD dst_unused:UNUSED_PAD src0_sel:BYTE_3 src1_sel:DWORD
                                        ; implicit-def: $vgpr4
; %bb.5064:                             ;   in Loop: Header=BB6_4197 Depth=3
	s_andn2_saveexec_b64 s[30:31], vcc
; %bb.5065:                             ;   in Loop: Header=BB6_4197 Depth=3
	v_cmp_lt_i32_e32 vcc, -1, v4
	v_mov_b32_e32 v2, 0x7c
	v_cndmask_b32_e32 v49, -4, v2, vcc
; %bb.5066:                             ;   in Loop: Header=BB6_4197 Depth=3
	s_or_b64 exec, exec, s[30:31]
.LBB6_5067:                             ;   in Loop: Header=BB6_4197 Depth=3
	s_or_b64 exec, exec, s[26:27]
	flat_load_sbyte v2, v[0:1] offset:1728 glc slc
	v_mov_b32_e32 v3, 0
	s_waitcnt vmcnt(0) lgkmcnt(0)
	v_cmp_ne_u16_e32 vcc, 0, v2
	s_and_saveexec_b64 s[26:27], vcc
	s_cbranch_execz .LBB6_5075
; %bb.5068:                             ;   in Loop: Header=BB6_4197 Depth=3
	v_cmp_ne_u16_e32 vcc, s46, v2
	v_bfrev_b32_e32 v3, 1
	s_and_saveexec_b64 s[30:31], vcc
	s_cbranch_execz .LBB6_5074
; %bb.5069:                             ;   in Loop: Header=BB6_4197 Depth=3
	v_and_b32_e32 v3, 0x7c, v2
	v_and_b32_e32 v4, 3, v2
	v_cmp_ne_u32_e32 vcc, s86, v3
                                        ; implicit-def: $vgpr3
	s_and_saveexec_b64 s[62:63], vcc
	s_xor_b64 s[34:35], exec, s[62:63]
	s_cbranch_execz .LBB6_5071
; %bb.5070:                             ;   in Loop: Header=BB6_4197 Depth=3
	v_and_b32_e32 v50, 0xff, v2
	v_bfe_u32 v52, v50, 2, 5
	v_ffbh_u32_e32 v50, v4
	v_min_u32_e32 v53, 32, v50
	v_mov_b32_e32 v3, v33
	v_subrev_u32_e32 v50, 29, v53
	v_lshlrev_b64 v[50:51], v50, v[2:3]
	v_sub_u32_e32 v3, 30, v53
	v_cmp_eq_u32_e32 vcc, 0, v52
	v_and_b32_e32 v50, 3, v50
	v_cndmask_b32_e32 v3, v52, v3, vcc
	v_and_b32_sdwa v2, sext(v2), s87 dst_sel:DWORD dst_unused:UNUSED_PAD src0_sel:WORD_0 src1_sel:DWORD
	v_cndmask_b32_e32 v4, v4, v50, vcc
	v_lshl_add_u32 v2, v3, 23, v2
	v_lshl_or_b32 v2, v4, 21, v2
	v_add_u32_e32 v3, 0x38000000, v2
                                        ; implicit-def: $vgpr4
                                        ; implicit-def: $vgpr2
.LBB6_5071:                             ;   in Loop: Header=BB6_4197 Depth=3
	s_andn2_saveexec_b64 s[34:35], s[34:35]
; %bb.5072:                             ;   in Loop: Header=BB6_4197 Depth=3
	v_cmp_lt_i16_e32 vcc, -1, v2
	v_mov_b32_e32 v2, 0xff800000
	v_mov_b32_e32 v3, 0x7f800000
	v_cndmask_b32_e32 v2, v2, v3, vcc
	v_cmp_eq_u32_e32 vcc, 0, v4
	v_mov_b32_e32 v3, 0x7f800001
	v_cndmask_b32_e32 v3, v3, v2, vcc
; %bb.5073:                             ;   in Loop: Header=BB6_4197 Depth=3
	s_or_b64 exec, exec, s[34:35]
.LBB6_5074:                             ;   in Loop: Header=BB6_4197 Depth=3
	s_or_b64 exec, exec, s[30:31]
.LBB6_5075:                             ;   in Loop: Header=BB6_4197 Depth=3
	s_or_b64 exec, exec, s[26:27]
	v_mul_f32_e32 v4, v14, v3
	v_and_b32_e32 v50, 0x7f800000, v4
	v_mov_b32_e32 v51, v33
	v_cmp_ne_u64_e32 vcc, s[76:77], v[50:51]
	v_and_b32_e32 v2, 0x7fffff, v4
	v_mov_b32_e32 v3, v33
                                        ; implicit-def: $vgpr50
	s_and_saveexec_b64 s[26:27], vcc
	s_xor_b64 s[30:31], exec, s[26:27]
	s_cbranch_execz .LBB6_5093
; %bb.5076:                             ;   in Loop: Header=BB6_4197 Depth=3
	v_and_b32_e32 v50, 0x7fffffff, v4
	v_mov_b32_e32 v51, v33
	v_cmp_gt_u64_e32 vcc, s[78:79], v[50:51]
	v_and_b32_sdwa v51, v4, s97 dst_sel:DWORD dst_unused:UNUSED_PAD src0_sel:BYTE_3 src1_sel:DWORD
                                        ; implicit-def: $vgpr50
	s_and_saveexec_b64 s[26:27], vcc
	s_xor_b64 s[34:35], exec, s[26:27]
	s_cbranch_execz .LBB6_5090
; %bb.5077:                             ;   in Loop: Header=BB6_4197 Depth=3
	v_cmp_ne_u32_e32 vcc, 0, v4
	v_mov_b32_e32 v50, 0
	s_and_saveexec_b64 s[36:37], vcc
	s_cbranch_execz .LBB6_5089
; %bb.5078:                             ;   in Loop: Header=BB6_4197 Depth=3
	v_bfe_u32 v50, v4, 23, 8
	v_cmp_gt_u32_e64 s[26:27], s47, v50
	v_sub_u32_e32 v4, 0x71, v50
	v_cmp_eq_u32_e32 vcc, 0, v50
	v_cndmask_b32_e64 v4, 0, v4, s[26:27]
	v_mov_b32_e32 v52, 0x70
	v_cndmask_b32_e32 v52, v4, v52, vcc
	v_or_b32_e32 v53, 0x800000, v2
	v_add_u32_e32 v4, 21, v52
	v_cndmask_b32_e32 v2, v53, v2, vcc
	v_lshlrev_b64 v[53:54], v4, -1
	v_add_u32_e32 v4, 20, v52
	v_bfi_b32 v53, v53, 0, v2
	v_lshlrev_b64 v[40:41], v4, 1
	v_lshrrev_b64 v[2:3], v52, v[2:3]
	v_bfi_b32 v54, v54, 0, 0
	v_cmp_eq_u64_e64 s[26:27], v[53:54], v[40:41]
	v_mov_b32_e32 v4, v3
	v_mov_b32_e32 v3, v2
	s_and_saveexec_b64 s[38:39], s[26:27]
; %bb.5079:                             ;   in Loop: Header=BB6_4197 Depth=3
	v_bfe_u32 v3, v2, 21, 1
	v_add_co_u32_e64 v3, s[26:27], v2, v3
	v_add_co_u32_e64 v3, s[26:27], -1, v3
; %bb.5080:                             ;   in Loop: Header=BB6_4197 Depth=3
	s_or_b64 exec, exec, s[38:39]
	v_add_u32_e32 v4, 0xffffff81, v50
	v_mov_b32_e32 v50, 0xffffff82
	v_cndmask_b32_e32 v4, v4, v50, vcc
	v_lshrrev_b32_e32 v50, 23, v2
	v_add3_u32 v52, v52, v4, v50
	v_add_u32_e32 v50, 14, v52
	v_and_b32_e32 v3, 0x1fffff, v3
	v_add_u32_e32 v2, v3, v2
	v_mov_b32_e32 v3, v33
	v_cmp_ne_u32_e32 vcc, 0, v50
                                        ; implicit-def: $vgpr4
	s_and_saveexec_b64 s[26:27], vcc
	s_xor_b64 s[26:27], exec, s[26:27]
; %bb.5081:                             ;   in Loop: Header=BB6_4197 Depth=3
	v_cmp_lt_u64_e32 vcc, s[88:89], v[2:3]
	v_add_u32_e32 v4, 15, v52
	v_cndmask_b32_e32 v4, v50, v4, vcc
	v_cndmask_b32_e64 v50, 0, 1, vcc
	v_lshrrev_b64 v[2:3], v50, v[2:3]
; %bb.5082:                             ;   in Loop: Header=BB6_4197 Depth=3
	s_andn2_saveexec_b64 s[26:27], s[26:27]
; %bb.5083:                             ;   in Loop: Header=BB6_4197 Depth=3
	v_bfe_u32 v4, v2, 23, 1
; %bb.5084:                             ;   in Loop: Header=BB6_4197 Depth=3
	s_or_b64 exec, exec, s[26:27]
	v_lshrrev_b64 v[2:3], 21, v[2:3]
	v_cmp_gt_i32_e32 vcc, 32, v4
	v_cndmask_b32_e32 v3, 0, v3, vcc
	v_cndmask_b32_e32 v2, 3, v2, vcc
	v_cmp_ne_u64_e32 vcc, 0, v[2:3]
	v_cmp_ne_u32_e64 s[26:27], 0, v4
	s_or_b64 s[26:27], s[26:27], vcc
                                        ; implicit-def: $vgpr50
	s_and_saveexec_b64 s[62:63], s[26:27]
	s_xor_b64 s[26:27], exec, s[62:63]
; %bb.5085:                             ;   in Loop: Header=BB6_4197 Depth=3
	v_min_i32_e32 v3, 31, v4
	v_lshl_or_b32 v3, v3, 2, v51
	v_and_or_b32 v50, v2, 3, v3
                                        ; implicit-def: $vgpr51
; %bb.5086:                             ;   in Loop: Header=BB6_4197 Depth=3
	s_andn2_saveexec_b64 s[26:27], s[26:27]
; %bb.5087:                             ;   in Loop: Header=BB6_4197 Depth=3
	v_mov_b32_e32 v50, v51
; %bb.5088:                             ;   in Loop: Header=BB6_4197 Depth=3
	s_or_b64 exec, exec, s[26:27]
.LBB6_5089:                             ;   in Loop: Header=BB6_4197 Depth=3
	s_or_b64 exec, exec, s[36:37]
                                        ; implicit-def: $vgpr51
.LBB6_5090:                             ;   in Loop: Header=BB6_4197 Depth=3
	s_andn2_saveexec_b64 s[26:27], s[34:35]
; %bb.5091:                             ;   in Loop: Header=BB6_4197 Depth=3
	v_or_b32_e32 v50, 0x7b, v51
; %bb.5092:                             ;   in Loop: Header=BB6_4197 Depth=3
	s_or_b64 exec, exec, s[26:27]
                                        ; implicit-def: $vgpr4
                                        ; implicit-def: $vgpr2_vgpr3
.LBB6_5093:                             ;   in Loop: Header=BB6_4197 Depth=3
	s_andn2_saveexec_b64 s[26:27], s[30:31]
	s_cbranch_execz .LBB6_5099
; %bb.5094:                             ;   in Loop: Header=BB6_4197 Depth=3
	v_cmp_ne_u64_e32 vcc, 0, v[2:3]
                                        ; implicit-def: $vgpr50
	s_and_saveexec_b64 s[62:63], vcc
	s_xor_b64 vcc, exec, s[62:63]
; %bb.5095:                             ;   in Loop: Header=BB6_4197 Depth=3
	v_or_b32_sdwa v50, v4, s44 dst_sel:DWORD dst_unused:UNUSED_PAD src0_sel:BYTE_3 src1_sel:DWORD
                                        ; implicit-def: $vgpr4
; %bb.5096:                             ;   in Loop: Header=BB6_4197 Depth=3
	s_andn2_saveexec_b64 s[30:31], vcc
; %bb.5097:                             ;   in Loop: Header=BB6_4197 Depth=3
	v_cmp_lt_i32_e32 vcc, -1, v4
	v_mov_b32_e32 v2, 0x7c
	v_cndmask_b32_e32 v50, -4, v2, vcc
; %bb.5098:                             ;   in Loop: Header=BB6_4197 Depth=3
	s_or_b64 exec, exec, s[30:31]
.LBB6_5099:                             ;   in Loop: Header=BB6_4197 Depth=3
	s_or_b64 exec, exec, s[26:27]
	flat_load_sbyte v2, v[0:1] offset:1792 glc slc
	v_mov_b32_e32 v3, 0
	s_waitcnt vmcnt(0) lgkmcnt(0)
	v_cmp_ne_u16_e32 vcc, 0, v2
	s_and_saveexec_b64 s[26:27], vcc
	s_cbranch_execz .LBB6_5107
; %bb.5100:                             ;   in Loop: Header=BB6_4197 Depth=3
	v_cmp_ne_u16_e32 vcc, s46, v2
	v_bfrev_b32_e32 v3, 1
	s_and_saveexec_b64 s[30:31], vcc
	s_cbranch_execz .LBB6_5106
; %bb.5101:                             ;   in Loop: Header=BB6_4197 Depth=3
	v_and_b32_e32 v3, 0x7c, v2
	v_and_b32_e32 v4, 3, v2
	v_cmp_ne_u32_e32 vcc, s86, v3
                                        ; implicit-def: $vgpr3
	s_and_saveexec_b64 s[62:63], vcc
	s_xor_b64 s[34:35], exec, s[62:63]
	s_cbranch_execz .LBB6_5103
; %bb.5102:                             ;   in Loop: Header=BB6_4197 Depth=3
	v_and_b32_e32 v51, 0xff, v2
	v_bfe_u32 v53, v51, 2, 5
	v_ffbh_u32_e32 v51, v4
	v_min_u32_e32 v54, 32, v51
	v_mov_b32_e32 v3, v33
	v_subrev_u32_e32 v51, 29, v54
	v_lshlrev_b64 v[51:52], v51, v[2:3]
	v_sub_u32_e32 v3, 30, v54
	v_cmp_eq_u32_e32 vcc, 0, v53
	v_and_b32_e32 v51, 3, v51
	v_cndmask_b32_e32 v3, v53, v3, vcc
	v_and_b32_sdwa v2, sext(v2), s87 dst_sel:DWORD dst_unused:UNUSED_PAD src0_sel:WORD_0 src1_sel:DWORD
	v_cndmask_b32_e32 v4, v4, v51, vcc
	v_lshl_add_u32 v2, v3, 23, v2
	v_lshl_or_b32 v2, v4, 21, v2
	v_add_u32_e32 v3, 0x38000000, v2
                                        ; implicit-def: $vgpr4
                                        ; implicit-def: $vgpr2
.LBB6_5103:                             ;   in Loop: Header=BB6_4197 Depth=3
	s_andn2_saveexec_b64 s[34:35], s[34:35]
; %bb.5104:                             ;   in Loop: Header=BB6_4197 Depth=3
	v_cmp_lt_i16_e32 vcc, -1, v2
	v_mov_b32_e32 v2, 0xff800000
	v_mov_b32_e32 v3, 0x7f800000
	v_cndmask_b32_e32 v2, v2, v3, vcc
	v_cmp_eq_u32_e32 vcc, 0, v4
	v_mov_b32_e32 v3, 0x7f800001
	v_cndmask_b32_e32 v3, v3, v2, vcc
; %bb.5105:                             ;   in Loop: Header=BB6_4197 Depth=3
	s_or_b64 exec, exec, s[34:35]
.LBB6_5106:                             ;   in Loop: Header=BB6_4197 Depth=3
	s_or_b64 exec, exec, s[30:31]
.LBB6_5107:                             ;   in Loop: Header=BB6_4197 Depth=3
	s_or_b64 exec, exec, s[26:27]
	v_mul_f32_e32 v4, v14, v3
	v_and_b32_e32 v51, 0x7f800000, v4
	v_mov_b32_e32 v52, v33
	v_cmp_ne_u64_e32 vcc, s[76:77], v[51:52]
	v_and_b32_e32 v2, 0x7fffff, v4
	v_mov_b32_e32 v3, v33
                                        ; implicit-def: $vgpr51
	s_and_saveexec_b64 s[26:27], vcc
	s_xor_b64 s[30:31], exec, s[26:27]
	s_cbranch_execz .LBB6_5125
; %bb.5108:                             ;   in Loop: Header=BB6_4197 Depth=3
	v_and_b32_e32 v51, 0x7fffffff, v4
	v_mov_b32_e32 v52, v33
	v_cmp_gt_u64_e32 vcc, s[78:79], v[51:52]
	v_and_b32_sdwa v52, v4, s97 dst_sel:DWORD dst_unused:UNUSED_PAD src0_sel:BYTE_3 src1_sel:DWORD
                                        ; implicit-def: $vgpr51
	s_and_saveexec_b64 s[26:27], vcc
	s_xor_b64 s[34:35], exec, s[26:27]
	s_cbranch_execz .LBB6_5122
; %bb.5109:                             ;   in Loop: Header=BB6_4197 Depth=3
	v_cmp_ne_u32_e32 vcc, 0, v4
	v_mov_b32_e32 v51, 0
	s_and_saveexec_b64 s[36:37], vcc
	s_cbranch_execz .LBB6_5121
; %bb.5110:                             ;   in Loop: Header=BB6_4197 Depth=3
	v_bfe_u32 v51, v4, 23, 8
	v_cmp_gt_u32_e64 s[26:27], s47, v51
	v_sub_u32_e32 v4, 0x71, v51
	v_cmp_eq_u32_e32 vcc, 0, v51
	v_cndmask_b32_e64 v4, 0, v4, s[26:27]
	v_mov_b32_e32 v53, 0x70
	v_cndmask_b32_e32 v53, v4, v53, vcc
	v_or_b32_e32 v54, 0x800000, v2
	v_add_u32_e32 v4, 21, v53
	v_cndmask_b32_e32 v2, v54, v2, vcc
	v_lshlrev_b64 v[54:55], v4, -1
	v_add_u32_e32 v4, 20, v53
	v_bfi_b32 v54, v54, 0, v2
	v_lshlrev_b64 v[40:41], v4, 1
	v_lshrrev_b64 v[2:3], v53, v[2:3]
	v_bfi_b32 v55, v55, 0, 0
	v_cmp_eq_u64_e64 s[26:27], v[54:55], v[40:41]
	v_mov_b32_e32 v4, v3
	v_mov_b32_e32 v3, v2
	s_and_saveexec_b64 s[38:39], s[26:27]
; %bb.5111:                             ;   in Loop: Header=BB6_4197 Depth=3
	v_bfe_u32 v3, v2, 21, 1
	v_add_co_u32_e64 v3, s[26:27], v2, v3
	v_add_co_u32_e64 v3, s[26:27], -1, v3
; %bb.5112:                             ;   in Loop: Header=BB6_4197 Depth=3
	s_or_b64 exec, exec, s[38:39]
	v_add_u32_e32 v4, 0xffffff81, v51
	v_mov_b32_e32 v51, 0xffffff82
	v_cndmask_b32_e32 v4, v4, v51, vcc
	v_lshrrev_b32_e32 v51, 23, v2
	v_add3_u32 v53, v53, v4, v51
	v_add_u32_e32 v51, 14, v53
	v_and_b32_e32 v3, 0x1fffff, v3
	v_add_u32_e32 v2, v3, v2
	v_mov_b32_e32 v3, v33
	v_cmp_ne_u32_e32 vcc, 0, v51
                                        ; implicit-def: $vgpr4
	s_and_saveexec_b64 s[26:27], vcc
	s_xor_b64 s[26:27], exec, s[26:27]
; %bb.5113:                             ;   in Loop: Header=BB6_4197 Depth=3
	v_cmp_lt_u64_e32 vcc, s[88:89], v[2:3]
	v_add_u32_e32 v4, 15, v53
	v_cndmask_b32_e32 v4, v51, v4, vcc
	v_cndmask_b32_e64 v51, 0, 1, vcc
	v_lshrrev_b64 v[2:3], v51, v[2:3]
; %bb.5114:                             ;   in Loop: Header=BB6_4197 Depth=3
	s_andn2_saveexec_b64 s[26:27], s[26:27]
; %bb.5115:                             ;   in Loop: Header=BB6_4197 Depth=3
	v_bfe_u32 v4, v2, 23, 1
; %bb.5116:                             ;   in Loop: Header=BB6_4197 Depth=3
	s_or_b64 exec, exec, s[26:27]
	v_lshrrev_b64 v[2:3], 21, v[2:3]
	v_cmp_gt_i32_e32 vcc, 32, v4
	v_cndmask_b32_e32 v3, 0, v3, vcc
	v_cndmask_b32_e32 v2, 3, v2, vcc
	v_cmp_ne_u64_e32 vcc, 0, v[2:3]
	v_cmp_ne_u32_e64 s[26:27], 0, v4
	s_or_b64 s[26:27], s[26:27], vcc
                                        ; implicit-def: $vgpr51
	s_and_saveexec_b64 s[62:63], s[26:27]
	s_xor_b64 s[26:27], exec, s[62:63]
; %bb.5117:                             ;   in Loop: Header=BB6_4197 Depth=3
	v_min_i32_e32 v3, 31, v4
	v_lshl_or_b32 v3, v3, 2, v52
	v_and_or_b32 v51, v2, 3, v3
                                        ; implicit-def: $vgpr52
; %bb.5118:                             ;   in Loop: Header=BB6_4197 Depth=3
	s_andn2_saveexec_b64 s[26:27], s[26:27]
; %bb.5119:                             ;   in Loop: Header=BB6_4197 Depth=3
	v_mov_b32_e32 v51, v52
; %bb.5120:                             ;   in Loop: Header=BB6_4197 Depth=3
	s_or_b64 exec, exec, s[26:27]
.LBB6_5121:                             ;   in Loop: Header=BB6_4197 Depth=3
	s_or_b64 exec, exec, s[36:37]
                                        ; implicit-def: $vgpr52
.LBB6_5122:                             ;   in Loop: Header=BB6_4197 Depth=3
	s_andn2_saveexec_b64 s[26:27], s[34:35]
; %bb.5123:                             ;   in Loop: Header=BB6_4197 Depth=3
	v_or_b32_e32 v51, 0x7b, v52
; %bb.5124:                             ;   in Loop: Header=BB6_4197 Depth=3
	s_or_b64 exec, exec, s[26:27]
                                        ; implicit-def: $vgpr4
                                        ; implicit-def: $vgpr2_vgpr3
.LBB6_5125:                             ;   in Loop: Header=BB6_4197 Depth=3
	s_andn2_saveexec_b64 s[26:27], s[30:31]
	s_cbranch_execz .LBB6_5131
; %bb.5126:                             ;   in Loop: Header=BB6_4197 Depth=3
	v_cmp_ne_u64_e32 vcc, 0, v[2:3]
                                        ; implicit-def: $vgpr51
	s_and_saveexec_b64 s[62:63], vcc
	s_xor_b64 vcc, exec, s[62:63]
; %bb.5127:                             ;   in Loop: Header=BB6_4197 Depth=3
	v_or_b32_sdwa v51, v4, s44 dst_sel:DWORD dst_unused:UNUSED_PAD src0_sel:BYTE_3 src1_sel:DWORD
                                        ; implicit-def: $vgpr4
; %bb.5128:                             ;   in Loop: Header=BB6_4197 Depth=3
	s_andn2_saveexec_b64 s[30:31], vcc
; %bb.5129:                             ;   in Loop: Header=BB6_4197 Depth=3
	v_cmp_lt_i32_e32 vcc, -1, v4
	v_mov_b32_e32 v2, 0x7c
	v_cndmask_b32_e32 v51, -4, v2, vcc
; %bb.5130:                             ;   in Loop: Header=BB6_4197 Depth=3
	s_or_b64 exec, exec, s[30:31]
.LBB6_5131:                             ;   in Loop: Header=BB6_4197 Depth=3
	s_or_b64 exec, exec, s[26:27]
	flat_load_sbyte v2, v[0:1] offset:1856 glc slc
	v_mov_b32_e32 v3, 0
	s_waitcnt vmcnt(0) lgkmcnt(0)
	v_cmp_ne_u16_e32 vcc, 0, v2
	s_and_saveexec_b64 s[26:27], vcc
	s_cbranch_execz .LBB6_5139
; %bb.5132:                             ;   in Loop: Header=BB6_4197 Depth=3
	v_cmp_ne_u16_e32 vcc, s46, v2
	v_bfrev_b32_e32 v3, 1
	s_and_saveexec_b64 s[30:31], vcc
	s_cbranch_execz .LBB6_5138
; %bb.5133:                             ;   in Loop: Header=BB6_4197 Depth=3
	v_and_b32_e32 v3, 0x7c, v2
	v_and_b32_e32 v4, 3, v2
	v_cmp_ne_u32_e32 vcc, s86, v3
                                        ; implicit-def: $vgpr3
	s_and_saveexec_b64 s[62:63], vcc
	s_xor_b64 s[34:35], exec, s[62:63]
	s_cbranch_execz .LBB6_5135
; %bb.5134:                             ;   in Loop: Header=BB6_4197 Depth=3
	v_and_b32_e32 v52, 0xff, v2
	v_bfe_u32 v54, v52, 2, 5
	v_ffbh_u32_e32 v52, v4
	v_min_u32_e32 v55, 32, v52
	v_mov_b32_e32 v3, v33
	v_subrev_u32_e32 v52, 29, v55
	v_lshlrev_b64 v[52:53], v52, v[2:3]
	v_sub_u32_e32 v3, 30, v55
	v_cmp_eq_u32_e32 vcc, 0, v54
	v_and_b32_e32 v52, 3, v52
	v_cndmask_b32_e32 v3, v54, v3, vcc
	v_and_b32_sdwa v2, sext(v2), s87 dst_sel:DWORD dst_unused:UNUSED_PAD src0_sel:WORD_0 src1_sel:DWORD
	v_cndmask_b32_e32 v4, v4, v52, vcc
	v_lshl_add_u32 v2, v3, 23, v2
	v_lshl_or_b32 v2, v4, 21, v2
	v_add_u32_e32 v3, 0x38000000, v2
                                        ; implicit-def: $vgpr4
                                        ; implicit-def: $vgpr2
.LBB6_5135:                             ;   in Loop: Header=BB6_4197 Depth=3
	s_andn2_saveexec_b64 s[34:35], s[34:35]
; %bb.5136:                             ;   in Loop: Header=BB6_4197 Depth=3
	v_cmp_lt_i16_e32 vcc, -1, v2
	v_mov_b32_e32 v2, 0xff800000
	v_mov_b32_e32 v3, 0x7f800000
	v_cndmask_b32_e32 v2, v2, v3, vcc
	v_cmp_eq_u32_e32 vcc, 0, v4
	v_mov_b32_e32 v3, 0x7f800001
	v_cndmask_b32_e32 v3, v3, v2, vcc
; %bb.5137:                             ;   in Loop: Header=BB6_4197 Depth=3
	s_or_b64 exec, exec, s[34:35]
.LBB6_5138:                             ;   in Loop: Header=BB6_4197 Depth=3
	s_or_b64 exec, exec, s[30:31]
.LBB6_5139:                             ;   in Loop: Header=BB6_4197 Depth=3
	s_or_b64 exec, exec, s[26:27]
	v_mul_f32_e32 v4, v14, v3
	v_and_b32_e32 v52, 0x7f800000, v4
	v_mov_b32_e32 v53, v33
	v_cmp_ne_u64_e32 vcc, s[76:77], v[52:53]
	v_and_b32_e32 v2, 0x7fffff, v4
	v_mov_b32_e32 v3, v33
                                        ; implicit-def: $vgpr52
	s_and_saveexec_b64 s[26:27], vcc
	s_xor_b64 s[30:31], exec, s[26:27]
	s_cbranch_execz .LBB6_5157
; %bb.5140:                             ;   in Loop: Header=BB6_4197 Depth=3
	v_and_b32_e32 v52, 0x7fffffff, v4
	v_mov_b32_e32 v53, v33
	v_cmp_gt_u64_e32 vcc, s[78:79], v[52:53]
	v_and_b32_sdwa v53, v4, s97 dst_sel:DWORD dst_unused:UNUSED_PAD src0_sel:BYTE_3 src1_sel:DWORD
                                        ; implicit-def: $vgpr52
	s_and_saveexec_b64 s[26:27], vcc
	s_xor_b64 s[34:35], exec, s[26:27]
	s_cbranch_execz .LBB6_5154
; %bb.5141:                             ;   in Loop: Header=BB6_4197 Depth=3
	v_cmp_ne_u32_e32 vcc, 0, v4
	v_mov_b32_e32 v52, 0
	s_and_saveexec_b64 s[36:37], vcc
	s_cbranch_execz .LBB6_5153
; %bb.5142:                             ;   in Loop: Header=BB6_4197 Depth=3
	v_bfe_u32 v52, v4, 23, 8
	v_cmp_gt_u32_e64 s[26:27], s47, v52
	v_sub_u32_e32 v4, 0x71, v52
	v_cmp_eq_u32_e32 vcc, 0, v52
	v_cndmask_b32_e64 v4, 0, v4, s[26:27]
	v_mov_b32_e32 v54, 0x70
	v_cndmask_b32_e32 v54, v4, v54, vcc
	v_add_u32_e32 v4, 21, v54
	v_or_b32_e32 v55, 0x800000, v2
	v_lshlrev_b64 v[40:41], v4, -1
	v_cndmask_b32_e32 v2, v55, v2, vcc
	v_add_u32_e32 v4, 20, v54
	v_bfi_b32 v40, v40, 0, v2
	v_lshlrev_b64 v[42:43], v4, 1
	v_lshrrev_b64 v[2:3], v54, v[2:3]
	v_bfi_b32 v41, v41, 0, 0
	v_cmp_eq_u64_e64 s[26:27], v[40:41], v[42:43]
	v_mov_b32_e32 v4, v3
	v_mov_b32_e32 v3, v2
	s_and_saveexec_b64 s[38:39], s[26:27]
; %bb.5143:                             ;   in Loop: Header=BB6_4197 Depth=3
	v_bfe_u32 v3, v2, 21, 1
	v_add_co_u32_e64 v3, s[26:27], v2, v3
	v_add_co_u32_e64 v3, s[26:27], -1, v3
; %bb.5144:                             ;   in Loop: Header=BB6_4197 Depth=3
	s_or_b64 exec, exec, s[38:39]
	v_add_u32_e32 v4, 0xffffff81, v52
	v_mov_b32_e32 v52, 0xffffff82
	v_cndmask_b32_e32 v4, v4, v52, vcc
	v_lshrrev_b32_e32 v52, 23, v2
	v_add3_u32 v54, v54, v4, v52
	v_add_u32_e32 v52, 14, v54
	v_and_b32_e32 v3, 0x1fffff, v3
	v_add_u32_e32 v2, v3, v2
	v_mov_b32_e32 v3, v33
	v_cmp_ne_u32_e32 vcc, 0, v52
                                        ; implicit-def: $vgpr4
	s_and_saveexec_b64 s[26:27], vcc
	s_xor_b64 s[26:27], exec, s[26:27]
; %bb.5145:                             ;   in Loop: Header=BB6_4197 Depth=3
	v_cmp_lt_u64_e32 vcc, s[88:89], v[2:3]
	v_add_u32_e32 v4, 15, v54
	v_cndmask_b32_e32 v4, v52, v4, vcc
	v_cndmask_b32_e64 v52, 0, 1, vcc
	v_lshrrev_b64 v[2:3], v52, v[2:3]
; %bb.5146:                             ;   in Loop: Header=BB6_4197 Depth=3
	s_andn2_saveexec_b64 s[26:27], s[26:27]
; %bb.5147:                             ;   in Loop: Header=BB6_4197 Depth=3
	v_bfe_u32 v4, v2, 23, 1
; %bb.5148:                             ;   in Loop: Header=BB6_4197 Depth=3
	s_or_b64 exec, exec, s[26:27]
	v_lshrrev_b64 v[2:3], 21, v[2:3]
	v_cmp_gt_i32_e32 vcc, 32, v4
	v_cndmask_b32_e32 v3, 0, v3, vcc
	v_cndmask_b32_e32 v2, 3, v2, vcc
	v_cmp_ne_u64_e32 vcc, 0, v[2:3]
	v_cmp_ne_u32_e64 s[26:27], 0, v4
	s_or_b64 s[26:27], s[26:27], vcc
                                        ; implicit-def: $vgpr52
	s_and_saveexec_b64 s[62:63], s[26:27]
	s_xor_b64 s[26:27], exec, s[62:63]
; %bb.5149:                             ;   in Loop: Header=BB6_4197 Depth=3
	v_min_i32_e32 v3, 31, v4
	v_lshl_or_b32 v3, v3, 2, v53
	v_and_or_b32 v52, v2, 3, v3
                                        ; implicit-def: $vgpr53
; %bb.5150:                             ;   in Loop: Header=BB6_4197 Depth=3
	s_andn2_saveexec_b64 s[26:27], s[26:27]
; %bb.5151:                             ;   in Loop: Header=BB6_4197 Depth=3
	v_mov_b32_e32 v52, v53
; %bb.5152:                             ;   in Loop: Header=BB6_4197 Depth=3
	s_or_b64 exec, exec, s[26:27]
.LBB6_5153:                             ;   in Loop: Header=BB6_4197 Depth=3
	s_or_b64 exec, exec, s[36:37]
                                        ; implicit-def: $vgpr53
.LBB6_5154:                             ;   in Loop: Header=BB6_4197 Depth=3
	s_andn2_saveexec_b64 s[26:27], s[34:35]
; %bb.5155:                             ;   in Loop: Header=BB6_4197 Depth=3
	v_or_b32_e32 v52, 0x7b, v53
; %bb.5156:                             ;   in Loop: Header=BB6_4197 Depth=3
	s_or_b64 exec, exec, s[26:27]
                                        ; implicit-def: $vgpr4
                                        ; implicit-def: $vgpr2_vgpr3
.LBB6_5157:                             ;   in Loop: Header=BB6_4197 Depth=3
	s_andn2_saveexec_b64 s[26:27], s[30:31]
	s_cbranch_execz .LBB6_5163
; %bb.5158:                             ;   in Loop: Header=BB6_4197 Depth=3
	v_cmp_ne_u64_e32 vcc, 0, v[2:3]
                                        ; implicit-def: $vgpr52
	s_and_saveexec_b64 s[62:63], vcc
	s_xor_b64 vcc, exec, s[62:63]
; %bb.5159:                             ;   in Loop: Header=BB6_4197 Depth=3
	v_or_b32_sdwa v52, v4, s44 dst_sel:DWORD dst_unused:UNUSED_PAD src0_sel:BYTE_3 src1_sel:DWORD
                                        ; implicit-def: $vgpr4
; %bb.5160:                             ;   in Loop: Header=BB6_4197 Depth=3
	s_andn2_saveexec_b64 s[30:31], vcc
; %bb.5161:                             ;   in Loop: Header=BB6_4197 Depth=3
	v_cmp_lt_i32_e32 vcc, -1, v4
	v_mov_b32_e32 v2, 0x7c
	v_cndmask_b32_e32 v52, -4, v2, vcc
; %bb.5162:                             ;   in Loop: Header=BB6_4197 Depth=3
	s_or_b64 exec, exec, s[30:31]
.LBB6_5163:                             ;   in Loop: Header=BB6_4197 Depth=3
	s_or_b64 exec, exec, s[26:27]
	flat_load_sbyte v2, v[0:1] offset:1920 glc slc
	v_mov_b32_e32 v3, 0
	s_waitcnt vmcnt(0) lgkmcnt(0)
	v_cmp_ne_u16_e32 vcc, 0, v2
	s_and_saveexec_b64 s[26:27], vcc
	s_cbranch_execz .LBB6_5171
; %bb.5164:                             ;   in Loop: Header=BB6_4197 Depth=3
	v_cmp_ne_u16_e32 vcc, s46, v2
	v_bfrev_b32_e32 v3, 1
	s_and_saveexec_b64 s[30:31], vcc
	s_cbranch_execz .LBB6_5170
; %bb.5165:                             ;   in Loop: Header=BB6_4197 Depth=3
	v_and_b32_e32 v3, 0x7c, v2
	v_and_b32_e32 v4, 3, v2
	v_cmp_ne_u32_e32 vcc, s86, v3
                                        ; implicit-def: $vgpr3
	s_and_saveexec_b64 s[62:63], vcc
	s_xor_b64 s[34:35], exec, s[62:63]
	s_cbranch_execz .LBB6_5167
; %bb.5166:                             ;   in Loop: Header=BB6_4197 Depth=3
	v_and_b32_e32 v53, 0xff, v2
	v_bfe_u32 v55, v53, 2, 5
	v_ffbh_u32_e32 v53, v4
	v_min_u32_e32 v40, 32, v53
	v_mov_b32_e32 v3, v33
	v_subrev_u32_e32 v53, 29, v40
	v_lshlrev_b64 v[53:54], v53, v[2:3]
	v_sub_u32_e32 v3, 30, v40
	v_cmp_eq_u32_e32 vcc, 0, v55
	v_and_b32_e32 v53, 3, v53
	v_cndmask_b32_e32 v3, v55, v3, vcc
	v_and_b32_sdwa v2, sext(v2), s87 dst_sel:DWORD dst_unused:UNUSED_PAD src0_sel:WORD_0 src1_sel:DWORD
	v_cndmask_b32_e32 v4, v4, v53, vcc
	v_lshl_add_u32 v2, v3, 23, v2
	v_lshl_or_b32 v2, v4, 21, v2
	v_add_u32_e32 v3, 0x38000000, v2
                                        ; implicit-def: $vgpr4
                                        ; implicit-def: $vgpr2
.LBB6_5167:                             ;   in Loop: Header=BB6_4197 Depth=3
	s_andn2_saveexec_b64 s[34:35], s[34:35]
; %bb.5168:                             ;   in Loop: Header=BB6_4197 Depth=3
	v_cmp_lt_i16_e32 vcc, -1, v2
	v_mov_b32_e32 v2, 0xff800000
	v_mov_b32_e32 v3, 0x7f800000
	v_cndmask_b32_e32 v2, v2, v3, vcc
	v_cmp_eq_u32_e32 vcc, 0, v4
	v_mov_b32_e32 v3, 0x7f800001
	v_cndmask_b32_e32 v3, v3, v2, vcc
; %bb.5169:                             ;   in Loop: Header=BB6_4197 Depth=3
	s_or_b64 exec, exec, s[34:35]
.LBB6_5170:                             ;   in Loop: Header=BB6_4197 Depth=3
	s_or_b64 exec, exec, s[30:31]
.LBB6_5171:                             ;   in Loop: Header=BB6_4197 Depth=3
	s_or_b64 exec, exec, s[26:27]
	v_mul_f32_e32 v54, v14, v3
	v_and_b32_e32 v3, 0x7f800000, v54
	v_mov_b32_e32 v4, v33
	v_cmp_ne_u64_e32 vcc, s[76:77], v[3:4]
	v_and_b32_e32 v2, 0x7fffff, v54
	v_mov_b32_e32 v3, v33
                                        ; implicit-def: $vgpr4
	s_and_saveexec_b64 s[26:27], vcc
	s_xor_b64 s[30:31], exec, s[26:27]
	s_cbranch_execz .LBB6_5189
; %bb.5172:                             ;   in Loop: Header=BB6_4197 Depth=3
	v_and_b32_e32 v40, 0x7fffffff, v54
	v_mov_b32_e32 v41, v33
	v_cmp_gt_u64_e32 vcc, s[78:79], v[40:41]
	v_and_b32_sdwa v53, v54, s97 dst_sel:DWORD dst_unused:UNUSED_PAD src0_sel:BYTE_3 src1_sel:DWORD
                                        ; implicit-def: $vgpr4
	s_and_saveexec_b64 s[26:27], vcc
	s_xor_b64 s[34:35], exec, s[26:27]
	s_cbranch_execz .LBB6_5186
; %bb.5173:                             ;   in Loop: Header=BB6_4197 Depth=3
	v_cmp_ne_u32_e32 vcc, 0, v54
	v_mov_b32_e32 v4, 0
	s_and_saveexec_b64 s[36:37], vcc
	s_cbranch_execz .LBB6_5185
; %bb.5174:                             ;   in Loop: Header=BB6_4197 Depth=3
	v_bfe_u32 v54, v54, 23, 8
	v_cmp_gt_u32_e64 s[26:27], s47, v54
	v_sub_u32_e32 v4, 0x71, v54
	v_cmp_eq_u32_e32 vcc, 0, v54
	v_cndmask_b32_e64 v4, 0, v4, s[26:27]
	v_mov_b32_e32 v55, 0x70
	v_cndmask_b32_e32 v55, v4, v55, vcc
	v_or_b32_e32 v40, 0x800000, v2
	v_add_u32_e32 v4, 21, v55
	v_cndmask_b32_e32 v2, v40, v2, vcc
	v_lshlrev_b64 v[40:41], v4, -1
	v_add_u32_e32 v4, 20, v55
	v_bfi_b32 v40, v40, 0, v2
	v_lshlrev_b64 v[42:43], v4, 1
	v_lshrrev_b64 v[2:3], v55, v[2:3]
	v_bfi_b32 v41, v41, 0, 0
	v_cmp_eq_u64_e64 s[26:27], v[40:41], v[42:43]
	v_mov_b32_e32 v4, v3
	v_mov_b32_e32 v3, v2
	s_and_saveexec_b64 s[38:39], s[26:27]
; %bb.5175:                             ;   in Loop: Header=BB6_4197 Depth=3
	v_bfe_u32 v3, v2, 21, 1
	v_add_co_u32_e64 v3, s[26:27], v2, v3
	v_add_co_u32_e64 v3, s[26:27], -1, v3
; %bb.5176:                             ;   in Loop: Header=BB6_4197 Depth=3
	s_or_b64 exec, exec, s[38:39]
	v_add_u32_e32 v4, 0xffffff81, v54
	v_mov_b32_e32 v54, 0xffffff82
	v_cndmask_b32_e32 v4, v4, v54, vcc
	v_lshrrev_b32_e32 v54, 23, v2
	v_add3_u32 v55, v55, v4, v54
	v_add_u32_e32 v4, 14, v55
	v_and_b32_e32 v3, 0x1fffff, v3
	v_add_u32_e32 v2, v3, v2
	v_mov_b32_e32 v3, v33
	v_cmp_ne_u32_e32 vcc, 0, v4
                                        ; implicit-def: $vgpr54
	s_and_saveexec_b64 s[26:27], vcc
	s_xor_b64 s[26:27], exec, s[26:27]
; %bb.5177:                             ;   in Loop: Header=BB6_4197 Depth=3
	v_cmp_lt_u64_e32 vcc, s[88:89], v[2:3]
	v_add_u32_e32 v54, 15, v55
	v_cndmask_b32_e32 v54, v4, v54, vcc
	v_cndmask_b32_e64 v4, 0, 1, vcc
	v_lshrrev_b64 v[2:3], v4, v[2:3]
; %bb.5178:                             ;   in Loop: Header=BB6_4197 Depth=3
	s_andn2_saveexec_b64 s[26:27], s[26:27]
; %bb.5179:                             ;   in Loop: Header=BB6_4197 Depth=3
	v_bfe_u32 v54, v2, 23, 1
; %bb.5180:                             ;   in Loop: Header=BB6_4197 Depth=3
	s_or_b64 exec, exec, s[26:27]
	v_lshrrev_b64 v[2:3], 21, v[2:3]
	v_cmp_gt_i32_e32 vcc, 32, v54
	v_cndmask_b32_e32 v3, 0, v3, vcc
	v_cndmask_b32_e32 v2, 3, v2, vcc
	v_cmp_ne_u64_e32 vcc, 0, v[2:3]
	v_cmp_ne_u32_e64 s[26:27], 0, v54
	s_or_b64 s[26:27], s[26:27], vcc
                                        ; implicit-def: $vgpr4
	s_and_saveexec_b64 s[62:63], s[26:27]
	s_xor_b64 s[26:27], exec, s[62:63]
; %bb.5181:                             ;   in Loop: Header=BB6_4197 Depth=3
	v_min_i32_e32 v3, 31, v54
	v_lshl_or_b32 v3, v3, 2, v53
	v_and_or_b32 v4, v2, 3, v3
                                        ; implicit-def: $vgpr53
; %bb.5182:                             ;   in Loop: Header=BB6_4197 Depth=3
	s_andn2_saveexec_b64 s[26:27], s[26:27]
; %bb.5183:                             ;   in Loop: Header=BB6_4197 Depth=3
	v_mov_b32_e32 v4, v53
; %bb.5184:                             ;   in Loop: Header=BB6_4197 Depth=3
	s_or_b64 exec, exec, s[26:27]
.LBB6_5185:                             ;   in Loop: Header=BB6_4197 Depth=3
	s_or_b64 exec, exec, s[36:37]
                                        ; implicit-def: $vgpr53
.LBB6_5186:                             ;   in Loop: Header=BB6_4197 Depth=3
	s_andn2_saveexec_b64 s[26:27], s[34:35]
; %bb.5187:                             ;   in Loop: Header=BB6_4197 Depth=3
	v_or_b32_e32 v4, 0x7b, v53
; %bb.5188:                             ;   in Loop: Header=BB6_4197 Depth=3
	s_or_b64 exec, exec, s[26:27]
                                        ; implicit-def: $vgpr54
                                        ; implicit-def: $vgpr2_vgpr3
.LBB6_5189:                             ;   in Loop: Header=BB6_4197 Depth=3
	s_andn2_saveexec_b64 s[26:27], s[30:31]
	s_cbranch_execz .LBB6_5195
; %bb.5190:                             ;   in Loop: Header=BB6_4197 Depth=3
	v_cmp_ne_u64_e32 vcc, 0, v[2:3]
                                        ; implicit-def: $vgpr4
	s_and_saveexec_b64 s[62:63], vcc
	s_xor_b64 vcc, exec, s[62:63]
; %bb.5191:                             ;   in Loop: Header=BB6_4197 Depth=3
	v_or_b32_sdwa v4, v54, s44 dst_sel:DWORD dst_unused:UNUSED_PAD src0_sel:BYTE_3 src1_sel:DWORD
                                        ; implicit-def: $vgpr54
; %bb.5192:                             ;   in Loop: Header=BB6_4197 Depth=3
	s_andn2_saveexec_b64 s[30:31], vcc
; %bb.5193:                             ;   in Loop: Header=BB6_4197 Depth=3
	v_cmp_lt_i32_e32 vcc, -1, v54
	v_mov_b32_e32 v2, 0x7c
	v_cndmask_b32_e32 v4, -4, v2, vcc
; %bb.5194:                             ;   in Loop: Header=BB6_4197 Depth=3
	s_or_b64 exec, exec, s[30:31]
.LBB6_5195:                             ;   in Loop: Header=BB6_4197 Depth=3
	s_or_b64 exec, exec, s[26:27]
	flat_load_sbyte v0, v[0:1] offset:1984 glc slc
	v_mov_b32_e32 v1, 0
	s_waitcnt vmcnt(0) lgkmcnt(0)
	v_cmp_ne_u16_e32 vcc, 0, v0
	s_and_saveexec_b64 s[26:27], vcc
	s_cbranch_execz .LBB6_5203
; %bb.5196:                             ;   in Loop: Header=BB6_4197 Depth=3
	v_cmp_ne_u16_e32 vcc, s46, v0
	v_bfrev_b32_e32 v1, 1
	s_and_saveexec_b64 s[30:31], vcc
	s_cbranch_execz .LBB6_5202
; %bb.5197:                             ;   in Loop: Header=BB6_4197 Depth=3
	v_and_b32_e32 v1, 0x7c, v0
	v_and_b32_e32 v2, 3, v0
	v_cmp_ne_u32_e32 vcc, s86, v1
                                        ; implicit-def: $vgpr1
	s_and_saveexec_b64 s[62:63], vcc
	s_xor_b64 s[34:35], exec, s[62:63]
	s_cbranch_execz .LBB6_5199
; %bb.5198:                             ;   in Loop: Header=BB6_4197 Depth=3
	v_ffbh_u32_e32 v53, v2
	v_min_u32_e32 v55, 32, v53
	v_and_b32_e32 v3, 0xff, v0
	v_mov_b32_e32 v1, v33
	v_subrev_u32_e32 v53, 29, v55
	v_bfe_u32 v3, v3, 2, 5
	v_lshlrev_b64 v[53:54], v53, v[0:1]
	v_sub_u32_e32 v1, 30, v55
	v_cmp_eq_u32_e32 vcc, 0, v3
	v_and_b32_e32 v53, 3, v53
	v_cndmask_b32_e32 v1, v3, v1, vcc
	v_and_b32_sdwa v0, sext(v0), s87 dst_sel:DWORD dst_unused:UNUSED_PAD src0_sel:WORD_0 src1_sel:DWORD
	v_cndmask_b32_e32 v2, v2, v53, vcc
	v_lshl_add_u32 v0, v1, 23, v0
	v_lshl_or_b32 v0, v2, 21, v0
	v_add_u32_e32 v1, 0x38000000, v0
                                        ; implicit-def: $vgpr2
                                        ; implicit-def: $vgpr0
.LBB6_5199:                             ;   in Loop: Header=BB6_4197 Depth=3
	s_andn2_saveexec_b64 s[34:35], s[34:35]
; %bb.5200:                             ;   in Loop: Header=BB6_4197 Depth=3
	v_cmp_lt_i16_e32 vcc, -1, v0
	v_mov_b32_e32 v0, 0xff800000
	v_mov_b32_e32 v1, 0x7f800000
	v_cndmask_b32_e32 v0, v0, v1, vcc
	v_cmp_eq_u32_e32 vcc, 0, v2
	v_mov_b32_e32 v1, 0x7f800001
	v_cndmask_b32_e32 v1, v1, v0, vcc
; %bb.5201:                             ;   in Loop: Header=BB6_4197 Depth=3
	s_or_b64 exec, exec, s[34:35]
.LBB6_5202:                             ;   in Loop: Header=BB6_4197 Depth=3
	s_or_b64 exec, exec, s[30:31]
.LBB6_5203:                             ;   in Loop: Header=BB6_4197 Depth=3
	s_or_b64 exec, exec, s[26:27]
	v_mul_f32_e32 v14, v14, v1
	v_and_b32_e32 v1, 0x7f800000, v14
	v_mov_b32_e32 v2, v33
	v_cmp_ne_u64_e32 vcc, s[76:77], v[1:2]
	v_and_b32_e32 v0, 0x7fffff, v14
	v_mov_b32_e32 v1, v33
                                        ; implicit-def: $vgpr2
	s_and_saveexec_b64 s[26:27], vcc
	s_xor_b64 s[30:31], exec, s[26:27]
	s_cbranch_execz .LBB6_5221
; %bb.5204:                             ;   in Loop: Header=BB6_4197 Depth=3
	v_and_b32_e32 v2, 0x7fffffff, v14
	v_mov_b32_e32 v3, v33
	v_cmp_gt_u64_e32 vcc, s[78:79], v[2:3]
	v_and_b32_sdwa v3, v14, s97 dst_sel:DWORD dst_unused:UNUSED_PAD src0_sel:BYTE_3 src1_sel:DWORD
                                        ; implicit-def: $vgpr2
	s_and_saveexec_b64 s[26:27], vcc
	s_xor_b64 s[34:35], exec, s[26:27]
	s_cbranch_execz .LBB6_5218
; %bb.5205:                             ;   in Loop: Header=BB6_4197 Depth=3
	v_cmp_ne_u32_e32 vcc, 0, v14
	v_mov_b32_e32 v2, 0
	s_and_saveexec_b64 s[36:37], vcc
	s_cbranch_execz .LBB6_5217
; %bb.5206:                             ;   in Loop: Header=BB6_4197 Depth=3
	v_bfe_u32 v14, v14, 23, 8
	v_cmp_gt_u32_e64 s[26:27], s47, v14
	v_sub_u32_e32 v2, 0x71, v14
	v_cmp_eq_u32_e32 vcc, 0, v14
	v_cndmask_b32_e64 v2, 0, v2, s[26:27]
	v_mov_b32_e32 v53, 0x70
	v_cndmask_b32_e32 v53, v2, v53, vcc
	v_or_b32_e32 v54, 0x800000, v0
	v_add_u32_e32 v2, 21, v53
	v_cndmask_b32_e32 v0, v54, v0, vcc
	v_lshlrev_b64 v[54:55], v2, -1
	v_add_u32_e32 v2, 20, v53
	v_bfi_b32 v54, v54, 0, v0
	v_lshlrev_b64 v[40:41], v2, 1
	v_lshrrev_b64 v[0:1], v53, v[0:1]
	v_bfi_b32 v55, v55, 0, 0
	v_cmp_eq_u64_e64 s[26:27], v[54:55], v[40:41]
	v_mov_b32_e32 v2, v1
	v_mov_b32_e32 v1, v0
	s_and_saveexec_b64 s[38:39], s[26:27]
; %bb.5207:                             ;   in Loop: Header=BB6_4197 Depth=3
	v_bfe_u32 v1, v0, 21, 1
	v_add_co_u32_e64 v1, s[26:27], v0, v1
	v_add_co_u32_e64 v1, s[26:27], -1, v1
; %bb.5208:                             ;   in Loop: Header=BB6_4197 Depth=3
	s_or_b64 exec, exec, s[38:39]
	v_add_u32_e32 v2, 0xffffff81, v14
	v_mov_b32_e32 v14, 0xffffff82
	v_cndmask_b32_e32 v2, v2, v14, vcc
	v_lshrrev_b32_e32 v14, 23, v0
	v_add3_u32 v53, v53, v2, v14
	v_add_u32_e32 v2, 14, v53
	v_and_b32_e32 v1, 0x1fffff, v1
	v_add_u32_e32 v0, v1, v0
	v_mov_b32_e32 v1, v33
	v_cmp_ne_u32_e32 vcc, 0, v2
                                        ; implicit-def: $vgpr14
	s_and_saveexec_b64 s[26:27], vcc
	s_xor_b64 s[26:27], exec, s[26:27]
; %bb.5209:                             ;   in Loop: Header=BB6_4197 Depth=3
	v_cmp_lt_u64_e32 vcc, s[88:89], v[0:1]
	v_add_u32_e32 v14, 15, v53
	v_cndmask_b32_e32 v14, v2, v14, vcc
	v_cndmask_b32_e64 v2, 0, 1, vcc
	v_lshrrev_b64 v[0:1], v2, v[0:1]
; %bb.5210:                             ;   in Loop: Header=BB6_4197 Depth=3
	s_andn2_saveexec_b64 s[26:27], s[26:27]
; %bb.5211:                             ;   in Loop: Header=BB6_4197 Depth=3
	v_bfe_u32 v14, v0, 23, 1
; %bb.5212:                             ;   in Loop: Header=BB6_4197 Depth=3
	s_or_b64 exec, exec, s[26:27]
	v_lshrrev_b64 v[0:1], 21, v[0:1]
	v_cmp_gt_i32_e32 vcc, 32, v14
	v_cndmask_b32_e32 v1, 0, v1, vcc
	v_cndmask_b32_e32 v0, 3, v0, vcc
	v_cmp_ne_u64_e32 vcc, 0, v[0:1]
	v_cmp_ne_u32_e64 s[26:27], 0, v14
	s_or_b64 s[26:27], s[26:27], vcc
                                        ; implicit-def: $vgpr2
	s_and_saveexec_b64 s[62:63], s[26:27]
	s_xor_b64 s[26:27], exec, s[62:63]
; %bb.5213:                             ;   in Loop: Header=BB6_4197 Depth=3
	v_min_i32_e32 v1, 31, v14
	v_lshl_or_b32 v1, v1, 2, v3
	v_and_or_b32 v2, v0, 3, v1
                                        ; implicit-def: $vgpr3
; %bb.5214:                             ;   in Loop: Header=BB6_4197 Depth=3
	s_andn2_saveexec_b64 s[26:27], s[26:27]
; %bb.5215:                             ;   in Loop: Header=BB6_4197 Depth=3
	v_mov_b32_e32 v2, v3
; %bb.5216:                             ;   in Loop: Header=BB6_4197 Depth=3
	s_or_b64 exec, exec, s[26:27]
.LBB6_5217:                             ;   in Loop: Header=BB6_4197 Depth=3
	s_or_b64 exec, exec, s[36:37]
                                        ; implicit-def: $vgpr3
.LBB6_5218:                             ;   in Loop: Header=BB6_4197 Depth=3
	s_andn2_saveexec_b64 s[26:27], s[34:35]
; %bb.5219:                             ;   in Loop: Header=BB6_4197 Depth=3
	v_or_b32_e32 v2, 0x7b, v3
; %bb.5220:                             ;   in Loop: Header=BB6_4197 Depth=3
	s_or_b64 exec, exec, s[26:27]
                                        ; implicit-def: $vgpr14
                                        ; implicit-def: $vgpr0_vgpr1
.LBB6_5221:                             ;   in Loop: Header=BB6_4197 Depth=3
	s_andn2_saveexec_b64 s[26:27], s[30:31]
	s_cbranch_execz .LBB6_4196
; %bb.5222:                             ;   in Loop: Header=BB6_4197 Depth=3
	v_cmp_ne_u64_e32 vcc, 0, v[0:1]
                                        ; implicit-def: $vgpr2
	s_and_saveexec_b64 s[62:63], vcc
	s_xor_b64 vcc, exec, s[62:63]
; %bb.5223:                             ;   in Loop: Header=BB6_4197 Depth=3
	v_or_b32_sdwa v2, v14, s44 dst_sel:DWORD dst_unused:UNUSED_PAD src0_sel:BYTE_3 src1_sel:DWORD
                                        ; implicit-def: $vgpr14
; %bb.5224:                             ;   in Loop: Header=BB6_4197 Depth=3
	s_andn2_saveexec_b64 s[30:31], vcc
	s_cbranch_execz .LBB6_4195
; %bb.5225:                             ;   in Loop: Header=BB6_4197 Depth=3
	v_cmp_lt_i32_e32 vcc, -1, v14
	v_mov_b32_e32 v0, 0x7c
	v_cndmask_b32_e32 v2, -4, v0, vcc
	s_branch .LBB6_4195
.LBB6_5226:                             ;   in Loop: Header=BB6_57 Depth=2
	s_or_b64 exec, exec, s[94:95]
.LBB6_5227:                             ;   in Loop: Header=BB6_57 Depth=2
	s_or_b64 exec, exec, s[40:41]
	v_lshlrev_b32_e32 v0, 11, v10
	v_cmp_ne_u32_e32 vcc, v6, v0
	s_and_b64 exec, exec, vcc
	s_cbranch_execz .LBB6_5269
; %bb.5228:                             ;   in Loop: Header=BB6_57 Depth=2
	v_lshlrev_b32_e32 v1, 6, v8
	v_sub_u32_e32 v1, v7, v1
	v_lshlrev_b32_e32 v2, 6, v9
	v_sub_u32_e32 v1, v1, v2
	v_add_u32_e32 v0, v0, v1
	v_sub_u32_e32 v7, v6, v0
	v_cmp_lt_i32_e32 vcc, 0, v7
	s_and_b64 exec, exec, vcc
	s_cbranch_execz .LBB6_5269
; %bb.5229:                             ;   in Loop: Header=BB6_57 Depth=2
	v_add_u32_e32 v8, v0, v5
	s_trap 2
	ds_read_b64 v[0:1], v0
	v_ashrrev_i32_e32 v9, 31, v8
	s_mov_b64 s[40:41], 0
	s_branch .LBB6_5232
.LBB6_5230:                             ;   in Loop: Header=BB6_5232 Depth=3
	s_or_b64 exec, exec, s[94:95]
.LBB6_5231:                             ;   in Loop: Header=BB6_5232 Depth=3
	s_or_b64 exec, exec, s[26:27]
	flat_store_byte v[2:3], v6 glc slc
	buffer_load_dword v2, off, s[0:3], s33 offset:404 ; 4-byte Folded Reload
	s_waitcnt vmcnt(0)
	v_sub_u32_e32 v7, v7, v2
	v_cmp_gt_i32_e32 vcc, 1, v7
	s_or_b64 s[40:41], vcc, s[40:41]
	v_add_co_u32_e32 v8, vcc, v8, v2
	v_addc_co_u32_e32 v9, vcc, 0, v9, vcc
	s_andn2_b64 exec, exec, s[40:41]
	s_cbranch_execz .LBB6_5269
.LBB6_5232:                             ;   Parent Loop BB6_47 Depth=1
                                        ;     Parent Loop BB6_57 Depth=2
                                        ; =>    This Inner Loop Header: Depth=3
	s_trap 2
	s_waitcnt lgkmcnt(0)
	ds_read_b64 v[2:3], v0
	v_mov_b32_e32 v5, 0
	v_mov_b32_e32 v6, 0
	s_waitcnt lgkmcnt(0)
	v_cmp_eq_u32_sdwa s[62:63], v2, v33 src0_sel:BYTE_0 src1_sel:DWORD
	v_readfirstlane_b32 s26, v2
	v_readfirstlane_b32 s27, v3
	s_and_b64 vcc, exec, s[62:63]
	s_cbranch_vccnz .LBB6_5238
; %bb.5233:                             ;   in Loop: Header=BB6_5232 Depth=3
	s_bfe_i32 s63, s26, 0x80000
	s_and_b32 s62, 0xffff, s63
	s_cmpk_eq_u32 s62, 0xff80
	v_bfrev_b32_e32 v6, 1
	s_cbranch_scc1 .LBB6_5238
; %bb.5234:                             ;   in Loop: Header=BB6_5232 Depth=3
	s_and_b32 s62, s26, 3
	s_and_b32 vcc_lo, s26, 0x7c
	s_mov_b64 s[94:95], -1
	s_cmpk_lg_i32 vcc_lo, 0x7c
	s_sext_i32_i16 s63, s63
                                        ; implicit-def: $sgpr30
	s_cbranch_scc0 .LBB6_5236
; %bb.5235:                             ;   in Loop: Header=BB6_5232 Depth=3
	s_flbit_i32_b32 s95, s62
	s_min_u32 s95, s95, 32
	s_sub_i32 vcc_lo, s95, 29
	s_bfe_u32 s94, s26, 0x50002
	s_lshl_b64 s[26:27], s[26:27], vcc_lo
	s_sub_i32 s27, 30, s95
	s_and_b32 s26, s26, 3
	s_cmp_eq_u32 s94, 0
	s_cselect_b32 s27, s27, s94
	s_cselect_b32 s26, s26, s62
	s_and_b32 s94, s63, 0x80000000
	s_lshl_b32 s27, s27, 23
	s_add_i32 s27, s27, s94
	s_lshl_b32 s26, s26, 21
	s_or_b32 s26, s27, s26
	s_add_i32 s30, s26, 0x38000000
	s_mov_b64 s[94:95], 0
.LBB6_5236:                             ;   in Loop: Header=BB6_5232 Depth=3
	s_andn2_b64 vcc, exec, s[94:95]
	v_mov_b32_e32 v6, s30
	s_cbranch_vccnz .LBB6_5238
; %bb.5237:                             ;   in Loop: Header=BB6_5232 Depth=3
	s_cmp_eq_u32 s62, 0
	s_cselect_b64 vcc, -1, 0
	s_cmp_gt_i32 s63, -1
	s_cselect_b64 s[26:27], -1, 0
	v_mov_b32_e32 v2, 0xff800000
	v_mov_b32_e32 v3, 0x7f800000
	v_cndmask_b32_e64 v2, v2, v3, s[26:27]
	v_mov_b32_e32 v3, 0x7f800001
	v_cndmask_b32_e32 v6, v3, v2, vcc
.LBB6_5238:                             ;   in Loop: Header=BB6_5232 Depth=3
	v_add_co_u32_e32 v2, vcc, v0, v8
	v_addc_co_u32_e32 v3, vcc, v1, v9, vcc
	flat_load_sbyte v4, v[2:3] glc slc
	s_waitcnt vmcnt(0) lgkmcnt(0)
	v_cmp_ne_u16_e32 vcc, 0, v4
	s_and_saveexec_b64 s[26:27], vcc
	s_cbranch_execz .LBB6_5246
; %bb.5239:                             ;   in Loop: Header=BB6_5232 Depth=3
	v_cmp_ne_u16_e32 vcc, s46, v4
	v_bfrev_b32_e32 v5, 1
	s_and_saveexec_b64 s[94:95], vcc
	s_cbranch_execz .LBB6_5245
; %bb.5240:                             ;   in Loop: Header=BB6_5232 Depth=3
	v_and_b32_e32 v5, 0x7c, v4
	v_and_b32_e32 v10, 3, v4
	v_cmp_ne_u32_e32 vcc, s86, v5
                                        ; implicit-def: $vgpr5
	s_and_saveexec_b64 s[62:63], vcc
	s_xor_b64 s[30:31], exec, s[62:63]
	s_cbranch_execz .LBB6_5242
; %bb.5241:                             ;   in Loop: Header=BB6_5232 Depth=3
	v_and_b32_e32 v11, 0xff, v4
	v_bfe_u32 v13, v11, 2, 5
	v_ffbh_u32_e32 v11, v10
	v_min_u32_e32 v14, 32, v11
	v_mov_b32_e32 v5, v33
	v_subrev_u32_e32 v11, 29, v14
	v_lshlrev_b64 v[11:12], v11, v[4:5]
	v_sub_u32_e32 v5, 30, v14
	v_cmp_eq_u32_e32 vcc, 0, v13
	v_and_b32_e32 v11, 3, v11
	v_cndmask_b32_e32 v5, v13, v5, vcc
	v_and_b32_sdwa v4, sext(v4), s87 dst_sel:DWORD dst_unused:UNUSED_PAD src0_sel:WORD_0 src1_sel:DWORD
	v_cndmask_b32_e32 v10, v10, v11, vcc
	v_lshl_add_u32 v4, v5, 23, v4
	v_lshl_or_b32 v4, v10, 21, v4
	v_add_u32_e32 v5, 0x38000000, v4
                                        ; implicit-def: $vgpr10
                                        ; implicit-def: $vgpr4
.LBB6_5242:                             ;   in Loop: Header=BB6_5232 Depth=3
	s_andn2_saveexec_b64 s[30:31], s[30:31]
; %bb.5243:                             ;   in Loop: Header=BB6_5232 Depth=3
	v_cmp_lt_i16_e32 vcc, -1, v4
	v_mov_b32_e32 v4, 0xff800000
	v_mov_b32_e32 v5, 0x7f800000
	v_cndmask_b32_e32 v4, v4, v5, vcc
	v_cmp_eq_u32_e32 vcc, 0, v10
	v_mov_b32_e32 v5, 0x7f800001
	v_cndmask_b32_e32 v5, v5, v4, vcc
; %bb.5244:                             ;   in Loop: Header=BB6_5232 Depth=3
	s_or_b64 exec, exec, s[30:31]
.LBB6_5245:                             ;   in Loop: Header=BB6_5232 Depth=3
	s_or_b64 exec, exec, s[94:95]
.LBB6_5246:                             ;   in Loop: Header=BB6_5232 Depth=3
	s_or_b64 exec, exec, s[26:27]
	v_mul_f32_e32 v11, v6, v5
	v_and_b32_e32 v5, 0x7f800000, v11
	v_mov_b32_e32 v6, v33
	v_cmp_ne_u64_e32 vcc, s[76:77], v[5:6]
	v_and_b32_e32 v4, 0x7fffff, v11
	v_mov_b32_e32 v5, v33
                                        ; implicit-def: $vgpr6
	s_and_saveexec_b64 s[26:27], vcc
	s_xor_b64 s[94:95], exec, s[26:27]
	s_cbranch_execz .LBB6_5264
; %bb.5247:                             ;   in Loop: Header=BB6_5232 Depth=3
	v_and_b32_e32 v12, 0x7fffffff, v11
	v_mov_b32_e32 v13, v33
	v_cmp_gt_u64_e32 vcc, s[78:79], v[12:13]
	v_and_b32_sdwa v10, v11, s97 dst_sel:DWORD dst_unused:UNUSED_PAD src0_sel:BYTE_3 src1_sel:DWORD
                                        ; implicit-def: $vgpr6
	s_and_saveexec_b64 s[26:27], vcc
	s_xor_b64 s[30:31], exec, s[26:27]
	s_cbranch_execz .LBB6_5261
; %bb.5248:                             ;   in Loop: Header=BB6_5232 Depth=3
	v_cmp_ne_u32_e32 vcc, 0, v11
	v_mov_b32_e32 v6, 0
	s_and_saveexec_b64 s[34:35], vcc
	s_cbranch_execz .LBB6_5260
; %bb.5249:                             ;   in Loop: Header=BB6_5232 Depth=3
	v_bfe_u32 v11, v11, 23, 8
	v_cmp_gt_u32_e64 s[26:27], s47, v11
	v_sub_u32_e32 v6, 0x71, v11
	v_cmp_eq_u32_e32 vcc, 0, v11
	v_cndmask_b32_e64 v6, 0, v6, s[26:27]
	v_mov_b32_e32 v12, 0x70
	v_cndmask_b32_e32 v12, v6, v12, vcc
	v_or_b32_e32 v13, 0x800000, v4
	v_add_u32_e32 v6, 21, v12
	v_cndmask_b32_e32 v4, v13, v4, vcc
	v_lshlrev_b64 v[13:14], v6, -1
	v_add_u32_e32 v6, 20, v12
	v_bfi_b32 v13, v13, 0, v4
	v_lshlrev_b64 v[15:16], v6, 1
	v_lshrrev_b64 v[4:5], v12, v[4:5]
	v_bfi_b32 v14, v14, 0, 0
	v_cmp_eq_u64_e64 s[26:27], v[13:14], v[15:16]
	v_mov_b32_e32 v6, v5
	v_mov_b32_e32 v5, v4
	s_and_saveexec_b64 s[36:37], s[26:27]
; %bb.5250:                             ;   in Loop: Header=BB6_5232 Depth=3
	v_bfe_u32 v5, v4, 21, 1
	v_add_co_u32_e64 v5, s[26:27], v4, v5
	v_add_co_u32_e64 v5, s[26:27], -1, v5
; %bb.5251:                             ;   in Loop: Header=BB6_5232 Depth=3
	s_or_b64 exec, exec, s[36:37]
	v_add_u32_e32 v6, 0xffffff81, v11
	v_mov_b32_e32 v11, 0xffffff82
	v_cndmask_b32_e32 v6, v6, v11, vcc
	v_lshrrev_b32_e32 v11, 23, v4
	v_add3_u32 v12, v12, v6, v11
	v_add_u32_e32 v6, 14, v12
	v_and_b32_e32 v5, 0x1fffff, v5
	v_add_u32_e32 v4, v5, v4
	v_mov_b32_e32 v5, v33
	v_cmp_ne_u32_e32 vcc, 0, v6
                                        ; implicit-def: $vgpr11
	s_and_saveexec_b64 s[26:27], vcc
	s_xor_b64 s[26:27], exec, s[26:27]
; %bb.5252:                             ;   in Loop: Header=BB6_5232 Depth=3
	v_cmp_lt_u64_e32 vcc, s[88:89], v[4:5]
	v_add_u32_e32 v11, 15, v12
	v_cndmask_b32_e32 v11, v6, v11, vcc
	v_cndmask_b32_e64 v6, 0, 1, vcc
	v_lshrrev_b64 v[4:5], v6, v[4:5]
; %bb.5253:                             ;   in Loop: Header=BB6_5232 Depth=3
	s_andn2_saveexec_b64 s[26:27], s[26:27]
; %bb.5254:                             ;   in Loop: Header=BB6_5232 Depth=3
	v_bfe_u32 v11, v4, 23, 1
; %bb.5255:                             ;   in Loop: Header=BB6_5232 Depth=3
	s_or_b64 exec, exec, s[26:27]
	v_lshrrev_b64 v[4:5], 21, v[4:5]
	v_cmp_gt_i32_e32 vcc, 32, v11
	v_cndmask_b32_e32 v5, 0, v5, vcc
	v_cndmask_b32_e32 v4, 3, v4, vcc
	v_cmp_ne_u64_e32 vcc, 0, v[4:5]
	v_cmp_ne_u32_e64 s[26:27], 0, v11
	s_or_b64 s[26:27], s[26:27], vcc
                                        ; implicit-def: $vgpr6
	s_and_saveexec_b64 s[62:63], s[26:27]
	s_xor_b64 s[26:27], exec, s[62:63]
; %bb.5256:                             ;   in Loop: Header=BB6_5232 Depth=3
	v_min_i32_e32 v5, 31, v11
	v_lshl_or_b32 v5, v5, 2, v10
	v_and_or_b32 v6, v4, 3, v5
                                        ; implicit-def: $vgpr10
; %bb.5257:                             ;   in Loop: Header=BB6_5232 Depth=3
	s_andn2_saveexec_b64 s[26:27], s[26:27]
; %bb.5258:                             ;   in Loop: Header=BB6_5232 Depth=3
	v_mov_b32_e32 v6, v10
; %bb.5259:                             ;   in Loop: Header=BB6_5232 Depth=3
	s_or_b64 exec, exec, s[26:27]
.LBB6_5260:                             ;   in Loop: Header=BB6_5232 Depth=3
	s_or_b64 exec, exec, s[34:35]
                                        ; implicit-def: $vgpr10
.LBB6_5261:                             ;   in Loop: Header=BB6_5232 Depth=3
	s_andn2_saveexec_b64 s[26:27], s[30:31]
; %bb.5262:                             ;   in Loop: Header=BB6_5232 Depth=3
	v_or_b32_e32 v6, 0x7b, v10
; %bb.5263:                             ;   in Loop: Header=BB6_5232 Depth=3
	s_or_b64 exec, exec, s[26:27]
                                        ; implicit-def: $vgpr11
                                        ; implicit-def: $vgpr4_vgpr5
.LBB6_5264:                             ;   in Loop: Header=BB6_5232 Depth=3
	s_andn2_saveexec_b64 s[26:27], s[94:95]
	s_cbranch_execz .LBB6_5231
; %bb.5265:                             ;   in Loop: Header=BB6_5232 Depth=3
	v_cmp_ne_u64_e32 vcc, 0, v[4:5]
                                        ; implicit-def: $vgpr6
	s_and_saveexec_b64 s[62:63], vcc
	s_xor_b64 s[94:95], exec, s[62:63]
; %bb.5266:                             ;   in Loop: Header=BB6_5232 Depth=3
	v_or_b32_sdwa v6, v11, s44 dst_sel:DWORD dst_unused:UNUSED_PAD src0_sel:BYTE_3 src1_sel:DWORD
                                        ; implicit-def: $vgpr11
; %bb.5267:                             ;   in Loop: Header=BB6_5232 Depth=3
	s_andn2_saveexec_b64 s[94:95], s[94:95]
	s_cbranch_execz .LBB6_5230
; %bb.5268:                             ;   in Loop: Header=BB6_5232 Depth=3
	v_cmp_lt_i32_e32 vcc, -1, v11
	v_mov_b32_e32 v4, 0x7c
	v_cndmask_b32_e32 v6, -4, v4, vcc
	s_branch .LBB6_5230
.LBB6_5269:                             ;   in Loop: Header=BB6_57 Depth=2
	s_or_b64 exec, exec, s[28:29]
	buffer_load_dword v0, off, s[0:3], s33 offset:724 ; 4-byte Folded Reload
	s_waitcnt vmcnt(0)
	v_cmp_lt_i32_e64 s[26:27], 0, v0
.LBB6_5270:                             ;   in Loop: Header=BB6_57 Depth=2
	buffer_load_dword v7, off, s[0:3], s33 offset:728 ; 4-byte Folded Reload
	buffer_load_dword v8, off, s[0:3], s33 offset:708 ; 4-byte Folded Reload
	;; [unrolled: 1-line block ×4, first 2 shown]
	s_and_saveexec_b64 s[28:29], s[12:13]
	s_cbranch_execnz .LBB6_5271
; %bb.28879:                            ;   in Loop: Header=BB6_57 Depth=2
	s_getpc_b64 s[98:99]
.Lpost_getpc48:
	s_add_u32 s98, s98, (.LBB6_128-.Lpost_getpc48)&4294967295
	s_addc_u32 s99, s99, (.LBB6_128-.Lpost_getpc48)>>32
	s_setpc_b64 s[98:99]
.LBB6_5271:                             ;   in Loop: Header=BB6_57 Depth=2
	s_and_saveexec_b64 s[40:41], s[58:59]
	s_xor_b64 s[40:41], exec, s[40:41]
	s_cbranch_execz .LBB6_5286
; %bb.5272:                             ;   in Loop: Header=BB6_57 Depth=2
	s_and_saveexec_b64 s[94:95], s[6:7]
	s_cbranch_execz .LBB6_5285
; %bb.5273:                             ;   in Loop: Header=BB6_57 Depth=2
	s_mov_b64 s[34:35], exec
	v_mbcnt_lo_u32_b32 v0, s34, 0
	v_mbcnt_hi_u32_b32 v0, s35, v0
	v_cmp_eq_u32_e32 vcc, 0, v0
	s_waitcnt vmcnt(0) lgkmcnt(0)
	buffer_wbinvl1_vol
	s_and_saveexec_b64 s[30:31], vcc
	s_cbranch_execz .LBB6_5275
; %bb.5274:                             ;   in Loop: Header=BB6_57 Depth=2
	s_bcnt1_i32_b64 s62, s[34:35]
	v_mov_b32_e32 v0, s62
	v_mov_b32_e32 v1, v33
	ds_add_u64 v0, v[0:1]
	s_trap 2
.LBB6_5275:                             ;   in Loop: Header=BB6_57 Depth=2
	s_or_b64 exec, exec, s[30:31]
	s_trap 2
	ds_read_b64 v[0:1], v0
	s_waitcnt lgkmcnt(0)
	buffer_load_dword v2, off, s[0:3], s33 offset:76 ; 4-byte Folded Reload
	buffer_load_dword v3, off, s[0:3], s33 offset:80 ; 4-byte Folded Reload
	;; [unrolled: 1-line block ×3, first 2 shown]
	s_waitcnt vmcnt(0)
	v_add_co_u32_e32 v2, vcc, v2, v4
	v_addc_co_u32_e32 v3, vcc, 0, v3, vcc
	buffer_store_dword v2, off, s[0:3], s33 offset:76 ; 4-byte Folded Spill
	s_nop 0
	buffer_store_dword v3, off, s[0:3], s33 offset:80 ; 4-byte Folded Spill
	v_cmp_lt_u64_e32 vcc, v[0:1], v[2:3]
	s_and_saveexec_b64 s[30:31], vcc
	s_cbranch_execz .LBB6_5284
; %bb.5276:                             ;   in Loop: Header=BB6_57 Depth=2
	s_mov_b32 s62, 0
	s_mov_b64 s[34:35], 0
                                        ; implicit-def: $sgpr36_sgpr37
                                        ; implicit-def: $sgpr38_sgpr39
	s_branch .LBB6_5278
.LBB6_5277:                             ;   in Loop: Header=BB6_5278 Depth=3
	s_or_b64 exec, exec, s[50:51]
	s_and_b64 vcc, exec, vcc
	s_or_b64 s[34:35], vcc, s[34:35]
	s_andn2_b64 vcc, s[36:37], exec
	s_and_b64 s[36:37], s[38:39], exec
	s_or_b64 s[36:37], vcc, s[36:37]
	s_andn2_b64 exec, exec, s[34:35]
	s_cbranch_execz .LBB6_5282
.LBB6_5278:                             ;   Parent Loop BB6_47 Depth=1
                                        ;     Parent Loop BB6_57 Depth=2
                                        ; =>    This Inner Loop Header: Depth=3
	s_add_i32 s62, s62, 1
	s_cmpk_lg_i32 s62, 0x2710
	s_cselect_b64 s[48:49], -1, 0
	s_and_b64 vcc, exec, s[48:49]
	s_cbranch_vccz .LBB6_5280
; %bb.5279:                             ;   in Loop: Header=BB6_5278 Depth=3
	s_mov_b64 vcc, -1
	s_or_b64 s[38:39], s[38:39], exec
	s_and_saveexec_b64 s[50:51], s[48:49]
	s_cbranch_execz .LBB6_5277
	s_branch .LBB6_5281
.LBB6_5280:                             ;   in Loop: Header=BB6_5278 Depth=3
	s_trap 2
	ds_read_b64 v[0:1], v0
	s_andn2_b64 s[48:49], s[48:49], exec
	s_mov_b32 s62, 0
	s_waitcnt vmcnt(0) lgkmcnt(0)
	flat_load_dword v0, v[0:1] glc
	s_waitcnt vmcnt(0) lgkmcnt(0)
	buffer_wbinvl1_vol
	v_cmp_eq_u32_e32 vcc, 0, v0
	s_and_b64 vcc, vcc, exec
	s_or_b64 s[48:49], s[48:49], vcc
	s_mov_b64 vcc, -1
	s_or_b64 s[38:39], s[38:39], exec
	s_and_saveexec_b64 s[50:51], s[48:49]
	s_cbranch_execz .LBB6_5277
.LBB6_5281:                             ;   in Loop: Header=BB6_5278 Depth=3
	s_sleep 1
	s_trap 2
	ds_read_b64 v[0:1], v0
	s_waitcnt lgkmcnt(0)
	buffer_load_dword v2, off, s[0:3], s33 offset:76 ; 4-byte Folded Reload
	buffer_load_dword v3, off, s[0:3], s33 offset:80 ; 4-byte Folded Reload
	s_andn2_b64 s[38:39], s[38:39], exec
	s_waitcnt vmcnt(0)
	v_cmp_ge_u64_e32 vcc, v[0:1], v[2:3]
	s_orn2_b64 vcc, vcc, exec
	s_branch .LBB6_5277
.LBB6_5282:                             ;   in Loop: Header=BB6_57 Depth=2
	s_or_b64 exec, exec, s[34:35]
	s_and_saveexec_b64 s[62:63], s[36:37]
	s_xor_b64 s[62:63], exec, s[62:63]
	s_cbranch_execz .LBB6_5284
; %bb.5283:                             ;   in Loop: Header=BB6_57 Depth=2
	v_mov_b32_e32 v0, 1
	ds_write_b32 v0, v0
	s_trap 2
.LBB6_5284:                             ;   in Loop: Header=BB6_57 Depth=2
	s_or_b64 exec, exec, s[30:31]
	;;#ASMSTART
	s_wakeup
	;;#ASMEND
.LBB6_5285:                             ;   in Loop: Header=BB6_57 Depth=2
	s_or_b64 exec, exec, s[94:95]
.LBB6_5286:                             ;   in Loop: Header=BB6_57 Depth=2
	s_andn2_saveexec_b64 s[40:41], s[40:41]
	s_cbranch_execz .LBB6_5288
; %bb.5287:                             ;   in Loop: Header=BB6_57 Depth=2
	s_waitcnt vmcnt(0) lgkmcnt(0)
	buffer_wbinvl1_vol
	s_barrier
.LBB6_5288:                             ;   in Loop: Header=BB6_57 Depth=2
	s_or_b64 exec, exec, s[40:41]
	s_or_b64 exec, exec, s[28:29]
                                        ; implicit-def: $vgpr0
	s_and_saveexec_b64 s[28:29], s[18:19]
	s_xor_b64 s[28:29], exec, s[28:29]
	s_cbranch_execz .LBB6_5289
; %bb.28881:                            ;   in Loop: Header=BB6_57 Depth=2
	s_getpc_b64 s[98:99]
.Lpost_getpc49:
	s_add_u32 s98, s98, (.LBB6_129-.Lpost_getpc49)&4294967295
	s_addc_u32 s99, s99, (.LBB6_129-.Lpost_getpc49)>>32
	s_setpc_b64 s[98:99]
.LBB6_5289:                             ;   in Loop: Header=BB6_57 Depth=2
	s_andn2_saveexec_b64 s[26:27], s[28:29]
	s_cbranch_execnz .LBB6_5290
; %bb.28883:                            ;   in Loop: Header=BB6_57 Depth=2
	s_getpc_b64 s[98:99]
.Lpost_getpc50:
	s_add_u32 s98, s98, (.LBB6_132-.Lpost_getpc50)&4294967295
	s_addc_u32 s99, s99, (.LBB6_132-.Lpost_getpc50)>>32
	s_setpc_b64 s[98:99]
.LBB6_5290:                             ;   in Loop: Header=BB6_57 Depth=2
	s_and_saveexec_b64 s[28:29], s[58:59]
	s_xor_b64 s[28:29], exec, s[28:29]
	s_cbranch_execz .LBB6_5305
; %bb.5291:                             ;   in Loop: Header=BB6_57 Depth=2
	s_and_saveexec_b64 s[40:41], s[6:7]
	s_cbranch_execz .LBB6_5304
; %bb.5292:                             ;   in Loop: Header=BB6_57 Depth=2
	s_mov_b64 s[30:31], exec
	v_mbcnt_lo_u32_b32 v0, s30, 0
	v_mbcnt_hi_u32_b32 v0, s31, v0
	v_cmp_eq_u32_e32 vcc, 0, v0
	;;#ASMSTART
	s_waitcnt lgkmcnt(0) vmcnt(0)
	;;#ASMEND
	s_and_saveexec_b64 s[94:95], vcc
	s_cbranch_execz .LBB6_5294
; %bb.5293:                             ;   in Loop: Header=BB6_57 Depth=2
	s_bcnt1_i32_b64 s62, s[30:31]
	v_mov_b32_e32 v0, s62
	v_mov_b32_e32 v1, v33
	s_waitcnt lgkmcnt(0)
	ds_add_u64 v0, v[0:1]
	s_trap 2
.LBB6_5294:                             ;   in Loop: Header=BB6_57 Depth=2
	s_or_b64 exec, exec, s[94:95]
	s_trap 2
	ds_read_b64 v[0:1], v0
	s_waitcnt lgkmcnt(0)
	buffer_load_dword v2, off, s[0:3], s33 offset:76 ; 4-byte Folded Reload
	buffer_load_dword v3, off, s[0:3], s33 offset:80 ; 4-byte Folded Reload
	;; [unrolled: 1-line block ×3, first 2 shown]
	s_waitcnt vmcnt(0)
	v_add_co_u32_e32 v2, vcc, v2, v4
	v_addc_co_u32_e32 v3, vcc, 0, v3, vcc
	buffer_store_dword v2, off, s[0:3], s33 offset:76 ; 4-byte Folded Spill
	s_nop 0
	buffer_store_dword v3, off, s[0:3], s33 offset:80 ; 4-byte Folded Spill
	v_cmp_lt_u64_e32 vcc, v[0:1], v[2:3]
	s_and_saveexec_b64 s[94:95], vcc
	s_cbranch_execz .LBB6_5303
; %bb.5295:                             ;   in Loop: Header=BB6_57 Depth=2
	s_mov_b32 s62, 0
	s_mov_b64 s[30:31], 0
                                        ; implicit-def: $sgpr34_sgpr35
                                        ; implicit-def: $sgpr36_sgpr37
	s_branch .LBB6_5297
.LBB6_5296:                             ;   in Loop: Header=BB6_5297 Depth=3
	s_or_b64 exec, exec, s[48:49]
	s_and_b64 vcc, exec, vcc
	s_or_b64 s[30:31], vcc, s[30:31]
	s_andn2_b64 vcc, s[34:35], exec
	s_and_b64 s[34:35], s[36:37], exec
	s_or_b64 s[34:35], vcc, s[34:35]
	s_andn2_b64 exec, exec, s[30:31]
	s_cbranch_execz .LBB6_5301
.LBB6_5297:                             ;   Parent Loop BB6_47 Depth=1
                                        ;     Parent Loop BB6_57 Depth=2
                                        ; =>    This Inner Loop Header: Depth=3
	s_add_i32 s62, s62, 1
	s_cmpk_lg_i32 s62, 0x2710
	s_cselect_b64 s[38:39], -1, 0
	s_and_b64 vcc, exec, s[38:39]
	s_cbranch_vccz .LBB6_5299
; %bb.5298:                             ;   in Loop: Header=BB6_5297 Depth=3
	s_mov_b64 vcc, -1
	s_or_b64 s[36:37], s[36:37], exec
	s_and_saveexec_b64 s[48:49], s[38:39]
	s_cbranch_execz .LBB6_5296
	s_branch .LBB6_5300
.LBB6_5299:                             ;   in Loop: Header=BB6_5297 Depth=3
	s_trap 2
	ds_read_b64 v[0:1], v0
	s_andn2_b64 s[38:39], s[38:39], exec
	s_mov_b32 s62, 0
	s_waitcnt vmcnt(0) lgkmcnt(0)
	flat_load_dword v0, v[0:1] glc
	s_waitcnt vmcnt(0) lgkmcnt(0)
	buffer_wbinvl1_vol
	v_cmp_eq_u32_e32 vcc, 0, v0
	s_and_b64 vcc, vcc, exec
	s_or_b64 s[38:39], s[38:39], vcc
	s_mov_b64 vcc, -1
	s_or_b64 s[36:37], s[36:37], exec
	s_and_saveexec_b64 s[48:49], s[38:39]
	s_cbranch_execz .LBB6_5296
.LBB6_5300:                             ;   in Loop: Header=BB6_5297 Depth=3
	s_sleep 1
	s_trap 2
	ds_read_b64 v[0:1], v0
	s_waitcnt lgkmcnt(0)
	buffer_load_dword v2, off, s[0:3], s33 offset:76 ; 4-byte Folded Reload
	buffer_load_dword v3, off, s[0:3], s33 offset:80 ; 4-byte Folded Reload
	s_andn2_b64 s[36:37], s[36:37], exec
	s_waitcnt vmcnt(0)
	v_cmp_ge_u64_e32 vcc, v[0:1], v[2:3]
	s_orn2_b64 vcc, vcc, exec
	s_branch .LBB6_5296
.LBB6_5301:                             ;   in Loop: Header=BB6_57 Depth=2
	s_or_b64 exec, exec, s[30:31]
	s_and_saveexec_b64 s[62:63], s[34:35]
	s_xor_b64 s[62:63], exec, s[62:63]
	s_cbranch_execz .LBB6_5303
; %bb.5302:                             ;   in Loop: Header=BB6_57 Depth=2
	v_mov_b32_e32 v0, 1
	ds_write_b32 v0, v0
	s_trap 2
.LBB6_5303:                             ;   in Loop: Header=BB6_57 Depth=2
	s_or_b64 exec, exec, s[94:95]
	;;#ASMSTART
	s_wakeup
	;;#ASMEND
.LBB6_5304:                             ;   in Loop: Header=BB6_57 Depth=2
	s_or_b64 exec, exec, s[40:41]
.LBB6_5305:                             ;   in Loop: Header=BB6_57 Depth=2
	s_andn2_saveexec_b64 s[28:29], s[28:29]
	s_cbranch_execz .LBB6_5307
; %bb.5306:                             ;   in Loop: Header=BB6_57 Depth=2
	;;#ASMSTART
	s_waitcnt lgkmcnt(0) vmcnt(0)
	;;#ASMEND
	s_waitcnt vmcnt(0) lgkmcnt(0)
	s_barrier
.LBB6_5307:                             ;   in Loop: Header=BB6_57 Depth=2
	s_or_b64 exec, exec, s[28:29]
	buffer_load_dword v0, off, s[0:3], s33 offset:72 ; 4-byte Folded Reload
	s_waitcnt vmcnt(0)
	v_and_b32_e32 v0, 16, v0
	s_or_b64 exec, exec, s[26:27]
	v_cmp_ne_u32_e32 vcc, 0, v0
	s_and_saveexec_b64 s[26:27], vcc
	s_cbranch_execnz .LBB6_5308
; %bb.28885:                            ;   in Loop: Header=BB6_57 Depth=2
	s_getpc_b64 s[98:99]
.Lpost_getpc51:
	s_add_u32 s98, s98, (.LBB6_56-.Lpost_getpc51)&4294967295
	s_addc_u32 s99, s99, (.LBB6_56-.Lpost_getpc51)>>32
	s_setpc_b64 s[98:99]
.LBB6_5308:                             ;   in Loop: Header=BB6_57 Depth=2
	s_and_saveexec_b64 s[28:29], s[22:23]
	s_cbranch_execnz .LBB6_5309
; %bb.28887:                            ;   in Loop: Header=BB6_57 Depth=2
	s_getpc_b64 s[98:99]
.Lpost_getpc52:
	s_add_u32 s98, s98, (.LBB6_55-.Lpost_getpc52)&4294967295
	s_addc_u32 s99, s99, (.LBB6_55-.Lpost_getpc52)>>32
	s_setpc_b64 s[98:99]
.LBB6_5309:                             ;   in Loop: Header=BB6_57 Depth=2
	buffer_load_dword v0, off, s[0:3], s33 offset:436 ; 4-byte Folded Reload
	buffer_load_dword v1, off, s[0:3], s33 offset:440 ; 4-byte Folded Reload
	v_mov_b32_e32 v2, 1
	s_waitcnt vmcnt(0)
	flat_store_dword v[0:1], v2
; %bb.28843:                            ;   in Loop: Header=BB6_57 Depth=2
	s_getpc_b64 s[98:99]
.Lpost_getpc30:
	s_add_u32 s98, s98, (.LBB6_55-.Lpost_getpc30)&4294967295
	s_addc_u32 s99, s99, (.LBB6_55-.Lpost_getpc30)>>32
	s_setpc_b64 s[98:99]
.LBB6_5310:                             ;   in Loop: Header=BB6_47 Depth=1
	s_or_b64 exec, exec, s[90:91]
.LBB6_5311:                             ;   in Loop: Header=BB6_47 Depth=1
	s_or_b64 exec, exec, s[42:43]
	v_cmp_gt_i32_e32 vcc, 2, v0
	s_and_saveexec_b64 s[28:29], vcc
	s_cbranch_execz .LBB6_5383
; %bb.5312:                             ;   in Loop: Header=BB6_47 Depth=1
	v_cmp_eq_u32_e64 s[42:43], 0, v0
	s_mov_b64 s[40:41], 0
	s_branch .LBB6_5315
.LBB6_5313:                             ;   in Loop: Header=BB6_5315 Depth=2
	s_or_b64 exec, exec, s[42:43]
	buffer_load_dword v2, off, s[0:3], s33 offset:276 ; 4-byte Folded Reload
	buffer_load_dword v3, off, s[0:3], s33 offset:280 ; 4-byte Folded Reload
	;; [unrolled: 1-line block ×4, first 2 shown]
	s_waitcnt vmcnt(0)
	v_add_co_u32_e32 v2, vcc, 2, v2
	v_addc_co_u32_e32 v3, vcc, 0, v3, vcc
	buffer_store_dword v2, off, s[0:3], s33 offset:276 ; 4-byte Folded Spill
	s_nop 0
	buffer_store_dword v3, off, s[0:3], s33 offset:280 ; 4-byte Folded Spill
	flat_store_dwordx2 v[0:1], v[2:3]
.LBB6_5314:                             ;   in Loop: Header=BB6_5315 Depth=2
	s_or_b64 exec, exec, s[26:27]
	v_add_u32_e32 v10, v8, v10
	s_mov_b64 s[42:43], 0
	s_andn2_b64 exec, exec, s[40:41]
	s_cbranch_execz .LBB6_5382
.LBB6_5315:                             ;   Parent Loop BB6_47 Depth=1
                                        ; =>  This Loop Header: Depth=2
                                        ;       Child Loop BB6_5321 Depth 3
                                        ;       Child Loop BB6_5345 Depth 3
	;; [unrolled: 1-line block ×3, first 2 shown]
	v_sub_u32_e32 v0, v7, v10
	v_min_i32_e32 v8, v8, v0
	buffer_load_dword v0, off, s[0:3], s33 offset:72 ; 4-byte Folded Reload
	s_waitcnt vmcnt(0)
	v_and_b32_e32 v0, 8, v0
	v_cmp_ne_u32_e32 vcc, 0, v0
	s_and_saveexec_b64 s[90:91], vcc
	s_cbranch_execz .LBB6_5337
; %bb.5316:                             ;   in Loop: Header=BB6_5315 Depth=2
	buffer_load_dword v0, off, s[0:3], s33 offset:56 ; 4-byte Folded Reload
	buffer_load_dword v1, off, s[0:3], s33 offset:60 ; 4-byte Folded Reload
	s_waitcnt vmcnt(0)
	v_add_co_u32_e32 v2, vcc, 8, v0
	v_addc_co_u32_e32 v3, vcc, 0, v1, vcc
	buffer_load_dword v0, off, s[0:3], s33 offset:276 ; 4-byte Folded Reload
	buffer_load_dword v1, off, s[0:3], s33 offset:280 ; 4-byte Folded Reload
	s_waitcnt vmcnt(0)
	v_add_co_u32_e32 v0, vcc, 2, v0
	v_addc_co_u32_e32 v1, vcc, 0, v1, vcc
	v_cmp_lt_u64_e32 vcc, v[2:3], v[0:1]
	s_and_saveexec_b64 s[92:93], vcc
	s_cbranch_execz .LBB6_5328
; %bb.5317:                             ;   in Loop: Header=BB6_5315 Depth=2
	buffer_load_dword v2, off, s[0:3], s33 offset:72 ; 4-byte Folded Reload
	s_mov_b32 s64, 0
	s_mov_b64 s[94:95], 0
                                        ; implicit-def: $sgpr30_sgpr31
                                        ; implicit-def: $sgpr34_sgpr35
                                        ; implicit-def: $sgpr36_sgpr37
	s_waitcnt vmcnt(0)
	v_and_b32_e32 v2, 64, v2
	v_cmp_eq_u32_e32 vcc, 0, v2
	s_branch .LBB6_5321
.LBB6_5318:                             ;   in Loop: Header=BB6_5321 Depth=3
	buffer_load_dword v3, off, s[0:3], s33 offset:56 ; 4-byte Folded Reload
	buffer_load_dword v4, off, s[0:3], s33 offset:60 ; 4-byte Folded Reload
	s_or_b64 s[50:51], s[50:51], exec
	s_waitcnt vmcnt(1)
	v_add_co_u32_e64 v3, s[26:27], 8, v3
	s_waitcnt vmcnt(0)
	v_addc_co_u32_e64 v4, s[26:27], 0, v4, s[26:27]
	v_cmp_ge_u64_e64 s[26:27], v[3:4], v[0:1]
	s_orn2_b64 s[48:49], s[26:27], exec
.LBB6_5319:                             ;   in Loop: Header=BB6_5321 Depth=3
	s_or_b64 exec, exec, s[54:55]
	s_andn2_b64 s[26:27], s[36:37], exec
	s_and_b64 s[62:63], s[50:51], exec
	s_or_b64 s[36:37], s[26:27], s[62:63]
	s_andn2_b64 s[26:27], s[34:35], exec
	s_and_b64 s[62:63], s[48:49], exec
	s_or_b64 s[34:35], s[26:27], s[62:63]
.LBB6_5320:                             ;   in Loop: Header=BB6_5321 Depth=3
	s_or_b64 exec, exec, s[38:39]
	s_and_b64 s[26:27], exec, s[34:35]
	s_or_b64 s[94:95], s[26:27], s[94:95]
	s_andn2_b64 s[26:27], s[30:31], exec
	s_and_b64 s[62:63], s[36:37], exec
	s_or_b64 s[30:31], s[26:27], s[62:63]
	s_andn2_b64 exec, exec, s[94:95]
	s_cbranch_execz .LBB6_5325
.LBB6_5321:                             ;   Parent Loop BB6_47 Depth=1
                                        ;     Parent Loop BB6_5315 Depth=2
                                        ; =>    This Inner Loop Header: Depth=3
	s_sleep 1
	buffer_load_dword v2, off, s[0:3], s33 offset:64 ; 4-byte Folded Reload
	buffer_load_dword v3, off, s[0:3], s33 offset:68 ; 4-byte Folded Reload
	s_or_b64 s[36:37], s[36:37], exec
	s_or_b64 s[34:35], s[34:35], exec
	s_waitcnt vmcnt(0)
	flat_load_dwordx2 v[2:3], v[2:3] glc
	s_waitcnt vmcnt(0) lgkmcnt(0)
	buffer_store_dword v2, off, s[0:3], s33 offset:56 ; 4-byte Folded Spill
	s_nop 0
	buffer_store_dword v3, off, s[0:3], s33 offset:60 ; 4-byte Folded Spill
                                        ; implicit-def: $vgpr2
	s_and_saveexec_b64 s[38:39], vcc
	s_cbranch_execz .LBB6_5320
; %bb.5322:                             ;   in Loop: Header=BB6_5321 Depth=3
	s_cmpk_lt_i32 s64, 0x270f
	s_cselect_b64 s[52:53], -1, 0
	s_cmpk_gt_i32 s64, 0x270e
	s_mov_b64 s[48:49], -1
	s_cbranch_scc0 .LBB6_5324
; %bb.5323:                             ;   in Loop: Header=BB6_5321 Depth=3
	s_trap 2
	ds_read_b64 v[2:3], v0
	s_andn2_b64 s[62:63], s[52:53], exec
	s_mov_b32 s64, 0
	s_mov_b64 s[50:51], 0
	s_waitcnt vmcnt(0) lgkmcnt(0)
	flat_load_dword v2, v[2:3] glc
	s_waitcnt vmcnt(0) lgkmcnt(0)
	buffer_wbinvl1_vol
	v_cmp_eq_u32_e64 s[26:27], 0, v2
	s_and_b64 s[26:27], s[26:27], exec
	s_or_b64 s[52:53], s[62:63], s[26:27]
	s_and_saveexec_b64 s[54:55], s[52:53]
	s_cbranch_execz .LBB6_5319
	s_branch .LBB6_5318
.LBB6_5324:                             ;   in Loop: Header=BB6_5321 Depth=3
	s_add_i32 s64, s64, 1
	s_mov_b64 s[50:51], -1
                                        ; implicit-def: $vgpr2
	s_and_saveexec_b64 s[54:55], s[52:53]
	s_cbranch_execz .LBB6_5319
	s_branch .LBB6_5318
.LBB6_5325:                             ;   in Loop: Header=BB6_5315 Depth=2
	s_or_b64 exec, exec, s[94:95]
	s_xor_b64 s[26:27], s[30:31], -1
	s_and_saveexec_b64 s[62:63], s[26:27]
	s_xor_b64 s[26:27], exec, s[62:63]
	s_cbranch_execz .LBB6_5327
; %bb.5326:                             ;   in Loop: Header=BB6_5315 Depth=2
	ds_write_b32 v0, v2
	s_trap 2
	buffer_load_dword v2, off, s[0:3], s33 offset:72 ; 4-byte Folded Reload
	s_waitcnt vmcnt(0)
	v_or_b32_e32 v2, 64, v2
	buffer_store_dword v2, off, s[0:3], s33 offset:72 ; 4-byte Folded Spill
.LBB6_5327:                             ;   in Loop: Header=BB6_5315 Depth=2
	s_or_b64 exec, exec, s[26:27]
.LBB6_5328:                             ;   in Loop: Header=BB6_5315 Depth=2
	s_or_b64 exec, exec, s[92:93]
	;;#ASMSTART
	s_wakeup
	;;#ASMEND
	buffer_load_dword v2, off, s[0:3], s33 offset:72 ; 4-byte Folded Reload
	s_mov_b64 s[26:27], -1
	s_waitcnt vmcnt(0)
	v_and_b32_e32 v2, 0x100, v2
	v_cmp_ne_u32_e32 vcc, 0, v2
	buffer_load_dword v2, off, s[0:3], s33 offset:276 ; 4-byte Folded Reload
	buffer_load_dword v3, off, s[0:3], s33 offset:280 ; 4-byte Folded Reload
	s_waitcnt vmcnt(0)
	v_and_b32_e32 v6, 7, v2
                                        ; implicit-def: $vgpr2_vgpr3
	s_and_saveexec_b64 s[92:93], vcc
	s_cbranch_execz .LBB6_5332
; %bb.5329:                             ;   in Loop: Header=BB6_5315 Depth=2
	buffer_load_dword v2, off, s[0:3], s33 offset:420 ; 4-byte Folded Reload
	buffer_load_dword v3, off, s[0:3], s33 offset:424 ; 4-byte Folded Reload
	;; [unrolled: 1-line block ×4, first 2 shown]
	v_ashrrev_i32_e32 v9, 31, v8
	s_waitcnt vmcnt(0)
	v_mad_u64_u32 v[4:5], s[26:27], v6, 24, v[2:3]
	flat_load_dword v2, v[4:5]
	s_nop 0
	flat_store_dwordx2 v[4:5], v[8:9] offset:8
	s_waitcnt vmcnt(0) lgkmcnt(0)
	v_cmp_ne_u32_e32 vcc, 1, v2
	v_cmp_eq_u32_e64 s[26:27], 1, v2
                                        ; implicit-def: $vgpr2_vgpr3
	s_and_saveexec_b64 s[94:95], s[26:27]
	s_cbranch_execz .LBB6_5331
; %bb.5330:                             ;   in Loop: Header=BB6_5315 Depth=2
	flat_load_dword v2, v[4:5] offset:4 glc
	s_waitcnt vmcnt(0) lgkmcnt(0)
	v_ashrrev_i32_e32 v3, 31, v2
.LBB6_5331:                             ;   in Loop: Header=BB6_5315 Depth=2
	s_or_b64 exec, exec, s[94:95]
	s_orn2_b64 s[26:27], vcc, exec
.LBB6_5332:                             ;   in Loop: Header=BB6_5315 Depth=2
	s_or_b64 exec, exec, s[92:93]
	s_and_saveexec_b64 s[92:93], s[26:27]
	s_cbranch_execz .LBB6_5334
; %bb.5333:                             ;   in Loop: Header=BB6_5315 Depth=2
	buffer_load_dword v2, off, s[0:3], s33 offset:456 ; 4-byte Folded Reload
	s_waitcnt vmcnt(0)
	v_mad_i64_i32 v[2:3], s[26:27], v6, v2, 0
.LBB6_5334:                             ;   in Loop: Header=BB6_5315 Depth=2
	s_or_b64 exec, exec, s[92:93]
	buffer_load_dword v4, off, s[0:3], s33 offset:412 ; 4-byte Folded Reload
	buffer_load_dword v5, off, s[0:3], s33 offset:416 ; 4-byte Folded Reload
	s_waitcnt vmcnt(0)
	v_add_co_u32_e32 v2, vcc, v4, v2
	v_addc_co_u32_e32 v3, vcc, v5, v3, vcc
	ds_write_b64 v0, v[2:3] offset:784
	buffer_load_dword v2, off, s[0:3], s33 offset:72 ; 4-byte Folded Reload
	s_waitcnt vmcnt(0)
	v_and_b32_e32 v2, 0x2000, v2
	v_cmp_ne_u32_e32 vcc, 0, v2
	s_and_saveexec_b64 s[26:27], vcc
	s_cbranch_execz .LBB6_5336
; %bb.5335:                             ;   in Loop: Header=BB6_5315 Depth=2
	ds_read_b64 v[2:3], v0 offset:872
	s_waitcnt lgkmcnt(0)
	v_add_co_u32_e32 v2, vcc, 1, v2
	v_addc_co_u32_e32 v3, vcc, 0, v3, vcc
	ds_write_b64 v0, v[2:3] offset:872
.LBB6_5336:                             ;   in Loop: Header=BB6_5315 Depth=2
	s_or_b64 exec, exec, s[26:27]
	buffer_store_dword v0, off, s[0:3], s33 offset:276 ; 4-byte Folded Spill
	s_nop 0
	buffer_store_dword v1, off, s[0:3], s33 offset:280 ; 4-byte Folded Spill
.LBB6_5337:                             ;   in Loop: Header=BB6_5315 Depth=2
	s_or_b64 exec, exec, s[90:91]
	s_xor_b64 s[26:27], s[42:43], -1
	s_and_b64 s[26:27], exec, s[26:27]
	s_or_b64 s[40:41], s[26:27], s[40:41]
	s_and_saveexec_b64 s[26:27], s[12:13]
	s_cbranch_execz .LBB6_5356
; %bb.5338:                             ;   in Loop: Header=BB6_5315 Depth=2
	s_and_saveexec_b64 s[42:43], s[58:59]
	s_xor_b64 s[42:43], exec, s[42:43]
	s_cbranch_execz .LBB6_5353
; %bb.5339:                             ;   in Loop: Header=BB6_5315 Depth=2
	s_and_saveexec_b64 s[90:91], s[6:7]
	s_cbranch_execz .LBB6_5352
; %bb.5340:                             ;   in Loop: Header=BB6_5315 Depth=2
	s_mov_b64 s[94:95], exec
	v_mbcnt_lo_u32_b32 v0, s94, 0
	v_mbcnt_hi_u32_b32 v0, s95, v0
	v_cmp_eq_u32_e32 vcc, 0, v0
	s_waitcnt vmcnt(0) lgkmcnt(0)
	buffer_wbinvl1_vol
	s_and_saveexec_b64 s[92:93], vcc
	s_cbranch_execz .LBB6_5342
; %bb.5341:                             ;   in Loop: Header=BB6_5315 Depth=2
	s_bcnt1_i32_b64 s62, s[94:95]
	v_mov_b32_e32 v0, s62
	v_mov_b32_e32 v1, v33
	ds_add_u64 v0, v[0:1]
	s_trap 2
.LBB6_5342:                             ;   in Loop: Header=BB6_5315 Depth=2
	s_or_b64 exec, exec, s[92:93]
	s_trap 2
	ds_read_b64 v[0:1], v0
	s_waitcnt lgkmcnt(0)
	buffer_load_dword v2, off, s[0:3], s33 offset:76 ; 4-byte Folded Reload
	buffer_load_dword v3, off, s[0:3], s33 offset:80 ; 4-byte Folded Reload
	;; [unrolled: 1-line block ×3, first 2 shown]
	s_waitcnt vmcnt(0)
	v_add_co_u32_e32 v2, vcc, v2, v4
	v_addc_co_u32_e32 v3, vcc, 0, v3, vcc
	buffer_store_dword v2, off, s[0:3], s33 offset:76 ; 4-byte Folded Spill
	s_nop 0
	buffer_store_dword v3, off, s[0:3], s33 offset:80 ; 4-byte Folded Spill
	v_cmp_lt_u64_e32 vcc, v[0:1], v[2:3]
	s_and_saveexec_b64 s[92:93], vcc
	s_cbranch_execz .LBB6_5351
; %bb.5343:                             ;   in Loop: Header=BB6_5315 Depth=2
	s_mov_b32 s62, 0
	s_mov_b64 s[94:95], 0
                                        ; implicit-def: $sgpr30_sgpr31
                                        ; implicit-def: $sgpr34_sgpr35
	s_branch .LBB6_5345
.LBB6_5344:                             ;   in Loop: Header=BB6_5345 Depth=3
	s_or_b64 exec, exec, s[38:39]
	s_and_b64 vcc, exec, vcc
	s_or_b64 s[94:95], vcc, s[94:95]
	s_andn2_b64 vcc, s[30:31], exec
	s_and_b64 s[30:31], s[34:35], exec
	s_or_b64 s[30:31], vcc, s[30:31]
	s_andn2_b64 exec, exec, s[94:95]
	s_cbranch_execz .LBB6_5349
.LBB6_5345:                             ;   Parent Loop BB6_47 Depth=1
                                        ;     Parent Loop BB6_5315 Depth=2
                                        ; =>    This Inner Loop Header: Depth=3
	s_add_i32 s62, s62, 1
	s_cmpk_lg_i32 s62, 0x2710
	s_cselect_b64 s[36:37], -1, 0
	s_and_b64 vcc, exec, s[36:37]
	s_cbranch_vccz .LBB6_5347
; %bb.5346:                             ;   in Loop: Header=BB6_5345 Depth=3
	s_mov_b64 vcc, -1
	s_or_b64 s[34:35], s[34:35], exec
	s_and_saveexec_b64 s[38:39], s[36:37]
	s_cbranch_execz .LBB6_5344
	s_branch .LBB6_5348
.LBB6_5347:                             ;   in Loop: Header=BB6_5345 Depth=3
	s_trap 2
	ds_read_b64 v[0:1], v0
	s_andn2_b64 s[36:37], s[36:37], exec
	s_mov_b32 s62, 0
	s_waitcnt vmcnt(0) lgkmcnt(0)
	flat_load_dword v0, v[0:1] glc
	s_waitcnt vmcnt(0) lgkmcnt(0)
	buffer_wbinvl1_vol
	v_cmp_eq_u32_e32 vcc, 0, v0
	s_and_b64 vcc, vcc, exec
	s_or_b64 s[36:37], s[36:37], vcc
	s_mov_b64 vcc, -1
	s_or_b64 s[34:35], s[34:35], exec
	s_and_saveexec_b64 s[38:39], s[36:37]
	s_cbranch_execz .LBB6_5344
.LBB6_5348:                             ;   in Loop: Header=BB6_5345 Depth=3
	s_sleep 1
	s_trap 2
	ds_read_b64 v[0:1], v0
	s_waitcnt lgkmcnt(0)
	buffer_load_dword v2, off, s[0:3], s33 offset:76 ; 4-byte Folded Reload
	buffer_load_dword v3, off, s[0:3], s33 offset:80 ; 4-byte Folded Reload
	s_andn2_b64 s[34:35], s[34:35], exec
	s_waitcnt vmcnt(0)
	v_cmp_ge_u64_e32 vcc, v[0:1], v[2:3]
	s_orn2_b64 vcc, vcc, exec
	s_branch .LBB6_5344
.LBB6_5349:                             ;   in Loop: Header=BB6_5315 Depth=2
	s_or_b64 exec, exec, s[94:95]
	s_and_saveexec_b64 s[62:63], s[30:31]
	s_xor_b64 s[62:63], exec, s[62:63]
	s_cbranch_execz .LBB6_5351
; %bb.5350:                             ;   in Loop: Header=BB6_5315 Depth=2
	v_mov_b32_e32 v0, 1
	ds_write_b32 v0, v0
	s_trap 2
.LBB6_5351:                             ;   in Loop: Header=BB6_5315 Depth=2
	s_or_b64 exec, exec, s[92:93]
	;;#ASMSTART
	s_wakeup
	;;#ASMEND
.LBB6_5352:                             ;   in Loop: Header=BB6_5315 Depth=2
	s_or_b64 exec, exec, s[90:91]
.LBB6_5353:                             ;   in Loop: Header=BB6_5315 Depth=2
	s_andn2_saveexec_b64 s[42:43], s[42:43]
	s_cbranch_execz .LBB6_5355
; %bb.5354:                             ;   in Loop: Header=BB6_5315 Depth=2
	s_waitcnt vmcnt(0) lgkmcnt(0)
	buffer_wbinvl1_vol
	s_barrier
.LBB6_5355:                             ;   in Loop: Header=BB6_5315 Depth=2
	s_or_b64 exec, exec, s[42:43]
.LBB6_5356:                             ;   in Loop: Header=BB6_5315 Depth=2
	s_or_b64 exec, exec, s[26:27]
                                        ; implicit-def: $vgpr0
	s_and_saveexec_b64 s[26:27], s[18:19]
	s_xor_b64 s[26:27], exec, s[26:27]
	s_cbranch_execz .LBB6_5361
; %bb.5357:                             ;   in Loop: Header=BB6_5315 Depth=2
	s_trap 2
	buffer_load_dword v1, off, s[0:3], s33 offset:72 ; 4-byte Folded Reload
	ds_read_b32 v0, v0
	v_cmp_lt_i32_e32 vcc, 0, v8
	s_waitcnt lgkmcnt(0)
	v_readfirstlane_b32 s42, v0
	s_cmp_eq_u32 s42, 0
	s_cselect_b64 s[42:43], -1, 0
	s_and_b64 s[42:43], vcc, s[42:43]
	s_waitcnt vmcnt(0)
	v_and_b32_e32 v0, 16, v1
	v_and_b32_e32 v1, 16, v1
	v_cmp_ne_u32_e32 vcc, 0, v1
	s_and_b64 s[62:63], vcc, s[42:43]
	s_and_saveexec_b64 s[42:43], s[62:63]
	s_cbranch_execz .LBB6_5359
; %bb.5358:                             ;   in Loop: Header=BB6_5315 Depth=2
	v_mov_b32_e32 v0, 1
	buffer_wbinvl1_vol
.LBB6_5359:                             ;   in Loop: Header=BB6_5315 Depth=2
	s_or_b64 exec, exec, s[42:43]
	s_andn2_saveexec_b64 s[26:27], s[26:27]
	s_cbranch_execnz .LBB6_5362
.LBB6_5360:                             ;   in Loop: Header=BB6_5315 Depth=2
	s_or_b64 exec, exec, s[26:27]
	v_cmp_ne_u32_e32 vcc, 0, v0
	s_and_saveexec_b64 s[26:27], vcc
	s_cbranch_execz .LBB6_5314
	s_branch .LBB6_5380
.LBB6_5361:                             ;   in Loop: Header=BB6_5315 Depth=2
	s_andn2_saveexec_b64 s[26:27], s[26:27]
	s_cbranch_execz .LBB6_5360
.LBB6_5362:                             ;   in Loop: Header=BB6_5315 Depth=2
	s_and_saveexec_b64 s[42:43], s[58:59]
	s_xor_b64 s[42:43], exec, s[42:43]
	s_cbranch_execz .LBB6_5377
; %bb.5363:                             ;   in Loop: Header=BB6_5315 Depth=2
	s_and_saveexec_b64 s[90:91], s[6:7]
	s_cbranch_execz .LBB6_5376
; %bb.5364:                             ;   in Loop: Header=BB6_5315 Depth=2
	s_mov_b64 s[94:95], exec
	v_mbcnt_lo_u32_b32 v0, s94, 0
	v_mbcnt_hi_u32_b32 v0, s95, v0
	v_cmp_eq_u32_e32 vcc, 0, v0
	;;#ASMSTART
	s_waitcnt lgkmcnt(0) vmcnt(0)
	;;#ASMEND
	s_and_saveexec_b64 s[92:93], vcc
	s_cbranch_execz .LBB6_5366
; %bb.5365:                             ;   in Loop: Header=BB6_5315 Depth=2
	s_bcnt1_i32_b64 s62, s[94:95]
	v_mov_b32_e32 v0, s62
	v_mov_b32_e32 v1, v33
	s_waitcnt lgkmcnt(0)
	ds_add_u64 v0, v[0:1]
	s_trap 2
.LBB6_5366:                             ;   in Loop: Header=BB6_5315 Depth=2
	s_or_b64 exec, exec, s[92:93]
	s_trap 2
	ds_read_b64 v[0:1], v0
	s_waitcnt lgkmcnt(0)
	buffer_load_dword v2, off, s[0:3], s33 offset:76 ; 4-byte Folded Reload
	buffer_load_dword v3, off, s[0:3], s33 offset:80 ; 4-byte Folded Reload
	;; [unrolled: 1-line block ×3, first 2 shown]
	s_waitcnt vmcnt(0)
	v_add_co_u32_e32 v2, vcc, v2, v4
	v_addc_co_u32_e32 v3, vcc, 0, v3, vcc
	buffer_store_dword v2, off, s[0:3], s33 offset:76 ; 4-byte Folded Spill
	s_nop 0
	buffer_store_dword v3, off, s[0:3], s33 offset:80 ; 4-byte Folded Spill
	v_cmp_lt_u64_e32 vcc, v[0:1], v[2:3]
	s_and_saveexec_b64 s[92:93], vcc
	s_cbranch_execz .LBB6_5375
; %bb.5367:                             ;   in Loop: Header=BB6_5315 Depth=2
	s_mov_b32 s62, 0
	s_mov_b64 s[94:95], 0
                                        ; implicit-def: $sgpr30_sgpr31
                                        ; implicit-def: $sgpr34_sgpr35
	s_branch .LBB6_5369
.LBB6_5368:                             ;   in Loop: Header=BB6_5369 Depth=3
	s_or_b64 exec, exec, s[38:39]
	s_and_b64 vcc, exec, vcc
	s_or_b64 s[94:95], vcc, s[94:95]
	s_andn2_b64 vcc, s[30:31], exec
	s_and_b64 s[30:31], s[34:35], exec
	s_or_b64 s[30:31], vcc, s[30:31]
	s_andn2_b64 exec, exec, s[94:95]
	s_cbranch_execz .LBB6_5373
.LBB6_5369:                             ;   Parent Loop BB6_47 Depth=1
                                        ;     Parent Loop BB6_5315 Depth=2
                                        ; =>    This Inner Loop Header: Depth=3
	s_add_i32 s62, s62, 1
	s_cmpk_lg_i32 s62, 0x2710
	s_cselect_b64 s[36:37], -1, 0
	s_and_b64 vcc, exec, s[36:37]
	s_cbranch_vccz .LBB6_5371
; %bb.5370:                             ;   in Loop: Header=BB6_5369 Depth=3
	s_mov_b64 vcc, -1
	s_or_b64 s[34:35], s[34:35], exec
	s_and_saveexec_b64 s[38:39], s[36:37]
	s_cbranch_execz .LBB6_5368
	s_branch .LBB6_5372
.LBB6_5371:                             ;   in Loop: Header=BB6_5369 Depth=3
	s_trap 2
	ds_read_b64 v[0:1], v0
	s_andn2_b64 s[36:37], s[36:37], exec
	s_mov_b32 s62, 0
	s_waitcnt vmcnt(0) lgkmcnt(0)
	flat_load_dword v0, v[0:1] glc
	s_waitcnt vmcnt(0) lgkmcnt(0)
	buffer_wbinvl1_vol
	v_cmp_eq_u32_e32 vcc, 0, v0
	s_and_b64 vcc, vcc, exec
	s_or_b64 s[36:37], s[36:37], vcc
	s_mov_b64 vcc, -1
	s_or_b64 s[34:35], s[34:35], exec
	s_and_saveexec_b64 s[38:39], s[36:37]
	s_cbranch_execz .LBB6_5368
.LBB6_5372:                             ;   in Loop: Header=BB6_5369 Depth=3
	s_sleep 1
	s_trap 2
	ds_read_b64 v[0:1], v0
	s_waitcnt lgkmcnt(0)
	buffer_load_dword v2, off, s[0:3], s33 offset:76 ; 4-byte Folded Reload
	buffer_load_dword v3, off, s[0:3], s33 offset:80 ; 4-byte Folded Reload
	s_andn2_b64 s[34:35], s[34:35], exec
	s_waitcnt vmcnt(0)
	v_cmp_ge_u64_e32 vcc, v[0:1], v[2:3]
	s_orn2_b64 vcc, vcc, exec
	s_branch .LBB6_5368
.LBB6_5373:                             ;   in Loop: Header=BB6_5315 Depth=2
	s_or_b64 exec, exec, s[94:95]
	s_and_saveexec_b64 s[62:63], s[30:31]
	s_xor_b64 s[62:63], exec, s[62:63]
	s_cbranch_execz .LBB6_5375
; %bb.5374:                             ;   in Loop: Header=BB6_5315 Depth=2
	v_mov_b32_e32 v0, 1
	ds_write_b32 v0, v0
	s_trap 2
.LBB6_5375:                             ;   in Loop: Header=BB6_5315 Depth=2
	s_or_b64 exec, exec, s[92:93]
	;;#ASMSTART
	s_wakeup
	;;#ASMEND
.LBB6_5376:                             ;   in Loop: Header=BB6_5315 Depth=2
	s_or_b64 exec, exec, s[90:91]
.LBB6_5377:                             ;   in Loop: Header=BB6_5315 Depth=2
	s_andn2_saveexec_b64 s[42:43], s[42:43]
	s_cbranch_execz .LBB6_5379
; %bb.5378:                             ;   in Loop: Header=BB6_5315 Depth=2
	;;#ASMSTART
	s_waitcnt lgkmcnt(0) vmcnt(0)
	;;#ASMEND
	s_waitcnt vmcnt(0) lgkmcnt(0)
	s_barrier
.LBB6_5379:                             ;   in Loop: Header=BB6_5315 Depth=2
	s_or_b64 exec, exec, s[42:43]
	buffer_load_dword v0, off, s[0:3], s33 offset:72 ; 4-byte Folded Reload
	s_waitcnt vmcnt(0)
	v_and_b32_e32 v0, 16, v0
	s_or_b64 exec, exec, s[26:27]
	v_cmp_ne_u32_e32 vcc, 0, v0
	s_and_saveexec_b64 s[26:27], vcc
	s_cbranch_execz .LBB6_5314
.LBB6_5380:                             ;   in Loop: Header=BB6_5315 Depth=2
	s_and_saveexec_b64 s[42:43], s[22:23]
	s_cbranch_execz .LBB6_5313
; %bb.5381:                             ;   in Loop: Header=BB6_5315 Depth=2
	buffer_load_dword v0, off, s[0:3], s33 offset:436 ; 4-byte Folded Reload
	buffer_load_dword v1, off, s[0:3], s33 offset:440 ; 4-byte Folded Reload
	v_mov_b32_e32 v2, 1
	s_waitcnt vmcnt(0)
	flat_store_dword v[0:1], v2
	s_branch .LBB6_5313
.LBB6_5382:                             ;   in Loop: Header=BB6_47 Depth=1
	s_or_b64 exec, exec, s[40:41]
.LBB6_5383:                             ;   in Loop: Header=BB6_47 Depth=1
	s_or_b64 exec, exec, s[28:29]
	v_readlane_b32 s28, v62, 9
	v_readlane_b32 s29, v62, 10
	v_cndmask_b32_e64 v0, 0, 1, s[28:29]
	v_cmp_ne_u32_e64 s[26:27], 1, v0
	s_andn2_b64 vcc, exec, s[28:29]
	s_cbranch_vccz .LBB6_5384
; %bb.28889:                            ;   in Loop: Header=BB6_47 Depth=1
	s_getpc_b64 s[98:99]
.Lpost_getpc53:
	s_add_u32 s98, s98, (.LBB6_13098-.Lpost_getpc53)&4294967295
	s_addc_u32 s99, s99, (.LBB6_13098-.Lpost_getpc53)>>32
	s_setpc_b64 s[98:99]
.LBB6_5384:                             ;   in Loop: Header=BB6_47 Depth=1
	s_mov_b32 s80, 2
	s_branch .LBB6_5387
.LBB6_5385:                             ;   in Loop: Header=BB6_5387 Depth=2
	s_or_b64 exec, exec, s[42:43]
.LBB6_5386:                             ;   in Loop: Header=BB6_5387 Depth=2
	s_or_b64 exec, exec, s[40:41]
	s_add_i32 s80, s80, 1
	s_cmp_eq_u32 s80, s66
	s_cbranch_scc0 .LBB6_5387
; %bb.28891:                            ;   in Loop: Header=BB6_47 Depth=1
	s_getpc_b64 s[98:99]
.Lpost_getpc54:
	s_add_u32 s98, s98, (.LBB6_13098-.Lpost_getpc54)&4294967295
	s_addc_u32 s99, s99, (.LBB6_13098-.Lpost_getpc54)>>32
	s_setpc_b64 s[98:99]
.LBB6_5387:                             ;   Parent Loop BB6_47 Depth=1
                                        ; =>  This Loop Header: Depth=2
                                        ;       Child Loop BB6_5390 Depth 3
                                        ;         Child Loop BB6_5398 Depth 4
                                        ;         Child Loop BB6_5426 Depth 4
	;; [unrolled: 1-line block ×9, first 2 shown]
                                        ;       Child Loop BB6_13026 Depth 3
                                        ;         Child Loop BB6_13032 Depth 4
                                        ;         Child Loop BB6_13060 Depth 4
	;; [unrolled: 1-line block ×3, first 2 shown]
	buffer_load_dword v2, off, s[0:3], s33 offset:700 ; 4-byte Folded Reload
	buffer_load_dword v3, off, s[0:3], s33 offset:704 ; 4-byte Folded Reload
	s_sub_i32 s28, s70, s80
	s_cmp_ge_i32 s28, s66
	s_cselect_b32 s29, s66, 0
	s_sub_i32 s28, s28, s29
	s_ashr_i32 s40, s28, 31
	s_waitcnt vmcnt(0)
	v_mul_lo_u32 v1, v2, s40
	v_mul_lo_u32 v0, v3, s28
	v_mad_u64_u32 v[4:5], s[28:29], v2, s28, 0
	v_add3_u32 v5, v5, v1, v0
	buffer_load_dword v0, off, s[0:3], s33 offset:692 ; 4-byte Folded Reload
	buffer_load_dword v1, off, s[0:3], s33 offset:696 ; 4-byte Folded Reload
	s_waitcnt vmcnt(0)
	v_sub_co_u32_e32 v0, vcc, v0, v4
	buffer_store_dword v4, off, s[0:3], s33 offset:508 ; 4-byte Folded Spill
	s_nop 0
	buffer_store_dword v5, off, s[0:3], s33 offset:512 ; 4-byte Folded Spill
	v_subb_co_u32_e32 v1, vcc, v1, v5, vcc
	v_cmp_lt_i64_e32 vcc, v[2:3], v[0:1]
	v_cndmask_b32_e32 v0, v0, v2, vcc
	v_max_i32_e32 v61, 0, v0
	v_add_u32_e32 v1, 31, v61
	v_lshrrev_b32_e32 v1, 1, v1
	v_and_b32_e32 v1, 0x3ffffff0, v1
	v_max_i32_e32 v1, s81, v1
	buffer_store_dword v1, off, s[0:3], s33 offset:388 ; 4-byte Folded Spill
	s_nop 0
	buffer_store_dword v2, off, s[0:3], s33 offset:392 ; 4-byte Folded Spill
	v_cmp_lt_i32_e32 vcc, 0, v0
	s_and_b64 s[28:29], s[74:75], vcc
	v_mov_b32_e32 v0, 0
	v_mov_b32_e32 v1, 0
	buffer_store_dword v1, off, s[0:3], s33 offset:400 ; 4-byte Folded Spill
	s_and_saveexec_b64 s[90:91], s[28:29]
	s_cbranch_execnz .LBB6_5388
; %bb.28893:                            ;   in Loop: Header=BB6_5387 Depth=2
	s_getpc_b64 s[98:99]
.Lpost_getpc55:
	s_add_u32 s98, s98, (.LBB6_13023-.Lpost_getpc55)&4294967295
	s_addc_u32 s99, s99, (.LBB6_13023-.Lpost_getpc55)>>32
	s_setpc_b64 s[98:99]
.LBB6_5388:                             ;   in Loop: Header=BB6_5387 Depth=2
	s_mov_b32 s84, 1
	s_mov_b64 s[94:95], -1
	v_mov_b32_e32 v0, 0
	s_mov_b64 s[92:93], 0
	buffer_store_dword v0, off, s[0:3], s33 offset:400 ; 4-byte Folded Spill
	buffer_store_dword v61, off, s[0:3], s33 offset:516 ; 4-byte Folded Spill
	s_branch .LBB6_5390
.LBB6_5389:                             ;   in Loop: Header=BB6_5390 Depth=3
	s_or_b64 exec, exec, s[28:29]
	buffer_load_dword v0, off, s[0:3], s33 offset:388 ; 4-byte Folded Reload
	buffer_load_dword v1, off, s[0:3], s33 offset:392 ; 4-byte Folded Reload
	;; [unrolled: 1-line block ×3, first 2 shown]
	s_xor_b64 s[28:29], s[94:95], -1
	s_mov_b64 s[94:95], 0
	s_waitcnt vmcnt(0)
	v_add_u32_e32 v1, v0, v1
	v_cmp_ge_i32_e32 vcc, v1, v61
	s_or_b64 s[28:29], s[28:29], vcc
	s_and_b64 s[28:29], exec, s[28:29]
	s_or_b64 s[92:93], s[28:29], s[92:93]
	v_mov_b32_e32 v0, s84
	s_mov_b32 s84, 2
	buffer_store_dword v1, off, s[0:3], s33 offset:400 ; 4-byte Folded Spill
	s_andn2_b64 exec, exec, s[92:93]
	s_cbranch_execnz .LBB6_5390
; %bb.28895:                            ;   in Loop: Header=BB6_5387 Depth=2
	s_getpc_b64 s[98:99]
.Lpost_getpc56:
	s_add_u32 s98, s98, (.LBB6_13022-.Lpost_getpc56)&4294967295
	s_addc_u32 s99, s99, (.LBB6_13022-.Lpost_getpc56)>>32
	s_setpc_b64 s[98:99]
.LBB6_5390:                             ;   Parent Loop BB6_47 Depth=1
                                        ;     Parent Loop BB6_5387 Depth=2
                                        ; =>    This Loop Header: Depth=3
                                        ;         Child Loop BB6_5398 Depth 4
                                        ;         Child Loop BB6_5426 Depth 4
	;; [unrolled: 1-line block ×9, first 2 shown]
	s_and_saveexec_b64 s[28:29], s[4:5]
	s_cbranch_execz .LBB6_5392
; %bb.5391:                             ;   in Loop: Header=BB6_5390 Depth=3
	s_trap 2
	buffer_load_dword v2, off, s[0:3], s33 offset:500 ; 4-byte Folded Reload
	ds_read_b64 v[0:1], v0
	s_waitcnt vmcnt(0) lgkmcnt(0)
	v_add_co_u32_e32 v0, vcc, v0, v2
	buffer_load_dword v2, off, s[0:3], s33 offset:504 ; 4-byte Folded Reload
	s_waitcnt vmcnt(0)
	v_addc_co_u32_e32 v1, vcc, v1, v2, vcc
	buffer_load_dword v2, off, s[0:3], s33 offset:508 ; 4-byte Folded Reload
	buffer_load_dword v3, off, s[0:3], s33 offset:512 ; 4-byte Folded Reload
	s_waitcnt vmcnt(1)
	v_add_co_u32_e32 v0, vcc, v0, v2
	s_waitcnt vmcnt(0)
	v_addc_co_u32_e32 v1, vcc, v1, v3, vcc
	buffer_load_dword v3, off, s[0:3], s33 offset:400 ; 4-byte Folded Reload
	s_waitcnt vmcnt(0)
	v_ashrrev_i32_e32 v2, 31, v3
	v_add_co_u32_e32 v0, vcc, v0, v3
	v_addc_co_u32_e32 v1, vcc, v1, v2, vcc
	ds_write_b64 v0, v[0:1]
	v_mov_b32_e32 v0, v33
	v_mov_b32_e32 v1, v33
	ds_write_b64 v0, v[0:1]
.LBB6_5392:                             ;   in Loop: Header=BB6_5390 Depth=3
	s_or_b64 exec, exec, s[28:29]
	buffer_load_dword v0, off, s[0:3], s33 offset:400 ; 4-byte Folded Reload
	buffer_load_dword v1, off, s[0:3], s33 offset:388 ; 4-byte Folded Reload
	;; [unrolled: 1-line block ×3, first 2 shown]
	s_waitcnt vmcnt(0)
	v_sub_u32_e32 v0, v61, v0
	v_min_i32_e32 v1, v1, v0
	buffer_store_dword v1, off, s[0:3], s33 offset:388 ; 4-byte Folded Spill
	s_nop 0
	buffer_store_dword v2, off, s[0:3], s33 offset:392 ; 4-byte Folded Spill
	buffer_load_dword v0, off, s[0:3], s33 offset:72 ; 4-byte Folded Reload
	s_waitcnt vmcnt(0)
	v_and_b32_e32 v0, 12, v0
	v_cmp_ne_u32_e32 vcc, 0, v0
	s_and_saveexec_b64 s[40:41], vcc
	s_cbranch_execz .LBB6_5418
; %bb.5393:                             ;   in Loop: Header=BB6_5390 Depth=3
	buffer_load_dword v0, off, s[0:3], s33 offset:72 ; 4-byte Folded Reload
	s_waitcnt vmcnt(0)
	v_and_b32_e32 v8, 8, v0
	buffer_load_dword v0, off, s[0:3], s33 offset:56 ; 4-byte Folded Reload
	buffer_load_dword v1, off, s[0:3], s33 offset:60 ; 4-byte Folded Reload
	s_waitcnt vmcnt(0)
	v_add_co_u32_e32 v2, vcc, v0, v8
	v_addc_co_u32_e32 v3, vcc, 0, v1, vcc
	buffer_load_dword v0, off, s[0:3], s33 offset:276 ; 4-byte Folded Reload
	buffer_load_dword v1, off, s[0:3], s33 offset:280 ; 4-byte Folded Reload
	s_waitcnt vmcnt(0)
	v_add_co_u32_e32 v0, vcc, 2, v0
	v_addc_co_u32_e32 v1, vcc, 0, v1, vcc
	v_cmp_lt_u64_e32 vcc, v[2:3], v[0:1]
	s_and_saveexec_b64 s[42:43], vcc
	s_cbranch_execz .LBB6_5405
; %bb.5394:                             ;   in Loop: Header=BB6_5390 Depth=3
	buffer_load_dword v2, off, s[0:3], s33 offset:72 ; 4-byte Folded Reload
	s_mov_b32 s62, 0
	s_mov_b64 s[30:31], 0
                                        ; implicit-def: $sgpr34_sgpr35
                                        ; implicit-def: $sgpr36_sgpr37
                                        ; implicit-def: $sgpr38_sgpr39
	s_waitcnt vmcnt(0)
	v_and_b32_e32 v2, 64, v2
	v_cmp_eq_u32_e32 vcc, 0, v2
	s_branch .LBB6_5398
.LBB6_5395:                             ;   in Loop: Header=BB6_5398 Depth=4
	buffer_load_dword v3, off, s[0:3], s33 offset:56 ; 4-byte Folded Reload
	buffer_load_dword v4, off, s[0:3], s33 offset:60 ; 4-byte Folded Reload
	s_or_b64 s[52:53], s[52:53], exec
	s_waitcnt vmcnt(1)
	v_add_co_u32_e64 v3, s[28:29], v3, v8
	s_waitcnt vmcnt(0)
	v_addc_co_u32_e64 v4, s[28:29], 0, v4, s[28:29]
	v_cmp_ge_u64_e64 s[28:29], v[3:4], v[0:1]
	s_orn2_b64 s[50:51], s[28:29], exec
.LBB6_5396:                             ;   in Loop: Header=BB6_5398 Depth=4
	s_or_b64 exec, exec, s[64:65]
	s_andn2_b64 s[28:29], s[38:39], exec
	s_and_b64 s[38:39], s[52:53], exec
	s_or_b64 s[38:39], s[28:29], s[38:39]
	s_andn2_b64 s[28:29], s[36:37], exec
	s_and_b64 s[36:37], s[50:51], exec
	s_or_b64 s[36:37], s[28:29], s[36:37]
.LBB6_5397:                             ;   in Loop: Header=BB6_5398 Depth=4
	s_or_b64 exec, exec, s[48:49]
	s_and_b64 s[28:29], exec, s[36:37]
	s_or_b64 s[30:31], s[28:29], s[30:31]
	s_andn2_b64 s[28:29], s[34:35], exec
	s_and_b64 s[34:35], s[38:39], exec
	s_or_b64 s[34:35], s[28:29], s[34:35]
	s_andn2_b64 exec, exec, s[30:31]
	s_cbranch_execz .LBB6_5402
.LBB6_5398:                             ;   Parent Loop BB6_47 Depth=1
                                        ;     Parent Loop BB6_5387 Depth=2
                                        ;       Parent Loop BB6_5390 Depth=3
                                        ; =>      This Inner Loop Header: Depth=4
	s_sleep 1
	buffer_load_dword v2, off, s[0:3], s33 offset:64 ; 4-byte Folded Reload
	buffer_load_dword v3, off, s[0:3], s33 offset:68 ; 4-byte Folded Reload
	s_or_b64 s[38:39], s[38:39], exec
	s_or_b64 s[36:37], s[36:37], exec
	s_waitcnt vmcnt(0)
	flat_load_dwordx2 v[2:3], v[2:3] glc
	s_waitcnt vmcnt(0) lgkmcnt(0)
	buffer_store_dword v2, off, s[0:3], s33 offset:56 ; 4-byte Folded Spill
	s_nop 0
	buffer_store_dword v3, off, s[0:3], s33 offset:60 ; 4-byte Folded Spill
                                        ; implicit-def: $vgpr2
	s_and_saveexec_b64 s[48:49], vcc
	s_cbranch_execz .LBB6_5397
; %bb.5399:                             ;   in Loop: Header=BB6_5398 Depth=4
	s_cmpk_lt_i32 s62, 0x270f
	s_cselect_b64 s[54:55], -1, 0
	s_cmpk_gt_i32 s62, 0x270e
	s_mov_b64 s[50:51], -1
	s_cbranch_scc0 .LBB6_5401
; %bb.5400:                             ;   in Loop: Header=BB6_5398 Depth=4
	s_trap 2
	ds_read_b64 v[2:3], v0
	s_andn2_b64 s[54:55], s[54:55], exec
	s_mov_b32 s62, 0
	s_mov_b64 s[52:53], 0
	s_waitcnt vmcnt(0) lgkmcnt(0)
	flat_load_dword v2, v[2:3] glc
	s_waitcnt vmcnt(0) lgkmcnt(0)
	buffer_wbinvl1_vol
	v_cmp_eq_u32_e64 s[28:29], 0, v2
	s_and_b64 s[28:29], s[28:29], exec
	s_or_b64 s[54:55], s[54:55], s[28:29]
	s_and_saveexec_b64 s[64:65], s[54:55]
	s_cbranch_execz .LBB6_5396
	s_branch .LBB6_5395
.LBB6_5401:                             ;   in Loop: Header=BB6_5398 Depth=4
	s_add_i32 s62, s62, 1
	s_mov_b64 s[52:53], -1
                                        ; implicit-def: $vgpr2
	s_and_saveexec_b64 s[64:65], s[54:55]
	s_cbranch_execz .LBB6_5396
	s_branch .LBB6_5395
.LBB6_5402:                             ;   in Loop: Header=BB6_5390 Depth=3
	s_or_b64 exec, exec, s[30:31]
	s_xor_b64 s[28:29], s[34:35], -1
	s_and_saveexec_b64 s[62:63], s[28:29]
	s_xor_b64 s[28:29], exec, s[62:63]
	s_cbranch_execz .LBB6_5404
; %bb.5403:                             ;   in Loop: Header=BB6_5390 Depth=3
	ds_write_b32 v0, v2
	s_trap 2
	buffer_load_dword v2, off, s[0:3], s33 offset:72 ; 4-byte Folded Reload
	s_waitcnt vmcnt(0)
	v_or_b32_e32 v2, 64, v2
	buffer_store_dword v2, off, s[0:3], s33 offset:72 ; 4-byte Folded Spill
.LBB6_5404:                             ;   in Loop: Header=BB6_5390 Depth=3
	s_or_b64 exec, exec, s[28:29]
.LBB6_5405:                             ;   in Loop: Header=BB6_5390 Depth=3
	s_or_b64 exec, exec, s[42:43]
	;;#ASMSTART
	s_wakeup
	;;#ASMEND
	buffer_load_dword v2, off, s[0:3], s33 offset:72 ; 4-byte Folded Reload
	s_waitcnt vmcnt(0)
	v_and_b32_e32 v2, 0x108, v2
	v_cmp_ne_u32_e32 vcc, s69, v2
                                        ; implicit-def: $vgpr2_vgpr3
	s_and_saveexec_b64 s[28:29], vcc
	s_xor_b64 s[28:29], exec, s[28:29]
	s_cbranch_execz .LBB6_5407
; %bb.5406:                             ;   in Loop: Header=BB6_5390 Depth=3
	buffer_load_dword v2, off, s[0:3], s33 offset:276 ; 4-byte Folded Reload
	buffer_load_dword v3, off, s[0:3], s33 offset:280 ; 4-byte Folded Reload
	s_waitcnt vmcnt(0)
	v_mov_b32_e32 v3, v33
                                        ; implicit-def: $vgpr4_vgpr5
                                        ; kill: killed $vgpr4_vgpr5
	v_and_b32_e32 v2, 7, v2
.LBB6_5407:                             ;   in Loop: Header=BB6_5390 Depth=3
	s_andn2_saveexec_b64 s[28:29], s[28:29]
	s_cbranch_execz .LBB6_5409
; %bb.5408:                             ;   in Loop: Header=BB6_5390 Depth=3
	buffer_load_dword v2, off, s[0:3], s33 offset:276 ; 4-byte Folded Reload
	buffer_load_dword v3, off, s[0:3], s33 offset:280 ; 4-byte Folded Reload
	;; [unrolled: 1-line block ×8, first 2 shown]
	s_waitcnt vmcnt(0)
	v_and_b32_e32 v2, 7, v2
	v_mad_u64_u32 v[4:5], s[42:43], v2, 24, v[3:4]
	v_mov_b32_e32 v9, v6
	v_mov_b32_e32 v3, v33
	v_ashrrev_i32_e32 v10, 31, v9
	buffer_store_dword v6, off, s[0:3], s33 offset:388 ; 4-byte Folded Spill
	s_nop 0
	buffer_store_dword v7, off, s[0:3], s33 offset:392 ; 4-byte Folded Spill
	flat_store_dwordx2 v[4:5], v[9:10] offset:8
.LBB6_5409:                             ;   in Loop: Header=BB6_5390 Depth=3
	s_or_b64 exec, exec, s[28:29]
	buffer_load_dword v4, off, s[0:3], s33 offset:72 ; 4-byte Folded Reload
	s_mov_b64 s[28:29], -1
	s_waitcnt vmcnt(0)
	v_and_b32_e32 v4, 0x100, v4
	v_cmp_ne_u32_e32 vcc, 0, v4
                                        ; implicit-def: $vgpr4_vgpr5
	s_and_saveexec_b64 s[42:43], vcc
	s_cbranch_execz .LBB6_5413
; %bb.5410:                             ;   in Loop: Header=BB6_5390 Depth=3
	buffer_load_dword v4, off, s[0:3], s33 offset:420 ; 4-byte Folded Reload
	buffer_load_dword v5, off, s[0:3], s33 offset:424 ; 4-byte Folded Reload
	;; [unrolled: 1-line block ×4, first 2 shown]
	s_waitcnt vmcnt(0)
	v_mad_u64_u32 v[6:7], s[28:29], v2, 24, v[4:5]
	v_mov_b32_e32 v4, v7
	v_mad_u64_u32 v[4:5], s[28:29], v3, 24, v[4:5]
	v_mov_b32_e32 v7, v4
	flat_load_dword v4, v[6:7]
	s_waitcnt vmcnt(0) lgkmcnt(0)
	v_cmp_ne_u32_e32 vcc, 1, v4
	v_cmp_eq_u32_e64 s[28:29], 1, v4
                                        ; implicit-def: $vgpr4_vgpr5
	s_and_saveexec_b64 s[30:31], s[28:29]
	s_cbranch_execz .LBB6_5412
; %bb.5411:                             ;   in Loop: Header=BB6_5390 Depth=3
	flat_load_dword v4, v[6:7] offset:4 glc
	s_waitcnt vmcnt(0) lgkmcnt(0)
	v_ashrrev_i32_e32 v5, 31, v4
.LBB6_5412:                             ;   in Loop: Header=BB6_5390 Depth=3
	s_or_b64 exec, exec, s[30:31]
	s_orn2_b64 s[28:29], vcc, exec
.LBB6_5413:                             ;   in Loop: Header=BB6_5390 Depth=3
	s_or_b64 exec, exec, s[42:43]
	s_and_saveexec_b64 s[42:43], s[28:29]
	s_cbranch_execz .LBB6_5415
; %bb.5414:                             ;   in Loop: Header=BB6_5390 Depth=3
	buffer_load_dword v4, off, s[0:3], s33 offset:456 ; 4-byte Folded Reload
	buffer_load_dword v5, off, s[0:3], s33 offset:476 ; 4-byte Folded Reload
	s_waitcnt vmcnt(0)
	v_mul_lo_u32 v3, v3, v4
	v_mul_lo_u32 v6, v2, v5
	v_mad_u64_u32 v[4:5], s[28:29], v2, v4, 0
	v_add3_u32 v5, v5, v6, v3
.LBB6_5415:                             ;   in Loop: Header=BB6_5390 Depth=3
	s_or_b64 exec, exec, s[42:43]
	v_cmp_eq_u32_e32 vcc, 0, v8
	v_mov_b32_e32 v2, 0xc8
	v_mov_b32_e32 v3, 0x90
	v_cndmask_b32_e32 v6, v2, v3, vcc
	buffer_load_dword v2, off, s[0:3], s33 offset:412 ; 4-byte Folded Reload
	buffer_load_dword v3, off, s[0:3], s33 offset:416 ; 4-byte Folded Reload
	s_waitcnt vmcnt(0)
	v_add_co_u32_e32 v2, vcc, v2, v4
	v_addc_co_u32_e32 v3, vcc, v3, v5, vcc
	v_add_u32_e32 v4, v0, v6
	ds_write_b64 v4, v[2:3] offset:584
	buffer_load_dword v2, off, s[0:3], s33 offset:72 ; 4-byte Folded Reload
	s_waitcnt vmcnt(0)
	v_and_b32_e32 v2, 0x2000, v2
	v_cmp_ne_u32_e32 vcc, 0, v2
	s_and_saveexec_b64 s[28:29], vcc
	s_cbranch_execz .LBB6_5417
; %bb.5416:                             ;   in Loop: Header=BB6_5390 Depth=3
	ds_read_b64 v[2:3], v0 offset:872
	s_waitcnt lgkmcnt(0)
	v_add_co_u32_e32 v2, vcc, 1, v2
	v_addc_co_u32_e32 v3, vcc, 0, v3, vcc
	ds_write_b64 v0, v[2:3] offset:872
.LBB6_5417:                             ;   in Loop: Header=BB6_5390 Depth=3
	s_or_b64 exec, exec, s[28:29]
	buffer_store_dword v0, off, s[0:3], s33 offset:276 ; 4-byte Folded Spill
	s_nop 0
	buffer_store_dword v1, off, s[0:3], s33 offset:280 ; 4-byte Folded Spill
.LBB6_5418:                             ;   in Loop: Header=BB6_5390 Depth=3
	s_or_b64 exec, exec, s[40:41]
	s_and_saveexec_b64 s[28:29], s[12:13]
	s_cbranch_execz .LBB6_5437
; %bb.5419:                             ;   in Loop: Header=BB6_5390 Depth=3
	s_and_saveexec_b64 s[40:41], s[58:59]
	s_xor_b64 s[40:41], exec, s[40:41]
	s_cbranch_execz .LBB6_5434
; %bb.5420:                             ;   in Loop: Header=BB6_5390 Depth=3
	s_and_saveexec_b64 s[42:43], s[6:7]
	s_cbranch_execz .LBB6_5433
; %bb.5421:                             ;   in Loop: Header=BB6_5390 Depth=3
	s_mov_b64 s[34:35], exec
	v_mbcnt_lo_u32_b32 v0, s34, 0
	v_mbcnt_hi_u32_b32 v0, s35, v0
	v_cmp_eq_u32_e32 vcc, 0, v0
	s_waitcnt vmcnt(0) lgkmcnt(0)
	buffer_wbinvl1_vol
	s_and_saveexec_b64 s[30:31], vcc
	s_cbranch_execz .LBB6_5423
; %bb.5422:                             ;   in Loop: Header=BB6_5390 Depth=3
	s_bcnt1_i32_b64 s62, s[34:35]
	v_mov_b32_e32 v0, s62
	v_mov_b32_e32 v1, v33
	ds_add_u64 v0, v[0:1]
	s_trap 2
.LBB6_5423:                             ;   in Loop: Header=BB6_5390 Depth=3
	s_or_b64 exec, exec, s[30:31]
	s_trap 2
	ds_read_b64 v[0:1], v0
	s_waitcnt lgkmcnt(0)
	buffer_load_dword v2, off, s[0:3], s33 offset:76 ; 4-byte Folded Reload
	buffer_load_dword v3, off, s[0:3], s33 offset:80 ; 4-byte Folded Reload
	;; [unrolled: 1-line block ×3, first 2 shown]
	s_waitcnt vmcnt(0)
	v_add_co_u32_e32 v2, vcc, v2, v4
	v_addc_co_u32_e32 v3, vcc, 0, v3, vcc
	buffer_store_dword v2, off, s[0:3], s33 offset:76 ; 4-byte Folded Spill
	s_nop 0
	buffer_store_dword v3, off, s[0:3], s33 offset:80 ; 4-byte Folded Spill
	v_cmp_lt_u64_e32 vcc, v[0:1], v[2:3]
	s_and_saveexec_b64 s[30:31], vcc
	s_cbranch_execz .LBB6_5432
; %bb.5424:                             ;   in Loop: Header=BB6_5390 Depth=3
	s_mov_b32 s62, 0
	s_mov_b64 s[34:35], 0
                                        ; implicit-def: $sgpr36_sgpr37
                                        ; implicit-def: $sgpr38_sgpr39
	s_branch .LBB6_5426
.LBB6_5425:                             ;   in Loop: Header=BB6_5426 Depth=4
	s_or_b64 exec, exec, s[50:51]
	s_and_b64 vcc, exec, vcc
	s_or_b64 s[34:35], vcc, s[34:35]
	s_andn2_b64 vcc, s[36:37], exec
	s_and_b64 s[36:37], s[38:39], exec
	s_or_b64 s[36:37], vcc, s[36:37]
	s_andn2_b64 exec, exec, s[34:35]
	s_cbranch_execz .LBB6_5430
.LBB6_5426:                             ;   Parent Loop BB6_47 Depth=1
                                        ;     Parent Loop BB6_5387 Depth=2
                                        ;       Parent Loop BB6_5390 Depth=3
                                        ; =>      This Inner Loop Header: Depth=4
	s_add_i32 s62, s62, 1
	s_cmpk_lg_i32 s62, 0x2710
	s_cselect_b64 s[48:49], -1, 0
	s_and_b64 vcc, exec, s[48:49]
	s_cbranch_vccz .LBB6_5428
; %bb.5427:                             ;   in Loop: Header=BB6_5426 Depth=4
	s_mov_b64 vcc, -1
	s_or_b64 s[38:39], s[38:39], exec
	s_and_saveexec_b64 s[50:51], s[48:49]
	s_cbranch_execz .LBB6_5425
	s_branch .LBB6_5429
.LBB6_5428:                             ;   in Loop: Header=BB6_5426 Depth=4
	s_trap 2
	ds_read_b64 v[0:1], v0
	s_andn2_b64 s[48:49], s[48:49], exec
	s_mov_b32 s62, 0
	s_waitcnt vmcnt(0) lgkmcnt(0)
	flat_load_dword v0, v[0:1] glc
	s_waitcnt vmcnt(0) lgkmcnt(0)
	buffer_wbinvl1_vol
	v_cmp_eq_u32_e32 vcc, 0, v0
	s_and_b64 vcc, vcc, exec
	s_or_b64 s[48:49], s[48:49], vcc
	s_mov_b64 vcc, -1
	s_or_b64 s[38:39], s[38:39], exec
	s_and_saveexec_b64 s[50:51], s[48:49]
	s_cbranch_execz .LBB6_5425
.LBB6_5429:                             ;   in Loop: Header=BB6_5426 Depth=4
	s_sleep 1
	s_trap 2
	ds_read_b64 v[0:1], v0
	s_waitcnt lgkmcnt(0)
	buffer_load_dword v2, off, s[0:3], s33 offset:76 ; 4-byte Folded Reload
	buffer_load_dword v3, off, s[0:3], s33 offset:80 ; 4-byte Folded Reload
	s_andn2_b64 s[38:39], s[38:39], exec
	s_waitcnt vmcnt(0)
	v_cmp_ge_u64_e32 vcc, v[0:1], v[2:3]
	s_orn2_b64 vcc, vcc, exec
	s_branch .LBB6_5425
.LBB6_5430:                             ;   in Loop: Header=BB6_5390 Depth=3
	s_or_b64 exec, exec, s[34:35]
	s_and_saveexec_b64 s[62:63], s[36:37]
	s_xor_b64 s[62:63], exec, s[62:63]
	s_cbranch_execz .LBB6_5432
; %bb.5431:                             ;   in Loop: Header=BB6_5390 Depth=3
	v_mov_b32_e32 v0, 1
	ds_write_b32 v0, v0
	s_trap 2
.LBB6_5432:                             ;   in Loop: Header=BB6_5390 Depth=3
	s_or_b64 exec, exec, s[30:31]
	;;#ASMSTART
	s_wakeup
	;;#ASMEND
.LBB6_5433:                             ;   in Loop: Header=BB6_5390 Depth=3
	s_or_b64 exec, exec, s[42:43]
.LBB6_5434:                             ;   in Loop: Header=BB6_5390 Depth=3
	s_andn2_saveexec_b64 s[40:41], s[40:41]
	s_cbranch_execz .LBB6_5436
; %bb.5435:                             ;   in Loop: Header=BB6_5390 Depth=3
	s_waitcnt vmcnt(0) lgkmcnt(0)
	buffer_wbinvl1_vol
	s_barrier
.LBB6_5436:                             ;   in Loop: Header=BB6_5390 Depth=3
	s_or_b64 exec, exec, s[40:41]
.LBB6_5437:                             ;   in Loop: Header=BB6_5390 Depth=3
	s_or_b64 exec, exec, s[28:29]
	s_trap 2
	buffer_load_dword v1, off, s[0:3], s33 offset:72 ; 4-byte Folded Reload
	ds_read_b32 v0, v0
	s_xor_b64 s[28:29], s[10:11], -1
	s_waitcnt vmcnt(0)
	v_and_b32_e32 v1, 0x4000, v1
	v_cmp_ne_u32_e32 vcc, 0, v1
	s_and_b64 s[40:41], s[28:29], vcc
	s_and_saveexec_b64 s[28:29], s[40:41]
	s_cbranch_execz .LBB6_5456
; %bb.5438:                             ;   in Loop: Header=BB6_5390 Depth=3
	s_and_saveexec_b64 s[40:41], s[58:59]
	s_xor_b64 s[40:41], exec, s[40:41]
	s_cbranch_execz .LBB6_5453
; %bb.5439:                             ;   in Loop: Header=BB6_5390 Depth=3
	s_and_saveexec_b64 s[42:43], s[6:7]
	s_cbranch_execz .LBB6_5452
; %bb.5440:                             ;   in Loop: Header=BB6_5390 Depth=3
	s_mov_b64 s[34:35], exec
	v_mbcnt_lo_u32_b32 v1, s34, 0
	v_mbcnt_hi_u32_b32 v1, s35, v1
	v_cmp_eq_u32_e32 vcc, 0, v1
	s_waitcnt lgkmcnt(0)
	buffer_wbinvl1_vol
	s_and_saveexec_b64 s[30:31], vcc
	s_cbranch_execz .LBB6_5442
; %bb.5441:                             ;   in Loop: Header=BB6_5390 Depth=3
	s_bcnt1_i32_b64 s62, s[34:35]
	v_mov_b32_e32 v1, s62
	v_mov_b32_e32 v2, v33
	ds_add_u64 v0, v[1:2]
	s_trap 2
.LBB6_5442:                             ;   in Loop: Header=BB6_5390 Depth=3
	s_or_b64 exec, exec, s[30:31]
	s_trap 2
	ds_read_b64 v[1:2], v0
	s_waitcnt lgkmcnt(0)
	buffer_load_dword v3, off, s[0:3], s33 offset:76 ; 4-byte Folded Reload
	buffer_load_dword v4, off, s[0:3], s33 offset:80 ; 4-byte Folded Reload
	;; [unrolled: 1-line block ×3, first 2 shown]
	s_waitcnt vmcnt(0)
	v_add_co_u32_e32 v3, vcc, v3, v5
	v_addc_co_u32_e32 v4, vcc, 0, v4, vcc
	buffer_store_dword v3, off, s[0:3], s33 offset:76 ; 4-byte Folded Spill
	s_nop 0
	buffer_store_dword v4, off, s[0:3], s33 offset:80 ; 4-byte Folded Spill
	v_cmp_lt_u64_e32 vcc, v[1:2], v[3:4]
	s_and_saveexec_b64 s[30:31], vcc
	s_cbranch_execz .LBB6_5451
; %bb.5443:                             ;   in Loop: Header=BB6_5390 Depth=3
	s_mov_b32 s62, 0
	s_mov_b64 s[34:35], 0
                                        ; implicit-def: $sgpr36_sgpr37
                                        ; implicit-def: $sgpr38_sgpr39
	s_branch .LBB6_5445
.LBB6_5444:                             ;   in Loop: Header=BB6_5445 Depth=4
	s_or_b64 exec, exec, s[50:51]
	s_and_b64 vcc, exec, vcc
	s_or_b64 s[34:35], vcc, s[34:35]
	s_andn2_b64 vcc, s[36:37], exec
	s_and_b64 s[36:37], s[38:39], exec
	s_or_b64 s[36:37], vcc, s[36:37]
	s_andn2_b64 exec, exec, s[34:35]
	s_cbranch_execz .LBB6_5449
.LBB6_5445:                             ;   Parent Loop BB6_47 Depth=1
                                        ;     Parent Loop BB6_5387 Depth=2
                                        ;       Parent Loop BB6_5390 Depth=3
                                        ; =>      This Inner Loop Header: Depth=4
	s_add_i32 s62, s62, 1
	s_cmpk_lg_i32 s62, 0x2710
	s_cselect_b64 s[48:49], -1, 0
	s_and_b64 vcc, exec, s[48:49]
	s_cbranch_vccz .LBB6_5447
; %bb.5446:                             ;   in Loop: Header=BB6_5445 Depth=4
	s_mov_b64 vcc, -1
	s_or_b64 s[38:39], s[38:39], exec
	s_and_saveexec_b64 s[50:51], s[48:49]
	s_cbranch_execz .LBB6_5444
	s_branch .LBB6_5448
.LBB6_5447:                             ;   in Loop: Header=BB6_5445 Depth=4
	s_trap 2
	ds_read_b64 v[1:2], v0
	s_andn2_b64 s[48:49], s[48:49], exec
	s_mov_b32 s62, 0
	s_waitcnt vmcnt(0) lgkmcnt(0)
	flat_load_dword v1, v[1:2] glc
	s_waitcnt vmcnt(0) lgkmcnt(0)
	buffer_wbinvl1_vol
	v_cmp_eq_u32_e32 vcc, 0, v1
	s_and_b64 vcc, vcc, exec
	s_or_b64 s[48:49], s[48:49], vcc
	s_mov_b64 vcc, -1
	s_or_b64 s[38:39], s[38:39], exec
	s_and_saveexec_b64 s[50:51], s[48:49]
	s_cbranch_execz .LBB6_5444
.LBB6_5448:                             ;   in Loop: Header=BB6_5445 Depth=4
	s_sleep 1
	s_trap 2
	ds_read_b64 v[1:2], v0
	s_waitcnt lgkmcnt(0)
	buffer_load_dword v3, off, s[0:3], s33 offset:76 ; 4-byte Folded Reload
	buffer_load_dword v4, off, s[0:3], s33 offset:80 ; 4-byte Folded Reload
	s_andn2_b64 s[38:39], s[38:39], exec
	s_waitcnt vmcnt(0)
	v_cmp_ge_u64_e32 vcc, v[1:2], v[3:4]
	s_orn2_b64 vcc, vcc, exec
	s_branch .LBB6_5444
.LBB6_5449:                             ;   in Loop: Header=BB6_5390 Depth=3
	s_or_b64 exec, exec, s[34:35]
	s_and_saveexec_b64 s[62:63], s[36:37]
	s_xor_b64 s[62:63], exec, s[62:63]
	s_cbranch_execz .LBB6_5451
; %bb.5450:                             ;   in Loop: Header=BB6_5390 Depth=3
	v_mov_b32_e32 v1, 1
	ds_write_b32 v0, v1
	s_trap 2
.LBB6_5451:                             ;   in Loop: Header=BB6_5390 Depth=3
	s_or_b64 exec, exec, s[30:31]
	;;#ASMSTART
	s_wakeup
	;;#ASMEND
.LBB6_5452:                             ;   in Loop: Header=BB6_5390 Depth=3
	s_or_b64 exec, exec, s[42:43]
.LBB6_5453:                             ;   in Loop: Header=BB6_5390 Depth=3
	s_andn2_saveexec_b64 s[40:41], s[40:41]
	s_cbranch_execz .LBB6_5455
; %bb.5454:                             ;   in Loop: Header=BB6_5390 Depth=3
	s_waitcnt vmcnt(0) lgkmcnt(0)
	buffer_wbinvl1_vol
	s_barrier
.LBB6_5455:                             ;   in Loop: Header=BB6_5390 Depth=3
	s_or_b64 exec, exec, s[40:41]
.LBB6_5456:                             ;   in Loop: Header=BB6_5390 Depth=3
	s_or_b64 exec, exec, s[28:29]
	s_trap 2
	s_waitcnt lgkmcnt(0)
	ds_read_b64 v[53:54], v0
	s_waitcnt lgkmcnt(0)
	v_cmp_eq_u64_e32 vcc, 0, v[53:54]
	s_cbranch_vccnz .LBB6_5464
; %bb.5457:                             ;   in Loop: Header=BB6_5390 Depth=3
	s_trap 2
	ds_read_b64 v[51:52], v0
	s_waitcnt lgkmcnt(0)
	v_cmp_eq_u64_e32 vcc, 0, v[51:52]
	s_cbranch_vccnz .LBB6_5464
; %bb.5458:                             ;   in Loop: Header=BB6_5390 Depth=3
	s_mov_b64 s[40:41], -1
	s_and_saveexec_b64 s[28:29], s[24:25]
	s_cbranch_execz .LBB6_5460
; %bb.5459:                             ;   in Loop: Header=BB6_5390 Depth=3
	ds_read_b32 v1, v0 offset:720
	s_waitcnt lgkmcnt(0)
	v_and_b32_e32 v1, 15, v1
	v_cmp_eq_u32_e32 vcc, 0, v1
	s_orn2_b64 s[40:41], vcc, exec
.LBB6_5460:                             ;   in Loop: Header=BB6_5390 Depth=3
	s_or_b64 exec, exec, s[28:29]
	s_and_saveexec_b64 s[28:29], s[16:17]
	s_cbranch_execz .LBB6_5462
; %bb.5461:                             ;   in Loop: Header=BB6_5390 Depth=3
	ds_read_b32 v1, v0 offset:784
	s_waitcnt lgkmcnt(0)
	v_and_b32_e32 v1, 15, v1
	v_cmp_eq_u32_e32 vcc, 0, v1
	s_and_b64 s[42:43], s[40:41], vcc
	s_andn2_b64 s[40:41], s[40:41], exec
	s_and_b64 s[42:43], s[42:43], exec
	s_or_b64 s[40:41], s[40:41], s[42:43]
.LBB6_5462:                             ;   in Loop: Header=BB6_5390 Depth=3
	s_or_b64 exec, exec, s[28:29]
	v_cmp_eq_u32_e32 vcc, 0, v0
	buffer_load_dword v0, off, s[0:3], s33 offset:388 ; 4-byte Folded Reload
	buffer_load_dword v1, off, s[0:3], s33 offset:392 ; 4-byte Folded Reload
	;; [unrolled: 1-line block ×3, first 2 shown]
	s_xor_b64 s[40:41], s[40:41], -1
	s_mov_b64 s[28:29], -1
	v_mov_b32_e32 v4, 0
	s_waitcnt vmcnt(1)
	v_cndmask_b32_e32 v1, 0, v0, vcc
	v_cndmask_b32_e64 v0, 0, 1, s[40:41]
	v_cmp_ne_u32_e32 vcc, 0, v0
	v_mov_b32_e32 v5, v1
	buffer_store_dword v1, off, s[0:3], s33 offset:452 ; 4-byte Folded Spill
	s_cbranch_vccz .LBB6_5469
; %bb.5463:                             ;   in Loop: Header=BB6_5390 Depth=3
	s_and_saveexec_b64 s[40:41], s[28:29]
	s_cbranch_execz .LBB6_28845
; %bb.28897:                            ;   in Loop: Header=BB6_5390 Depth=3
	s_getpc_b64 s[98:99]
.Lpost_getpc57:
	s_add_u32 s98, s98, (.LBB6_10584-.Lpost_getpc57)&4294967295
	s_addc_u32 s99, s99, (.LBB6_10584-.Lpost_getpc57)>>32
	s_setpc_b64 s[98:99]
.LBB6_28845:                            ;   in Loop: Header=BB6_5390 Depth=3
	s_getpc_b64 s[98:99]
.Lpost_getpc31:
	s_add_u32 s98, s98, (.LBB6_12980-.Lpost_getpc31)&4294967295
	s_addc_u32 s99, s99, (.LBB6_12980-.Lpost_getpc31)>>32
	s_setpc_b64 s[98:99]
.LBB6_5464:                             ;   in Loop: Header=BB6_5390 Depth=3
	s_mov_b64 s[28:29], 0
	s_and_saveexec_b64 s[40:41], s[12:13]
	s_cbranch_execz .LBB6_5465
; %bb.28899:                            ;   in Loop: Header=BB6_5390 Depth=3
	s_getpc_b64 s[98:99]
.Lpost_getpc58:
	s_add_u32 s98, s98, (.LBB6_12981-.Lpost_getpc58)&4294967295
	s_addc_u32 s99, s99, (.LBB6_12981-.Lpost_getpc58)>>32
	s_setpc_b64 s[98:99]
.LBB6_5465:                             ;   in Loop: Header=BB6_5390 Depth=3
	s_or_b64 exec, exec, s[40:41]
                                        ; implicit-def: $vgpr0
	s_and_saveexec_b64 s[40:41], s[18:19]
	s_xor_b64 s[40:41], exec, s[40:41]
	s_cbranch_execnz .LBB6_5466
; %bb.28901:                            ;   in Loop: Header=BB6_5390 Depth=3
	s_getpc_b64 s[98:99]
.Lpost_getpc59:
	s_add_u32 s98, s98, (.LBB6_12999-.Lpost_getpc59)&4294967295
	s_addc_u32 s99, s99, (.LBB6_12999-.Lpost_getpc59)>>32
	s_setpc_b64 s[98:99]
.LBB6_5466:                             ;   in Loop: Header=BB6_5390 Depth=3
	buffer_load_dword v1, off, s[0:3], s33 offset:72 ; 4-byte Folded Reload
	s_waitcnt vmcnt(0)
	v_and_b32_e32 v0, 16, v1
	v_and_b32_e32 v1, 16, v1
	v_cmp_ne_u32_e32 vcc, 0, v1
	s_and_b64 s[42:43], vcc, s[28:29]
	s_and_saveexec_b64 s[28:29], s[42:43]
	s_cbranch_execz .LBB6_5468
; %bb.5467:                             ;   in Loop: Header=BB6_5390 Depth=3
	v_mov_b32_e32 v0, 1
	s_waitcnt lgkmcnt(0)
	buffer_wbinvl1_vol
.LBB6_5468:                             ;   in Loop: Header=BB6_5390 Depth=3
	s_or_b64 exec, exec, s[28:29]
	s_andn2_saveexec_b64 s[28:29], s[40:41]
	s_cbranch_execnz .LBB6_28847
; %bb.28903:                            ;   in Loop: Header=BB6_5390 Depth=3
	s_getpc_b64 s[98:99]
.Lpost_getpc60:
	s_add_u32 s98, s98, (.LBB6_13018-.Lpost_getpc60)&4294967295
	s_addc_u32 s99, s99, (.LBB6_13018-.Lpost_getpc60)>>32
	s_setpc_b64 s[98:99]
.LBB6_28847:                            ;   in Loop: Header=BB6_5390 Depth=3
	s_getpc_b64 s[98:99]
.Lpost_getpc32:
	s_add_u32 s98, s98, (.LBB6_13000-.Lpost_getpc32)&4294967295
	s_addc_u32 s99, s99, (.LBB6_13000-.Lpost_getpc32)>>32
	s_setpc_b64 s[98:99]
.LBB6_5469:                             ;   in Loop: Header=BB6_5390 Depth=3
	buffer_load_dword v1, off, s[0:3], s33 offset:452 ; 4-byte Folded Reload
	s_waitcnt vmcnt(0)
	v_ashrrev_i32_e32 v0, 31, v1
	v_lshrrev_b32_e32 v0, 20, v0
	v_add_u32_e32 v0, v1, v0
	v_ashrrev_i32_e32 v1, 12, v0
	buffer_load_dword v0, off, s[0:3], s33 offset:524 ; 4-byte Folded Reload
	s_waitcnt vmcnt(0)
	v_sub_u32_e32 v3, v1, v0
	v_cmp_lt_i32_e32 vcc, 0, v3
	s_and_saveexec_b64 s[42:43], vcc
	s_cbranch_execz .LBB6_9577
; %bb.5470:                             ;   in Loop: Header=BB6_5390 Depth=3
	buffer_store_dword v1, off, s[0:3], s33 offset:548 ; 4-byte Folded Spill
	s_trap 2
	buffer_load_dword v2, off, s[0:3], s33 offset:680 ; 4-byte Folded Reload
	ds_read_b64 v[0:1], v0
	s_waitcnt lgkmcnt(0)
	v_readfirstlane_b32 s40, v0
	s_bfe_i32 s62, s40, 0x80000
	s_and_b32 s41, s40, 3
	s_bfe_u32 s28, s40, 0x50002
	s_and_b32 s29, s40, 0x7c
	s_cmpk_eq_i32 s29, 0x7c
	s_flbit_i32_b32 s29, s41
	s_waitcnt vmcnt(0)
	v_add_co_u32_e32 v26, vcc, v53, v2
	buffer_store_dword v53, off, s[0:3], s33 offset:540 ; 4-byte Folded Spill
	s_nop 0
	buffer_store_dword v54, off, s[0:3], s33 offset:544 ; 4-byte Folded Spill
	v_addc_co_u32_e32 v27, vcc, 0, v54, vcc
	v_add_co_u32_e32 v60, vcc, v0, v2
	v_addc_co_u32_e32 v61, vcc, 0, v1, vcc
	v_add_co_u32_e32 v28, vcc, v51, v2
	buffer_store_dword v51, off, s[0:3], s33 offset:532 ; 4-byte Folded Spill
	s_nop 0
	buffer_store_dword v52, off, s[0:3], s33 offset:536 ; 4-byte Folded Spill
	v_mov_b32_e32 v2, 0x7f800000
	v_addc_co_u32_e32 v29, vcc, 0, v52, vcc
	s_cselect_b64 vcc, -1, 0
	s_min_u32 s29, s29, 32
	s_sub_i32 s63, s29, 29
	v_lshlrev_b64 v[0:1], s63, v[0:1]
	s_sub_i32 s29, 30, s29
	s_cmp_eq_u32 s28, 0
	v_and_b32_e32 v0, 3, v0
	s_cselect_b32 s63, s29, s28
	v_mov_b32_e32 v1, s41
	s_cselect_b64 s[28:29], -1, 0
	v_cndmask_b32_e64 v0, v1, v0, s[28:29]
	s_lshl_b32 s28, s40, 24
	s_and_b32 s28, s28, 0x80000000
	s_lshl_b32 s29, s63, 23
	s_add_i32 s29, s29, s28
	v_lshlrev_b32_e32 v0, 21, v0
	s_cmp_eq_u32 s41, 0
	s_sext_i32_i8 s40, s40
	v_or_b32_e32 v0, s29, v0
	s_cselect_b64 s[28:29], -1, 0
	s_cmp_gt_i32 s40, -1
	s_cselect_b64 s[40:41], -1, 0
	v_mov_b32_e32 v1, 0xff800000
	v_cndmask_b32_e64 v1, v1, v2, s[40:41]
	v_mov_b32_e32 v2, 0x7f800001
	v_add_u32_e32 v0, 0x38000000, v0
	v_cndmask_b32_e64 v1, v2, v1, s[28:29]
	v_cndmask_b32_e32 v0, v0, v1, vcc
	s_mov_b64 s[40:41], 0
	s_and_b32 s48, s62, 0xff
	buffer_store_dword v0, off, s[0:3], s33 offset:448 ; 4-byte Folded Spill
	s_branch .LBB6_5473
.LBB6_5471:                             ;   in Loop: Header=BB6_5473 Depth=4
	s_or_b64 exec, exec, s[30:31]
.LBB6_5472:                             ;   in Loop: Header=BB6_5473 Depth=4
	s_or_b64 exec, exec, s[28:29]
	v_lshl_or_b32 v1, v46, 8, v44
	v_lshl_or_b32 v2, v19, 8, v5
	v_lshlrev_b32_e32 v5, 16, v47
	v_lshlrev_b32_e32 v6, 24, v12
	;; [unrolled: 1-line block ×4, first 2 shown]
	v_or3_b32 v11, v1, v5, v6
	v_or3_b32 v10, v2, v10, v12
	v_lshl_or_b32 v1, v55, 8, v13
	v_lshlrev_b32_e32 v2, 16, v56
	v_lshlrev_b32_e32 v5, 24, v57
	v_or3_b32 v12, v1, v2, v5
	v_lshl_or_b32 v1, v58, 8, v50
	v_lshlrev_b32_e32 v2, 24, v14
	v_lshlrev_b32_e32 v5, 16, v59
	v_or3_b32 v13, v1, v5, v2
	buffer_load_dword v1, off, s[0:3], s33 offset:336 ; 4-byte Folded Reload
	buffer_load_dword v2, off, s[0:3], s33 offset:348 ; 4-byte Folded Reload
	v_lshl_or_b32 v6, v49, 8, v48
	v_lshlrev_b32_e32 v0, 24, v0
	buffer_load_dword v5, off, s[0:3], s33 offset:372 ; 4-byte Folded Reload
	s_waitcnt vmcnt(1)
	v_lshl_or_b32 v1, v2, 8, v1
	buffer_load_dword v2, off, s[0:3], s33 offset:360 ; 4-byte Folded Reload
	s_waitcnt vmcnt(1)
	v_lshlrev_b32_e32 v5, 24, v5
	s_waitcnt vmcnt(0)
	v_lshlrev_b32_e32 v2, 16, v2
	v_or3_b32 v49, v1, v2, v5
	buffer_load_dword v1, off, s[0:3], s33 offset:352 ; 4-byte Folded Reload
	buffer_load_dword v2, off, s[0:3], s33 offset:364 ; 4-byte Folded Reload
	v_lshlrev_b32_e32 v5, 24, v53
	s_waitcnt vmcnt(1)
	v_lshlrev_b32_e32 v1, 16, v1
	s_waitcnt vmcnt(0)
	v_lshlrev_b32_e32 v2, 24, v2
	v_or3_b32 v48, v6, v1, v2
	v_lshl_or_b32 v1, v31, 8, v17
	v_lshlrev_b32_e32 v2, 16, v51
	v_or3_b32 v50, v1, v2, v5
	v_lshlrev_b32_e32 v1, 24, v18
	v_lshlrev_b32_e32 v2, 16, v41
	v_lshl_or_b32 v5, v40, 8, v54
	v_or3_b32 v51, v5, v2, v1
	buffer_load_dword v1, off, s[0:3], s33 offset:188 ; 4-byte Folded Reload
	buffer_load_dword v2, off, s[0:3], s33 offset:220 ; 4-byte Folded Reload
	buffer_load_dword v5, off, s[0:3], s33 offset:288 ; 4-byte Folded Reload
	s_waitcnt vmcnt(1)
	v_lshl_or_b32 v1, v2, 8, v1
	buffer_load_dword v2, off, s[0:3], s33 offset:252 ; 4-byte Folded Reload
	s_waitcnt vmcnt(1)
	v_lshlrev_b32_e32 v5, 24, v5
	s_waitcnt vmcnt(0)
	v_lshlrev_b32_e32 v2, 16, v2
	v_or3_b32 v17, v1, v2, v5
	buffer_load_dword v1, off, s[0:3], s33 offset:84 ; 4-byte Folded Reload
	buffer_load_dword v2, off, s[0:3], s33 offset:92 ; 4-byte Folded Reload
	buffer_load_dword v5, off, s[0:3], s33 offset:132 ; 4-byte Folded Reload
	s_waitcnt vmcnt(1)
	v_lshl_or_b32 v1, v2, 8, v1
	buffer_load_dword v2, off, s[0:3], s33 offset:108 ; 4-byte Folded Reload
	s_waitcnt vmcnt(1)
	v_lshlrev_b32_e32 v5, 24, v5
	s_waitcnt vmcnt(0)
	v_lshlrev_b32_e32 v2, 16, v2
	;; [unrolled: 11-line block ×3, first 2 shown]
	v_or3_b32 v18, v1, v2, v5
	buffer_load_dword v1, off, s[0:3], s33 offset:384 ; 4-byte Folded Reload
	buffer_load_dword v2, off, s[0:3], s33 offset:380 ; 4-byte Folded Reload
	;; [unrolled: 1-line block ×4, first 2 shown]
	s_waitcnt vmcnt(3)
	v_lshlrev_b32_e32 v1, 24, v1
	s_waitcnt vmcnt(2)
	v_lshlrev_b32_e32 v2, 16, v2
	s_waitcnt vmcnt(0)
	v_lshl_or_b32 v5, v6, 8, v5
	v_or3_b32 v19, v5, v2, v1
	v_lshl_or_b32 v1, v52, 8, v34
	v_lshlrev_b32_e32 v2, 16, v42
	v_lshlrev_b32_e32 v5, 24, v8
	v_or3_b32 v22, v1, v2, v5
	v_lshl_or_b32 v1, v37, 8, v15
	v_lshlrev_b32_e32 v2, 16, v20
	v_lshlrev_b32_e32 v5, 24, v21
	;; [unrolled: 4-line block ×3, first 2 shown]
	v_or3_b32 v23, v1, v2, v4
	v_lshlrev_b32_e32 v1, 16, v35
	v_lshl_or_b32 v2, v30, 8, v7
	v_or3_b32 v24, v2, v1, v0
	global_store_dwordx4 v[28:29], v[16:19], off glc slc
	global_store_dwordx4 v[28:29], v[48:51], off offset:1024 glc slc
	global_store_dwordx4 v[28:29], v[10:13], off offset:2048 glc slc
	;; [unrolled: 1-line block ×3, first 2 shown]
	buffer_load_dword v1, off, s[0:3], s33 offset:408 ; 4-byte Folded Reload
	buffer_load_dword v0, off, s[0:3], s33 offset:284 ; 4-byte Folded Reload
	s_waitcnt vmcnt(1)
	v_add_co_u32_e32 v26, vcc, v26, v1
	v_addc_co_u32_e32 v27, vcc, 0, v27, vcc
	v_add_co_u32_e32 v60, vcc, v60, v1
	v_addc_co_u32_e32 v61, vcc, 0, v61, vcc
	s_waitcnt vmcnt(0)
	v_sub_u32_e32 v3, v3, v0
	v_cmp_gt_i32_e32 vcc, 1, v3
	s_or_b64 s[40:41], vcc, s[40:41]
	v_add_co_u32_e32 v28, vcc, v28, v1
	v_addc_co_u32_e32 v29, vcc, 0, v29, vcc
	s_andn2_b64 exec, exec, s[40:41]
	s_cbranch_execz .LBB6_9576
.LBB6_5473:                             ;   Parent Loop BB6_47 Depth=1
                                        ;     Parent Loop BB6_5387 Depth=2
                                        ;       Parent Loop BB6_5390 Depth=3
                                        ; =>      This Inner Loop Header: Depth=4
	s_cmpk_lt_i32 s48, 0x80
	s_cbranch_scc1 .LBB6_5477
; %bb.5474:                             ;   in Loop: Header=BB6_5473 Depth=4
	s_and_b32 s62, 0xffff, s48
	s_mov_b64 s[28:29], -1
	s_cmpk_eq_i32 s62, 0x80
	s_cbranch_scc0 .LBB6_5476
; %bb.5475:                             ;   in Loop: Header=BB6_5473 Depth=4
	s_mov_b64 s[28:29], 0
.LBB6_5476:                             ;   in Loop: Header=BB6_5473 Depth=4
	s_brev_b32 s62, 1
	s_branch .LBB6_5479
.LBB6_5477:                             ;   in Loop: Header=BB6_5473 Depth=4
	s_mov_b64 s[28:29], 0
	s_brev_b32 s62, 1
	s_cbranch_execz .LBB6_5479
; %bb.5478:                             ;   in Loop: Header=BB6_5473 Depth=4
	s_and_b32 s28, 0xffff, s48
	s_cmp_lg_u32 s28, 0
	s_mov_b32 s62, 0
	s_cselect_b64 s[28:29], -1, 0
.LBB6_5479:                             ;   in Loop: Header=BB6_5473 Depth=4
	s_andn2_b64 vcc, exec, s[28:29]
	v_mov_b32_e32 v12, s62
	s_cbranch_vccnz .LBB6_5481
; %bb.5480:                             ;   in Loop: Header=BB6_5473 Depth=4
	buffer_load_dword v12, off, s[0:3], s33 offset:448 ; 4-byte Folded Reload
.LBB6_5481:                             ;   in Loop: Header=BB6_5473 Depth=4
	global_load_dwordx4 v[8:11], v[26:27], off glc slc
	v_mov_b32_e32 v0, 0
	s_waitcnt vmcnt(0)
	v_cmp_ne_u16_sdwa s[62:63], v8, v33 src0_sel:BYTE_0 src1_sel:DWORD
	s_and_saveexec_b64 s[28:29], s[62:63]
	s_cbranch_execz .LBB6_5489
; %bb.5482:                             ;   in Loop: Header=BB6_5473 Depth=4
	v_cmp_ne_u16_sdwa s[62:63], sext(v8), s46 src0_sel:BYTE_0 src1_sel:DWORD
	v_bfrev_b32_e32 v0, 1
	s_and_saveexec_b64 s[30:31], s[62:63]
	s_cbranch_execz .LBB6_5488
; %bb.5483:                             ;   in Loop: Header=BB6_5473 Depth=4
	v_and_b32_e32 v0, 0x7c, v8
	v_and_b32_e32 v1, 3, v8
	v_cmp_ne_u32_e32 vcc, s86, v0
                                        ; implicit-def: $vgpr0
	s_and_saveexec_b64 s[62:63], vcc
	s_xor_b64 s[34:35], exec, s[62:63]
	s_cbranch_execz .LBB6_5485
; %bb.5484:                             ;   in Loop: Header=BB6_5473 Depth=4
	v_ffbh_u32_e32 v2, v1
	v_min_u32_e32 v2, 32, v2
	v_bfe_u32 v0, v8, 2, 5
	v_subrev_u32_e32 v4, 29, v2
	v_lshlrev_b64 v[4:5], v4, v[8:9]
	v_sub_u32_e32 v2, 30, v2
	v_cmp_eq_u32_e32 vcc, 0, v0
	v_cndmask_b32_e32 v0, v0, v2, vcc
	v_lshlrev_b32_e32 v2, 24, v8
	v_and_b32_e32 v4, 3, v4
	v_and_b32_e32 v2, 0x80000000, v2
	v_cndmask_b32_e32 v1, v1, v4, vcc
	v_lshl_add_u32 v0, v0, 23, v2
	v_lshl_or_b32 v0, v1, 21, v0
	v_add_u32_e32 v0, 0x38000000, v0
                                        ; implicit-def: $vgpr1
.LBB6_5485:                             ;   in Loop: Header=BB6_5473 Depth=4
	s_andn2_saveexec_b64 s[34:35], s[34:35]
; %bb.5486:                             ;   in Loop: Header=BB6_5473 Depth=4
	v_mov_b32_e32 v0, -1
	v_cmp_gt_i16_sdwa vcc, sext(v8), v0 src0_sel:BYTE_0 src1_sel:DWORD
	v_mov_b32_e32 v0, 0xff800000
	v_mov_b32_e32 v2, 0x7f800000
	v_cndmask_b32_e32 v0, v0, v2, vcc
	v_cmp_eq_u32_e32 vcc, 0, v1
	v_mov_b32_e32 v1, 0x7f800001
	v_cndmask_b32_e32 v0, v1, v0, vcc
; %bb.5487:                             ;   in Loop: Header=BB6_5473 Depth=4
	s_or_b64 exec, exec, s[34:35]
.LBB6_5488:                             ;   in Loop: Header=BB6_5473 Depth=4
	s_or_b64 exec, exec, s[30:31]
.LBB6_5489:                             ;   in Loop: Header=BB6_5473 Depth=4
	s_or_b64 exec, exec, s[28:29]
	v_mul_f32_e32 v0, v12, v0
	v_and_b32_e32 v1, 0x7f800000, v0
	v_mov_b32_e32 v2, v33
	v_cmp_ne_u64_e32 vcc, s[76:77], v[1:2]
	v_and_b32_e32 v32, 0x7fffff, v0
                                        ; implicit-def: $vgpr30
	s_and_saveexec_b64 s[28:29], vcc
	s_xor_b64 s[30:31], exec, s[28:29]
	s_cbranch_execz .LBB6_5503
; %bb.5490:                             ;   in Loop: Header=BB6_5473 Depth=4
	v_and_b32_e32 v1, 0x7fffffff, v0
	v_mov_b32_e32 v2, v33
	v_cmp_gt_u64_e32 vcc, s[78:79], v[1:2]
	v_and_b32_sdwa v4, v0, s97 dst_sel:DWORD dst_unused:UNUSED_PAD src0_sel:BYTE_3 src1_sel:DWORD
                                        ; implicit-def: $vgpr30
	s_and_saveexec_b64 s[28:29], vcc
	s_xor_b64 s[34:35], exec, s[28:29]
	s_cbranch_execz .LBB6_5500
; %bb.5491:                             ;   in Loop: Header=BB6_5473 Depth=4
	v_mov_b32_e32 v30, 0
	v_cmp_ne_u32_e32 vcc, 0, v0
	s_and_saveexec_b64 s[36:37], vcc
	s_cbranch_execz .LBB6_5499
; %bb.5492:                             ;   in Loop: Header=BB6_5473 Depth=4
	v_bfe_u32 v5, v0, 23, 8
	v_cmp_gt_u32_e64 s[28:29], s47, v5
	v_sub_u32_e32 v0, 0x71, v5
	v_cmp_eq_u32_e32 vcc, 0, v5
	v_cndmask_b32_e64 v0, 0, v0, s[28:29]
	v_mov_b32_e32 v2, 0x70
	v_cndmask_b32_e32 v6, v0, v2, vcc
	v_add_u32_e32 v2, 21, v6
	v_or_b32_e32 v1, 0x800000, v32
	v_lshlrev_b64 v[13:14], v2, -1
	v_cndmask_b32_e32 v0, v1, v32, vcc
	v_mov_b32_e32 v1, v33
	v_add_u32_e32 v2, 20, v6
	v_bfi_b32 v13, v13, 0, v0
	v_lshlrev_b64 v[15:16], v2, 1
	v_lshrrev_b64 v[0:1], v6, v[0:1]
	v_bfi_b32 v14, v14, 0, 0
	v_cmp_eq_u64_e64 s[28:29], v[13:14], v[15:16]
	v_mov_b32_e32 v2, v1
	v_mov_b32_e32 v1, v0
	s_and_saveexec_b64 s[38:39], s[28:29]
; %bb.5493:                             ;   in Loop: Header=BB6_5473 Depth=4
	v_bfe_u32 v1, v0, 21, 1
	v_add_co_u32_e64 v1, s[28:29], v0, v1
	v_add_co_u32_e64 v1, s[28:29], -1, v1
; %bb.5494:                             ;   in Loop: Header=BB6_5473 Depth=4
	s_or_b64 exec, exec, s[38:39]
	v_add_u32_e32 v2, 0xffffff81, v5
	v_mov_b32_e32 v5, 0xffffff82
	v_cndmask_b32_e32 v2, v2, v5, vcc
	v_lshrrev_b32_e32 v5, 23, v0
	v_add3_u32 v6, v6, v2, v5
	v_add_u32_e32 v5, 14, v6
	v_and_b32_e32 v1, 0x1fffff, v1
	v_add_u32_e32 v32, v1, v0
	v_cmp_ne_u32_e32 vcc, 0, v5
                                        ; implicit-def: $vgpr0_vgpr1
                                        ; implicit-def: $vgpr2
	s_and_saveexec_b64 s[28:29], vcc
	s_xor_b64 s[28:29], exec, s[28:29]
; %bb.5495:                             ;   in Loop: Header=BB6_5473 Depth=4
	v_cmp_lt_u64_e32 vcc, s[88:89], v[32:33]
	v_add_u32_e32 v0, 15, v6
	v_cndmask_b32_e32 v2, v5, v0, vcc
	v_cndmask_b32_e64 v0, 0, 1, vcc
	v_lshrrev_b64 v[0:1], v0, v[32:33]
; %bb.5496:                             ;   in Loop: Header=BB6_5473 Depth=4
	s_andn2_saveexec_b64 s[28:29], s[28:29]
; %bb.5497:                             ;   in Loop: Header=BB6_5473 Depth=4
	v_mov_b32_e32 v0, v32
	v_mov_b32_e32 v1, v33
	v_bfe_u32 v2, v32, 23, 1
; %bb.5498:                             ;   in Loop: Header=BB6_5473 Depth=4
	s_or_b64 exec, exec, s[28:29]
	v_lshrrev_b64 v[0:1], 21, v[0:1]
	v_cmp_gt_i32_e32 vcc, 32, v2
	v_cndmask_b32_e32 v1, 0, v1, vcc
	v_cndmask_b32_e32 v0, 3, v0, vcc
	v_cmp_eq_u64_e64 s[28:29], 0, v[0:1]
	v_min_i32_e32 v1, 31, v2
	v_lshlrev_b32_e32 v1, 2, v1
	v_cmp_eq_u32_e32 vcc, 0, v2
	v_and_b32_e32 v1, 0xfc, v1
	v_and_or_b32 v0, v0, 3, v1
	s_and_b64 s[28:29], vcc, s[28:29]
	v_cndmask_b32_e64 v0, v0, 0, s[28:29]
	v_or_b32_e32 v30, v0, v4
.LBB6_5499:                             ;   in Loop: Header=BB6_5473 Depth=4
	s_or_b64 exec, exec, s[36:37]
                                        ; implicit-def: $vgpr4
.LBB6_5500:                             ;   in Loop: Header=BB6_5473 Depth=4
	s_andn2_saveexec_b64 s[28:29], s[34:35]
; %bb.5501:                             ;   in Loop: Header=BB6_5473 Depth=4
	v_or_b32_e32 v30, 0x7b, v4
; %bb.5502:                             ;   in Loop: Header=BB6_5473 Depth=4
	s_or_b64 exec, exec, s[28:29]
                                        ; implicit-def: $vgpr0
.LBB6_5503:                             ;   in Loop: Header=BB6_5473 Depth=4
	s_andn2_saveexec_b64 s[28:29], s[30:31]
	s_cbranch_execz .LBB6_5509
; %bb.5504:                             ;   in Loop: Header=BB6_5473 Depth=4
	v_cmp_ne_u64_e32 vcc, 0, v[32:33]
                                        ; implicit-def: $vgpr30
	s_and_saveexec_b64 s[62:63], vcc
	s_xor_b64 vcc, exec, s[62:63]
; %bb.5505:                             ;   in Loop: Header=BB6_5473 Depth=4
	v_or_b32_sdwa v30, v0, s44 dst_sel:DWORD dst_unused:UNUSED_PAD src0_sel:BYTE_3 src1_sel:DWORD
                                        ; implicit-def: $vgpr0
; %bb.5506:                             ;   in Loop: Header=BB6_5473 Depth=4
	s_andn2_saveexec_b64 s[30:31], vcc
; %bb.5507:                             ;   in Loop: Header=BB6_5473 Depth=4
	v_cmp_lt_i32_e32 vcc, -1, v0
	v_bfrev_b32_e32 v0, 0.5
	v_mov_b32_e32 v1, 0x7c
	v_cndmask_b32_e32 v30, v0, v1, vcc
; %bb.5508:                             ;   in Loop: Header=BB6_5473 Depth=4
	s_or_b64 exec, exec, s[30:31]
.LBB6_5509:                             ;   in Loop: Header=BB6_5473 Depth=4
	s_or_b64 exec, exec, s[28:29]
	v_lshrrev_b16_e32 v0, 8, v8
	v_cmp_ne_u16_e32 vcc, 0, v0
	v_mov_b32_e32 v1, 0
	s_and_saveexec_b64 s[28:29], vcc
	s_cbranch_execz .LBB6_5517
; %bb.5510:                             ;   in Loop: Header=BB6_5473 Depth=4
	v_cmp_ne_u16_e32 vcc, s97, v0
	v_bfrev_b32_e32 v1, 1
	s_and_saveexec_b64 s[30:31], vcc
	s_cbranch_execz .LBB6_5516
; %bb.5511:                             ;   in Loop: Header=BB6_5473 Depth=4
	v_and_b32_e32 v1, 0x7c, v0
	v_and_b32_e32 v2, 3, v0
	v_cmp_ne_u32_e32 vcc, s86, v1
                                        ; implicit-def: $vgpr1
	s_and_saveexec_b64 s[62:63], vcc
	s_xor_b64 s[34:35], exec, s[62:63]
	s_cbranch_execz .LBB6_5513
; %bb.5512:                             ;   in Loop: Header=BB6_5473 Depth=4
	v_ffbh_u32_e32 v5, v2
	v_min_u32_e32 v5, 32, v5
	v_mov_b32_e32 v1, v33
	v_subrev_u32_e32 v6, 29, v5
	v_bfe_u32 v4, v0, 2, 5
	v_lshlrev_b64 v[0:1], v6, v[0:1]
	v_cmp_eq_u32_e32 vcc, 0, v4
	v_and_b32_e32 v0, 3, v0
	v_sub_u32_e32 v1, 30, v5
	v_cndmask_b32_e32 v0, v2, v0, vcc
	v_lshlrev_b32_e32 v2, 16, v8
	v_cndmask_b32_e32 v1, v4, v1, vcc
	v_and_b32_e32 v2, 0x80000000, v2
	v_lshl_add_u32 v1, v1, 23, v2
	v_lshl_or_b32 v0, v0, 21, v1
	v_add_u32_e32 v1, 0x38000000, v0
                                        ; implicit-def: $vgpr2
.LBB6_5513:                             ;   in Loop: Header=BB6_5473 Depth=4
	s_andn2_saveexec_b64 s[34:35], s[34:35]
; %bb.5514:                             ;   in Loop: Header=BB6_5473 Depth=4
	v_cmp_lt_i16_e32 vcc, -1, v8
	v_mov_b32_e32 v0, 0xff800000
	v_mov_b32_e32 v1, 0x7f800000
	v_cndmask_b32_e32 v0, v0, v1, vcc
	v_cmp_eq_u32_e32 vcc, 0, v2
	v_mov_b32_e32 v1, 0x7f800001
	v_cndmask_b32_e32 v1, v1, v0, vcc
; %bb.5515:                             ;   in Loop: Header=BB6_5473 Depth=4
	s_or_b64 exec, exec, s[34:35]
.LBB6_5516:                             ;   in Loop: Header=BB6_5473 Depth=4
	s_or_b64 exec, exec, s[30:31]
.LBB6_5517:                             ;   in Loop: Header=BB6_5473 Depth=4
	s_or_b64 exec, exec, s[28:29]
	v_mul_f32_e32 v0, v12, v1
	v_and_b32_e32 v1, 0x7f800000, v0
	v_mov_b32_e32 v2, v33
	v_cmp_ne_u64_e32 vcc, s[76:77], v[1:2]
	v_and_b32_e32 v32, 0x7fffff, v0
                                        ; implicit-def: $vgpr51
	s_and_saveexec_b64 s[28:29], vcc
	s_xor_b64 s[30:31], exec, s[28:29]
	s_cbranch_execz .LBB6_5531
; %bb.5518:                             ;   in Loop: Header=BB6_5473 Depth=4
	v_and_b32_e32 v1, 0x7fffffff, v0
	v_mov_b32_e32 v2, v33
	v_cmp_gt_u64_e32 vcc, s[78:79], v[1:2]
	v_and_b32_sdwa v4, v0, s97 dst_sel:DWORD dst_unused:UNUSED_PAD src0_sel:BYTE_3 src1_sel:DWORD
                                        ; implicit-def: $vgpr51
	s_and_saveexec_b64 s[28:29], vcc
	s_xor_b64 s[34:35], exec, s[28:29]
	s_cbranch_execz .LBB6_5528
; %bb.5519:                             ;   in Loop: Header=BB6_5473 Depth=4
	v_mov_b32_e32 v51, 0
	v_cmp_ne_u32_e32 vcc, 0, v0
	s_and_saveexec_b64 s[36:37], vcc
	s_cbranch_execz .LBB6_5527
; %bb.5520:                             ;   in Loop: Header=BB6_5473 Depth=4
	v_bfe_u32 v5, v0, 23, 8
	v_cmp_gt_u32_e64 s[28:29], s47, v5
	v_sub_u32_e32 v0, 0x71, v5
	v_cmp_eq_u32_e32 vcc, 0, v5
	v_cndmask_b32_e64 v0, 0, v0, s[28:29]
	v_mov_b32_e32 v2, 0x70
	v_cndmask_b32_e32 v6, v0, v2, vcc
	v_add_u32_e32 v2, 21, v6
	v_or_b32_e32 v1, 0x800000, v32
	v_lshlrev_b64 v[13:14], v2, -1
	v_cndmask_b32_e32 v0, v1, v32, vcc
	v_mov_b32_e32 v1, v33
	v_add_u32_e32 v2, 20, v6
	v_bfi_b32 v13, v13, 0, v0
	v_lshlrev_b64 v[15:16], v2, 1
	v_lshrrev_b64 v[0:1], v6, v[0:1]
	v_bfi_b32 v14, v14, 0, 0
	v_cmp_eq_u64_e64 s[28:29], v[13:14], v[15:16]
	v_mov_b32_e32 v2, v1
	v_mov_b32_e32 v1, v0
	s_and_saveexec_b64 s[38:39], s[28:29]
; %bb.5521:                             ;   in Loop: Header=BB6_5473 Depth=4
	v_bfe_u32 v1, v0, 21, 1
	v_add_co_u32_e64 v1, s[28:29], v0, v1
	v_add_co_u32_e64 v1, s[28:29], -1, v1
; %bb.5522:                             ;   in Loop: Header=BB6_5473 Depth=4
	s_or_b64 exec, exec, s[38:39]
	v_add_u32_e32 v2, 0xffffff81, v5
	v_mov_b32_e32 v5, 0xffffff82
	v_cndmask_b32_e32 v2, v2, v5, vcc
	v_lshrrev_b32_e32 v5, 23, v0
	v_add3_u32 v6, v6, v2, v5
	v_add_u32_e32 v5, 14, v6
	v_and_b32_e32 v1, 0x1fffff, v1
	v_add_u32_e32 v32, v1, v0
	v_cmp_ne_u32_e32 vcc, 0, v5
                                        ; implicit-def: $vgpr0_vgpr1
                                        ; implicit-def: $vgpr2
	s_and_saveexec_b64 s[28:29], vcc
	s_xor_b64 s[28:29], exec, s[28:29]
; %bb.5523:                             ;   in Loop: Header=BB6_5473 Depth=4
	v_cmp_lt_u64_e32 vcc, s[88:89], v[32:33]
	v_add_u32_e32 v0, 15, v6
	v_cndmask_b32_e32 v2, v5, v0, vcc
	v_cndmask_b32_e64 v0, 0, 1, vcc
	v_lshrrev_b64 v[0:1], v0, v[32:33]
; %bb.5524:                             ;   in Loop: Header=BB6_5473 Depth=4
	s_andn2_saveexec_b64 s[28:29], s[28:29]
; %bb.5525:                             ;   in Loop: Header=BB6_5473 Depth=4
	v_mov_b32_e32 v0, v32
	v_mov_b32_e32 v1, v33
	v_bfe_u32 v2, v32, 23, 1
; %bb.5526:                             ;   in Loop: Header=BB6_5473 Depth=4
	s_or_b64 exec, exec, s[28:29]
	v_lshrrev_b64 v[0:1], 21, v[0:1]
	v_cmp_gt_i32_e32 vcc, 32, v2
	v_cndmask_b32_e32 v1, 0, v1, vcc
	v_cndmask_b32_e32 v0, 3, v0, vcc
	v_cmp_eq_u64_e64 s[28:29], 0, v[0:1]
	v_min_i32_e32 v1, 31, v2
	v_lshlrev_b32_e32 v1, 2, v1
	v_cmp_eq_u32_e32 vcc, 0, v2
	v_and_b32_e32 v1, 0xfc, v1
	v_and_or_b32 v0, v0, 3, v1
	s_and_b64 s[28:29], vcc, s[28:29]
	v_cndmask_b32_e64 v0, v0, 0, s[28:29]
	v_or_b32_e32 v51, v0, v4
.LBB6_5527:                             ;   in Loop: Header=BB6_5473 Depth=4
	s_or_b64 exec, exec, s[36:37]
                                        ; implicit-def: $vgpr4
.LBB6_5528:                             ;   in Loop: Header=BB6_5473 Depth=4
	s_andn2_saveexec_b64 s[28:29], s[34:35]
; %bb.5529:                             ;   in Loop: Header=BB6_5473 Depth=4
	v_or_b32_e32 v51, 0x7b, v4
; %bb.5530:                             ;   in Loop: Header=BB6_5473 Depth=4
	s_or_b64 exec, exec, s[28:29]
                                        ; implicit-def: $vgpr0
.LBB6_5531:                             ;   in Loop: Header=BB6_5473 Depth=4
	s_andn2_saveexec_b64 s[28:29], s[30:31]
	s_cbranch_execz .LBB6_5537
; %bb.5532:                             ;   in Loop: Header=BB6_5473 Depth=4
	v_cmp_ne_u64_e32 vcc, 0, v[32:33]
                                        ; implicit-def: $vgpr51
	s_and_saveexec_b64 s[62:63], vcc
	s_xor_b64 vcc, exec, s[62:63]
; %bb.5533:                             ;   in Loop: Header=BB6_5473 Depth=4
	v_or_b32_sdwa v51, v0, s44 dst_sel:DWORD dst_unused:UNUSED_PAD src0_sel:BYTE_3 src1_sel:DWORD
                                        ; implicit-def: $vgpr0
; %bb.5534:                             ;   in Loop: Header=BB6_5473 Depth=4
	s_andn2_saveexec_b64 s[30:31], vcc
; %bb.5535:                             ;   in Loop: Header=BB6_5473 Depth=4
	v_cmp_lt_i32_e32 vcc, -1, v0
	v_bfrev_b32_e32 v0, 0.5
	v_mov_b32_e32 v1, 0x7c
	v_cndmask_b32_e32 v51, v0, v1, vcc
; %bb.5536:                             ;   in Loop: Header=BB6_5473 Depth=4
	s_or_b64 exec, exec, s[30:31]
.LBB6_5537:                             ;   in Loop: Header=BB6_5473 Depth=4
	s_or_b64 exec, exec, s[28:29]
	v_lshrrev_b32_e32 v0, 16, v8
	v_cmp_ne_u16_sdwa s[62:63], v0, v33 src0_sel:BYTE_0 src1_sel:DWORD
	v_mov_b32_e32 v1, 0
	s_and_saveexec_b64 s[28:29], s[62:63]
	s_cbranch_execz .LBB6_5545
; %bb.5538:                             ;   in Loop: Header=BB6_5473 Depth=4
	v_cmp_ne_u16_sdwa s[62:63], v0, s97 src0_sel:BYTE_0 src1_sel:DWORD
	v_bfrev_b32_e32 v1, 1
	s_and_saveexec_b64 s[30:31], s[62:63]
	s_cbranch_execz .LBB6_5544
; %bb.5539:                             ;   in Loop: Header=BB6_5473 Depth=4
	v_and_b32_e32 v1, 0x7c0000, v8
	v_bfe_u32 v2, v8, 16, 2
	v_cmp_ne_u32_e32 vcc, s45, v1
                                        ; implicit-def: $vgpr1
	s_and_saveexec_b64 s[62:63], vcc
	s_xor_b64 s[34:35], exec, s[62:63]
	s_cbranch_execz .LBB6_5541
; %bb.5540:                             ;   in Loop: Header=BB6_5473 Depth=4
	v_ffbh_u32_e32 v1, v2
	v_min_u32_e32 v5, 32, v1
	v_subrev_u32_e32 v1, 29, v5
	v_lshlrev_b64 v[0:1], v1, v[0:1]
	v_bfe_u32 v4, v8, 18, 5
	v_and_b32_e32 v0, 3, v0
	v_cmp_eq_u32_e32 vcc, 0, v4
	v_sub_u32_e32 v1, 30, v5
	v_cndmask_b32_e32 v0, v2, v0, vcc
	v_lshlrev_b32_e32 v2, 8, v8
	v_cndmask_b32_e32 v1, v4, v1, vcc
	v_and_b32_e32 v2, 0x80000000, v2
	v_lshl_add_u32 v1, v1, 23, v2
	v_lshl_or_b32 v0, v0, 21, v1
	v_add_u32_e32 v1, 0x38000000, v0
                                        ; implicit-def: $vgpr2
                                        ; implicit-def: $vgpr0
.LBB6_5541:                             ;   in Loop: Header=BB6_5473 Depth=4
	s_andn2_saveexec_b64 s[34:35], s[34:35]
; %bb.5542:                             ;   in Loop: Header=BB6_5473 Depth=4
	v_mov_b32_e32 v1, -1
	v_cmp_gt_i16_sdwa vcc, sext(v0), v1 src0_sel:BYTE_0 src1_sel:DWORD
	v_mov_b32_e32 v0, 0xff800000
	v_mov_b32_e32 v1, 0x7f800000
	v_cndmask_b32_e32 v0, v0, v1, vcc
	v_cmp_eq_u32_e32 vcc, 0, v2
	v_mov_b32_e32 v1, 0x7f800001
	v_cndmask_b32_e32 v1, v1, v0, vcc
; %bb.5543:                             ;   in Loop: Header=BB6_5473 Depth=4
	s_or_b64 exec, exec, s[34:35]
.LBB6_5544:                             ;   in Loop: Header=BB6_5473 Depth=4
	s_or_b64 exec, exec, s[30:31]
.LBB6_5545:                             ;   in Loop: Header=BB6_5473 Depth=4
	s_or_b64 exec, exec, s[28:29]
	v_mul_f32_e32 v0, v12, v1
	v_and_b32_e32 v1, 0x7f800000, v0
	v_mov_b32_e32 v2, v33
	v_cmp_ne_u64_e32 vcc, s[76:77], v[1:2]
	v_and_b32_e32 v32, 0x7fffff, v0
                                        ; implicit-def: $vgpr40
	s_and_saveexec_b64 s[28:29], vcc
	s_xor_b64 s[30:31], exec, s[28:29]
	s_cbranch_execz .LBB6_5559
; %bb.5546:                             ;   in Loop: Header=BB6_5473 Depth=4
	v_and_b32_e32 v1, 0x7fffffff, v0
	v_mov_b32_e32 v2, v33
	v_cmp_gt_u64_e32 vcc, s[78:79], v[1:2]
	v_and_b32_sdwa v4, v0, s97 dst_sel:DWORD dst_unused:UNUSED_PAD src0_sel:BYTE_3 src1_sel:DWORD
                                        ; implicit-def: $vgpr40
	s_and_saveexec_b64 s[28:29], vcc
	s_xor_b64 s[34:35], exec, s[28:29]
	s_cbranch_execz .LBB6_5556
; %bb.5547:                             ;   in Loop: Header=BB6_5473 Depth=4
	v_mov_b32_e32 v40, 0
	v_cmp_ne_u32_e32 vcc, 0, v0
	s_and_saveexec_b64 s[36:37], vcc
	s_cbranch_execz .LBB6_5555
; %bb.5548:                             ;   in Loop: Header=BB6_5473 Depth=4
	v_bfe_u32 v5, v0, 23, 8
	v_cmp_gt_u32_e64 s[28:29], s47, v5
	v_sub_u32_e32 v0, 0x71, v5
	v_cmp_eq_u32_e32 vcc, 0, v5
	v_cndmask_b32_e64 v0, 0, v0, s[28:29]
	v_mov_b32_e32 v2, 0x70
	v_cndmask_b32_e32 v6, v0, v2, vcc
	v_add_u32_e32 v2, 21, v6
	v_or_b32_e32 v1, 0x800000, v32
	v_lshlrev_b64 v[13:14], v2, -1
	v_cndmask_b32_e32 v0, v1, v32, vcc
	v_mov_b32_e32 v1, v33
	v_add_u32_e32 v2, 20, v6
	v_bfi_b32 v13, v13, 0, v0
	v_lshlrev_b64 v[15:16], v2, 1
	v_lshrrev_b64 v[0:1], v6, v[0:1]
	v_bfi_b32 v14, v14, 0, 0
	v_cmp_eq_u64_e64 s[28:29], v[13:14], v[15:16]
	v_mov_b32_e32 v2, v1
	v_mov_b32_e32 v1, v0
	s_and_saveexec_b64 s[38:39], s[28:29]
; %bb.5549:                             ;   in Loop: Header=BB6_5473 Depth=4
	v_bfe_u32 v1, v0, 21, 1
	v_add_co_u32_e64 v1, s[28:29], v0, v1
	v_add_co_u32_e64 v1, s[28:29], -1, v1
; %bb.5550:                             ;   in Loop: Header=BB6_5473 Depth=4
	s_or_b64 exec, exec, s[38:39]
	v_add_u32_e32 v2, 0xffffff81, v5
	v_mov_b32_e32 v5, 0xffffff82
	v_cndmask_b32_e32 v2, v2, v5, vcc
	v_lshrrev_b32_e32 v5, 23, v0
	v_add3_u32 v6, v6, v2, v5
	v_add_u32_e32 v5, 14, v6
	v_and_b32_e32 v1, 0x1fffff, v1
	v_add_u32_e32 v32, v1, v0
	v_cmp_ne_u32_e32 vcc, 0, v5
                                        ; implicit-def: $vgpr0_vgpr1
                                        ; implicit-def: $vgpr2
	s_and_saveexec_b64 s[28:29], vcc
	s_xor_b64 s[28:29], exec, s[28:29]
; %bb.5551:                             ;   in Loop: Header=BB6_5473 Depth=4
	v_cmp_lt_u64_e32 vcc, s[88:89], v[32:33]
	v_add_u32_e32 v0, 15, v6
	v_cndmask_b32_e32 v2, v5, v0, vcc
	v_cndmask_b32_e64 v0, 0, 1, vcc
	v_lshrrev_b64 v[0:1], v0, v[32:33]
; %bb.5552:                             ;   in Loop: Header=BB6_5473 Depth=4
	s_andn2_saveexec_b64 s[28:29], s[28:29]
; %bb.5553:                             ;   in Loop: Header=BB6_5473 Depth=4
	v_mov_b32_e32 v0, v32
	v_mov_b32_e32 v1, v33
	v_bfe_u32 v2, v32, 23, 1
; %bb.5554:                             ;   in Loop: Header=BB6_5473 Depth=4
	s_or_b64 exec, exec, s[28:29]
	v_lshrrev_b64 v[0:1], 21, v[0:1]
	v_cmp_gt_i32_e32 vcc, 32, v2
	v_cndmask_b32_e32 v1, 0, v1, vcc
	v_cndmask_b32_e32 v0, 3, v0, vcc
	v_cmp_eq_u64_e64 s[28:29], 0, v[0:1]
	v_min_i32_e32 v1, 31, v2
	v_lshlrev_b32_e32 v1, 2, v1
	v_cmp_eq_u32_e32 vcc, 0, v2
	v_and_b32_e32 v1, 0xfc, v1
	v_and_or_b32 v0, v0, 3, v1
	s_and_b64 s[28:29], vcc, s[28:29]
	v_cndmask_b32_e64 v0, v0, 0, s[28:29]
	v_or_b32_e32 v40, v0, v4
.LBB6_5555:                             ;   in Loop: Header=BB6_5473 Depth=4
	s_or_b64 exec, exec, s[36:37]
                                        ; implicit-def: $vgpr4
.LBB6_5556:                             ;   in Loop: Header=BB6_5473 Depth=4
	s_andn2_saveexec_b64 s[28:29], s[34:35]
; %bb.5557:                             ;   in Loop: Header=BB6_5473 Depth=4
	v_or_b32_e32 v40, 0x7b, v4
; %bb.5558:                             ;   in Loop: Header=BB6_5473 Depth=4
	s_or_b64 exec, exec, s[28:29]
                                        ; implicit-def: $vgpr0
.LBB6_5559:                             ;   in Loop: Header=BB6_5473 Depth=4
	s_andn2_saveexec_b64 s[28:29], s[30:31]
	s_cbranch_execz .LBB6_5565
; %bb.5560:                             ;   in Loop: Header=BB6_5473 Depth=4
	v_cmp_ne_u64_e32 vcc, 0, v[32:33]
                                        ; implicit-def: $vgpr40
	s_and_saveexec_b64 s[62:63], vcc
	s_xor_b64 vcc, exec, s[62:63]
; %bb.5561:                             ;   in Loop: Header=BB6_5473 Depth=4
	v_or_b32_sdwa v40, v0, s44 dst_sel:DWORD dst_unused:UNUSED_PAD src0_sel:BYTE_3 src1_sel:DWORD
                                        ; implicit-def: $vgpr0
; %bb.5562:                             ;   in Loop: Header=BB6_5473 Depth=4
	s_andn2_saveexec_b64 s[30:31], vcc
; %bb.5563:                             ;   in Loop: Header=BB6_5473 Depth=4
	v_cmp_lt_i32_e32 vcc, -1, v0
	v_bfrev_b32_e32 v0, 0.5
	v_mov_b32_e32 v1, 0x7c
	v_cndmask_b32_e32 v40, v0, v1, vcc
; %bb.5564:                             ;   in Loop: Header=BB6_5473 Depth=4
	s_or_b64 exec, exec, s[30:31]
.LBB6_5565:                             ;   in Loop: Header=BB6_5473 Depth=4
	s_or_b64 exec, exec, s[28:29]
	v_cmp_lt_u32_e32 vcc, s57, v8
	v_mov_b32_e32 v1, 0
	s_and_saveexec_b64 s[28:29], vcc
	s_cbranch_execz .LBB6_5573
; %bb.5566:                             ;   in Loop: Header=BB6_5473 Depth=4
	v_lshrrev_b32_e32 v0, 24, v8
	v_cmp_ne_u32_e32 vcc, s97, v0
	v_bfrev_b32_e32 v1, 1
	s_and_saveexec_b64 s[30:31], vcc
	s_cbranch_execz .LBB6_5572
; %bb.5567:                             ;   in Loop: Header=BB6_5473 Depth=4
	v_and_b32_e32 v1, 0x7c000000, v8
	v_bfe_u32 v2, v8, 24, 2
	v_cmp_ne_u32_e32 vcc, s68, v1
                                        ; implicit-def: $vgpr1
	s_and_saveexec_b64 s[62:63], vcc
	s_xor_b64 s[34:35], exec, s[62:63]
	s_cbranch_execz .LBB6_5569
; %bb.5568:                             ;   in Loop: Header=BB6_5473 Depth=4
	v_ffbh_u32_e32 v1, v2
	v_min_u32_e32 v5, 32, v1
	v_subrev_u32_e32 v1, 29, v5
	v_lshlrev_b64 v[0:1], v1, v[0:1]
	v_bfe_u32 v4, v8, 26, 5
	v_sub_u32_e32 v1, 30, v5
	v_and_b32_e32 v0, 3, v0
	v_cmp_eq_u32_e32 vcc, 0, v4
	v_cndmask_b32_e32 v1, v4, v1, vcc
	v_cndmask_b32_e32 v0, v2, v0, vcc
	v_and_b32_e32 v2, 0x80000000, v8
	v_lshl_add_u32 v1, v1, 23, v2
	v_lshl_or_b32 v0, v0, 21, v1
	v_add_u32_e32 v1, 0x38000000, v0
                                        ; implicit-def: $vgpr2
.LBB6_5569:                             ;   in Loop: Header=BB6_5473 Depth=4
	s_andn2_saveexec_b64 s[34:35], s[34:35]
; %bb.5570:                             ;   in Loop: Header=BB6_5473 Depth=4
	v_cmp_lt_i32_e32 vcc, -1, v8
	v_mov_b32_e32 v0, 0xff800000
	v_mov_b32_e32 v1, 0x7f800000
	v_cndmask_b32_e32 v0, v0, v1, vcc
	v_cmp_eq_u32_e32 vcc, 0, v2
	v_mov_b32_e32 v1, 0x7f800001
	v_cndmask_b32_e32 v1, v1, v0, vcc
; %bb.5571:                             ;   in Loop: Header=BB6_5473 Depth=4
	s_or_b64 exec, exec, s[34:35]
.LBB6_5572:                             ;   in Loop: Header=BB6_5473 Depth=4
	s_or_b64 exec, exec, s[30:31]
.LBB6_5573:                             ;   in Loop: Header=BB6_5473 Depth=4
	s_or_b64 exec, exec, s[28:29]
	v_mul_f32_e32 v0, v12, v1
	v_and_b32_e32 v1, 0x7f800000, v0
	v_mov_b32_e32 v2, v33
	v_cmp_ne_u64_e32 vcc, s[76:77], v[1:2]
	v_and_b32_e32 v32, 0x7fffff, v0
                                        ; implicit-def: $vgpr41
	s_and_saveexec_b64 s[28:29], vcc
	s_xor_b64 s[30:31], exec, s[28:29]
	s_cbranch_execz .LBB6_5587
; %bb.5574:                             ;   in Loop: Header=BB6_5473 Depth=4
	v_and_b32_e32 v1, 0x7fffffff, v0
	v_mov_b32_e32 v2, v33
	v_cmp_gt_u64_e32 vcc, s[78:79], v[1:2]
	v_and_b32_sdwa v4, v0, s97 dst_sel:DWORD dst_unused:UNUSED_PAD src0_sel:BYTE_3 src1_sel:DWORD
                                        ; implicit-def: $vgpr41
	s_and_saveexec_b64 s[28:29], vcc
	s_xor_b64 s[34:35], exec, s[28:29]
	s_cbranch_execz .LBB6_5584
; %bb.5575:                             ;   in Loop: Header=BB6_5473 Depth=4
	v_mov_b32_e32 v41, 0
	v_cmp_ne_u32_e32 vcc, 0, v0
	s_and_saveexec_b64 s[36:37], vcc
	s_cbranch_execz .LBB6_5583
; %bb.5576:                             ;   in Loop: Header=BB6_5473 Depth=4
	v_bfe_u32 v5, v0, 23, 8
	v_cmp_gt_u32_e64 s[28:29], s47, v5
	v_sub_u32_e32 v0, 0x71, v5
	v_cmp_eq_u32_e32 vcc, 0, v5
	v_cndmask_b32_e64 v0, 0, v0, s[28:29]
	v_mov_b32_e32 v2, 0x70
	v_cndmask_b32_e32 v6, v0, v2, vcc
	v_add_u32_e32 v2, 21, v6
	v_or_b32_e32 v1, 0x800000, v32
	v_lshlrev_b64 v[13:14], v2, -1
	v_cndmask_b32_e32 v0, v1, v32, vcc
	v_mov_b32_e32 v1, v33
	v_add_u32_e32 v2, 20, v6
	v_bfi_b32 v13, v13, 0, v0
	v_lshlrev_b64 v[15:16], v2, 1
	v_lshrrev_b64 v[0:1], v6, v[0:1]
	v_bfi_b32 v14, v14, 0, 0
	v_cmp_eq_u64_e64 s[28:29], v[13:14], v[15:16]
	v_mov_b32_e32 v2, v1
	v_mov_b32_e32 v1, v0
	s_and_saveexec_b64 s[38:39], s[28:29]
; %bb.5577:                             ;   in Loop: Header=BB6_5473 Depth=4
	v_bfe_u32 v1, v0, 21, 1
	v_add_co_u32_e64 v1, s[28:29], v0, v1
	v_add_co_u32_e64 v1, s[28:29], -1, v1
; %bb.5578:                             ;   in Loop: Header=BB6_5473 Depth=4
	s_or_b64 exec, exec, s[38:39]
	v_add_u32_e32 v2, 0xffffff81, v5
	v_mov_b32_e32 v5, 0xffffff82
	v_cndmask_b32_e32 v2, v2, v5, vcc
	v_lshrrev_b32_e32 v5, 23, v0
	v_add3_u32 v6, v6, v2, v5
	v_add_u32_e32 v5, 14, v6
	v_and_b32_e32 v1, 0x1fffff, v1
	v_add_u32_e32 v32, v1, v0
	v_cmp_ne_u32_e32 vcc, 0, v5
                                        ; implicit-def: $vgpr0_vgpr1
                                        ; implicit-def: $vgpr2
	s_and_saveexec_b64 s[28:29], vcc
	s_xor_b64 s[28:29], exec, s[28:29]
; %bb.5579:                             ;   in Loop: Header=BB6_5473 Depth=4
	v_cmp_lt_u64_e32 vcc, s[88:89], v[32:33]
	v_add_u32_e32 v0, 15, v6
	v_cndmask_b32_e32 v2, v5, v0, vcc
	v_cndmask_b32_e64 v0, 0, 1, vcc
	v_lshrrev_b64 v[0:1], v0, v[32:33]
; %bb.5580:                             ;   in Loop: Header=BB6_5473 Depth=4
	s_andn2_saveexec_b64 s[28:29], s[28:29]
; %bb.5581:                             ;   in Loop: Header=BB6_5473 Depth=4
	v_mov_b32_e32 v0, v32
	v_mov_b32_e32 v1, v33
	v_bfe_u32 v2, v32, 23, 1
; %bb.5582:                             ;   in Loop: Header=BB6_5473 Depth=4
	s_or_b64 exec, exec, s[28:29]
	v_lshrrev_b64 v[0:1], 21, v[0:1]
	v_cmp_gt_i32_e32 vcc, 32, v2
	v_cndmask_b32_e32 v1, 0, v1, vcc
	v_cndmask_b32_e32 v0, 3, v0, vcc
	v_cmp_eq_u64_e64 s[28:29], 0, v[0:1]
	v_min_i32_e32 v1, 31, v2
	v_lshlrev_b32_e32 v1, 2, v1
	v_cmp_eq_u32_e32 vcc, 0, v2
	v_and_b32_e32 v1, 0xfc, v1
	v_and_or_b32 v0, v0, 3, v1
	s_and_b64 s[28:29], vcc, s[28:29]
	v_cndmask_b32_e64 v0, v0, 0, s[28:29]
	v_or_b32_e32 v41, v0, v4
.LBB6_5583:                             ;   in Loop: Header=BB6_5473 Depth=4
	s_or_b64 exec, exec, s[36:37]
                                        ; implicit-def: $vgpr4
.LBB6_5584:                             ;   in Loop: Header=BB6_5473 Depth=4
	s_andn2_saveexec_b64 s[28:29], s[34:35]
; %bb.5585:                             ;   in Loop: Header=BB6_5473 Depth=4
	v_or_b32_e32 v41, 0x7b, v4
; %bb.5586:                             ;   in Loop: Header=BB6_5473 Depth=4
	s_or_b64 exec, exec, s[28:29]
                                        ; implicit-def: $vgpr0
.LBB6_5587:                             ;   in Loop: Header=BB6_5473 Depth=4
	s_andn2_saveexec_b64 s[28:29], s[30:31]
	s_cbranch_execz .LBB6_5593
; %bb.5588:                             ;   in Loop: Header=BB6_5473 Depth=4
	v_cmp_ne_u64_e32 vcc, 0, v[32:33]
                                        ; implicit-def: $vgpr41
	s_and_saveexec_b64 s[62:63], vcc
	s_xor_b64 vcc, exec, s[62:63]
; %bb.5589:                             ;   in Loop: Header=BB6_5473 Depth=4
	v_or_b32_sdwa v41, v0, s44 dst_sel:DWORD dst_unused:UNUSED_PAD src0_sel:BYTE_3 src1_sel:DWORD
                                        ; implicit-def: $vgpr0
; %bb.5590:                             ;   in Loop: Header=BB6_5473 Depth=4
	s_andn2_saveexec_b64 s[30:31], vcc
; %bb.5591:                             ;   in Loop: Header=BB6_5473 Depth=4
	v_cmp_lt_i32_e32 vcc, -1, v0
	v_bfrev_b32_e32 v0, 0.5
	v_mov_b32_e32 v1, 0x7c
	v_cndmask_b32_e32 v41, v0, v1, vcc
; %bb.5592:                             ;   in Loop: Header=BB6_5473 Depth=4
	s_or_b64 exec, exec, s[30:31]
.LBB6_5593:                             ;   in Loop: Header=BB6_5473 Depth=4
	s_or_b64 exec, exec, s[28:29]
	v_mov_b32_e32 v32, v9
	v_cmp_ne_u16_sdwa s[62:63], v9, v33 src0_sel:BYTE_0 src1_sel:DWORD
	v_mov_b32_e32 v0, 0
	s_and_saveexec_b64 s[28:29], s[62:63]
	s_cbranch_execz .LBB6_5601
; %bb.5594:                             ;   in Loop: Header=BB6_5473 Depth=4
	v_cmp_ne_u16_sdwa s[62:63], v9, s97 src0_sel:BYTE_0 src1_sel:DWORD
	v_bfrev_b32_e32 v0, 1
	s_and_saveexec_b64 s[30:31], s[62:63]
	s_cbranch_execz .LBB6_5600
; %bb.5595:                             ;   in Loop: Header=BB6_5473 Depth=4
	v_and_b32_e32 v0, 0x7c, v9
	v_and_b32_e32 v1, 3, v9
	v_cmp_ne_u32_e32 vcc, s86, v0
                                        ; implicit-def: $vgpr0
	s_and_saveexec_b64 s[62:63], vcc
	s_xor_b64 s[34:35], exec, s[62:63]
	s_cbranch_execz .LBB6_5597
; %bb.5596:                             ;   in Loop: Header=BB6_5473 Depth=4
	v_ffbh_u32_e32 v2, v1
	v_min_u32_e32 v2, 32, v2
	v_bfe_u32 v0, v9, 2, 5
	v_subrev_u32_e32 v4, 29, v2
	v_lshlrev_b64 v[4:5], v4, v[32:33]
	v_sub_u32_e32 v2, 30, v2
	v_cmp_eq_u32_e32 vcc, 0, v0
	v_cndmask_b32_e32 v0, v0, v2, vcc
	v_lshlrev_b32_e32 v2, 24, v9
	v_and_b32_e32 v4, 3, v4
	v_and_b32_e32 v2, 0x80000000, v2
	v_cndmask_b32_e32 v1, v1, v4, vcc
	v_lshl_add_u32 v0, v0, 23, v2
	v_lshl_or_b32 v0, v1, 21, v0
	v_add_u32_e32 v0, 0x38000000, v0
                                        ; implicit-def: $vgpr1
.LBB6_5597:                             ;   in Loop: Header=BB6_5473 Depth=4
	s_andn2_saveexec_b64 s[34:35], s[34:35]
; %bb.5598:                             ;   in Loop: Header=BB6_5473 Depth=4
	v_mov_b32_e32 v0, -1
	v_cmp_gt_i16_sdwa vcc, sext(v9), v0 src0_sel:BYTE_0 src1_sel:DWORD
	v_mov_b32_e32 v0, 0xff800000
	v_mov_b32_e32 v2, 0x7f800000
	v_cndmask_b32_e32 v0, v0, v2, vcc
	v_cmp_eq_u32_e32 vcc, 0, v1
	v_mov_b32_e32 v1, 0x7f800001
	v_cndmask_b32_e32 v0, v1, v0, vcc
; %bb.5599:                             ;   in Loop: Header=BB6_5473 Depth=4
	s_or_b64 exec, exec, s[34:35]
.LBB6_5600:                             ;   in Loop: Header=BB6_5473 Depth=4
	s_or_b64 exec, exec, s[30:31]
.LBB6_5601:                             ;   in Loop: Header=BB6_5473 Depth=4
	s_or_b64 exec, exec, s[28:29]
	v_mul_f32_e32 v2, v12, v0
	v_and_b32_e32 v4, 0x7f800000, v2
	v_mov_b32_e32 v5, v33
	v_cmp_ne_u64_e32 vcc, s[76:77], v[4:5]
	v_and_b32_e32 v0, 0x7fffff, v2
	v_mov_b32_e32 v1, v33
                                        ; implicit-def: $vgpr4
	s_and_saveexec_b64 s[28:29], vcc
	s_xor_b64 s[30:31], exec, s[28:29]
	s_cbranch_execz .LBB6_5615
; %bb.5602:                             ;   in Loop: Header=BB6_5473 Depth=4
	v_and_b32_e32 v4, 0x7fffffff, v2
	v_mov_b32_e32 v5, v33
	v_cmp_gt_u64_e32 vcc, s[78:79], v[4:5]
	v_and_b32_sdwa v5, v2, s97 dst_sel:DWORD dst_unused:UNUSED_PAD src0_sel:BYTE_3 src1_sel:DWORD
                                        ; implicit-def: $vgpr4
	s_and_saveexec_b64 s[28:29], vcc
	s_xor_b64 s[34:35], exec, s[28:29]
	s_cbranch_execz .LBB6_5612
; %bb.5603:                             ;   in Loop: Header=BB6_5473 Depth=4
	v_mov_b32_e32 v4, 0
	v_cmp_ne_u32_e32 vcc, 0, v2
	s_and_saveexec_b64 s[36:37], vcc
	s_cbranch_execz .LBB6_5611
; %bb.5604:                             ;   in Loop: Header=BB6_5473 Depth=4
	v_bfe_u32 v4, v2, 23, 8
	v_cmp_gt_u32_e64 s[28:29], s47, v4
	v_sub_u32_e32 v2, 0x71, v4
	v_cmp_eq_u32_e32 vcc, 0, v4
	v_cndmask_b32_e64 v2, 0, v2, s[28:29]
	v_mov_b32_e32 v6, 0x70
	v_cndmask_b32_e32 v6, v2, v6, vcc
	v_add_u32_e32 v2, 21, v6
	v_or_b32_e32 v7, 0x800000, v0
	v_lshlrev_b64 v[13:14], v2, -1
	v_cndmask_b32_e32 v0, v7, v0, vcc
	v_add_u32_e32 v2, 20, v6
	v_bfi_b32 v13, v13, 0, v0
	v_lshlrev_b64 v[15:16], v2, 1
	v_lshrrev_b64 v[0:1], v6, v[0:1]
	v_bfi_b32 v14, v14, 0, 0
	v_cmp_eq_u64_e64 s[28:29], v[13:14], v[15:16]
	v_mov_b32_e32 v2, v1
	v_mov_b32_e32 v1, v0
	s_and_saveexec_b64 s[38:39], s[28:29]
; %bb.5605:                             ;   in Loop: Header=BB6_5473 Depth=4
	v_bfe_u32 v1, v0, 21, 1
	v_add_co_u32_e64 v1, s[28:29], v0, v1
	v_add_co_u32_e64 v1, s[28:29], -1, v1
; %bb.5606:                             ;   in Loop: Header=BB6_5473 Depth=4
	s_or_b64 exec, exec, s[38:39]
	v_add_u32_e32 v2, 0xffffff81, v4
	v_mov_b32_e32 v4, 0xffffff82
	v_cndmask_b32_e32 v2, v2, v4, vcc
	v_lshrrev_b32_e32 v4, 23, v0
	v_add3_u32 v6, v6, v2, v4
	v_add_u32_e32 v4, 14, v6
	v_and_b32_e32 v1, 0x1fffff, v1
	v_add_u32_e32 v0, v1, v0
	v_mov_b32_e32 v1, v33
	v_cmp_ne_u32_e32 vcc, 0, v4
                                        ; implicit-def: $vgpr2
	s_and_saveexec_b64 s[28:29], vcc
	s_xor_b64 s[28:29], exec, s[28:29]
; %bb.5607:                             ;   in Loop: Header=BB6_5473 Depth=4
	v_cmp_lt_u64_e32 vcc, s[88:89], v[0:1]
	v_add_u32_e32 v2, 15, v6
	v_cndmask_b32_e32 v2, v4, v2, vcc
	v_cndmask_b32_e64 v4, 0, 1, vcc
	v_lshrrev_b64 v[0:1], v4, v[0:1]
; %bb.5608:                             ;   in Loop: Header=BB6_5473 Depth=4
	s_andn2_saveexec_b64 s[28:29], s[28:29]
; %bb.5609:                             ;   in Loop: Header=BB6_5473 Depth=4
	v_bfe_u32 v2, v0, 23, 1
; %bb.5610:                             ;   in Loop: Header=BB6_5473 Depth=4
	s_or_b64 exec, exec, s[28:29]
	v_lshrrev_b64 v[0:1], 21, v[0:1]
	v_cmp_gt_i32_e32 vcc, 32, v2
	v_cndmask_b32_e32 v1, 0, v1, vcc
	v_cndmask_b32_e32 v0, 3, v0, vcc
	v_cmp_eq_u64_e64 s[28:29], 0, v[0:1]
	v_min_i32_e32 v1, 31, v2
	v_lshlrev_b32_e32 v1, 2, v1
	v_cmp_eq_u32_e32 vcc, 0, v2
	v_and_b32_e32 v1, 0xfc, v1
	v_and_or_b32 v0, v0, 3, v1
	s_and_b64 s[28:29], vcc, s[28:29]
	v_cndmask_b32_e64 v0, v0, 0, s[28:29]
	v_or_b32_e32 v4, v0, v5
.LBB6_5611:                             ;   in Loop: Header=BB6_5473 Depth=4
	s_or_b64 exec, exec, s[36:37]
                                        ; implicit-def: $vgpr5
.LBB6_5612:                             ;   in Loop: Header=BB6_5473 Depth=4
	s_andn2_saveexec_b64 s[28:29], s[34:35]
; %bb.5613:                             ;   in Loop: Header=BB6_5473 Depth=4
	v_or_b32_e32 v4, 0x7b, v5
; %bb.5614:                             ;   in Loop: Header=BB6_5473 Depth=4
	s_or_b64 exec, exec, s[28:29]
                                        ; implicit-def: $vgpr2
                                        ; implicit-def: $vgpr0_vgpr1
.LBB6_5615:                             ;   in Loop: Header=BB6_5473 Depth=4
	s_andn2_saveexec_b64 s[28:29], s[30:31]
	s_cbranch_execz .LBB6_5621
; %bb.5616:                             ;   in Loop: Header=BB6_5473 Depth=4
	v_cmp_ne_u64_e32 vcc, 0, v[0:1]
                                        ; implicit-def: $vgpr4
	s_and_saveexec_b64 s[62:63], vcc
	s_xor_b64 vcc, exec, s[62:63]
; %bb.5617:                             ;   in Loop: Header=BB6_5473 Depth=4
	v_or_b32_sdwa v4, v2, s44 dst_sel:DWORD dst_unused:UNUSED_PAD src0_sel:BYTE_3 src1_sel:DWORD
                                        ; implicit-def: $vgpr2
; %bb.5618:                             ;   in Loop: Header=BB6_5473 Depth=4
	s_andn2_saveexec_b64 s[30:31], vcc
; %bb.5619:                             ;   in Loop: Header=BB6_5473 Depth=4
	v_cmp_lt_i32_e32 vcc, -1, v2
	v_bfrev_b32_e32 v0, 0.5
	v_mov_b32_e32 v1, 0x7c
	v_cndmask_b32_e32 v4, v0, v1, vcc
; %bb.5620:                             ;   in Loop: Header=BB6_5473 Depth=4
	s_or_b64 exec, exec, s[30:31]
.LBB6_5621:                             ;   in Loop: Header=BB6_5473 Depth=4
	s_or_b64 exec, exec, s[28:29]
	v_lshrrev_b16_e32 v0, 8, v32
	v_cmp_ne_u16_e32 vcc, 0, v0
	v_mov_b32_e32 v1, 0
	s_and_saveexec_b64 s[28:29], vcc
	s_cbranch_execz .LBB6_5629
; %bb.5622:                             ;   in Loop: Header=BB6_5473 Depth=4
	v_cmp_ne_u16_e32 vcc, s97, v0
	v_bfrev_b32_e32 v1, 1
	s_and_saveexec_b64 s[30:31], vcc
	s_cbranch_execz .LBB6_5628
; %bb.5623:                             ;   in Loop: Header=BB6_5473 Depth=4
	v_and_b32_e32 v1, 0x7c, v0
	v_and_b32_e32 v2, 3, v0
	v_cmp_ne_u32_e32 vcc, s86, v1
                                        ; implicit-def: $vgpr1
	s_and_saveexec_b64 s[62:63], vcc
	s_xor_b64 s[34:35], exec, s[62:63]
	s_cbranch_execz .LBB6_5625
; %bb.5624:                             ;   in Loop: Header=BB6_5473 Depth=4
	v_ffbh_u32_e32 v6, v2
	v_min_u32_e32 v6, 32, v6
	v_mov_b32_e32 v1, v33
	v_subrev_u32_e32 v7, 29, v6
	v_bfe_u32 v5, v0, 2, 5
	v_lshlrev_b64 v[0:1], v7, v[0:1]
	v_cmp_eq_u32_e32 vcc, 0, v5
	v_and_b32_e32 v0, 3, v0
	v_sub_u32_e32 v1, 30, v6
	v_cndmask_b32_e32 v0, v2, v0, vcc
	v_lshlrev_b32_e32 v2, 16, v32
	v_cndmask_b32_e32 v1, v5, v1, vcc
	v_and_b32_e32 v2, 0x80000000, v2
	v_lshl_add_u32 v1, v1, 23, v2
	v_lshl_or_b32 v0, v0, 21, v1
	v_add_u32_e32 v1, 0x38000000, v0
                                        ; implicit-def: $vgpr2
.LBB6_5625:                             ;   in Loop: Header=BB6_5473 Depth=4
	s_andn2_saveexec_b64 s[34:35], s[34:35]
; %bb.5626:                             ;   in Loop: Header=BB6_5473 Depth=4
	v_cmp_lt_i16_e32 vcc, -1, v32
	v_mov_b32_e32 v0, 0xff800000
	v_mov_b32_e32 v1, 0x7f800000
	v_cndmask_b32_e32 v0, v0, v1, vcc
	v_cmp_eq_u32_e32 vcc, 0, v2
	v_mov_b32_e32 v1, 0x7f800001
	v_cndmask_b32_e32 v1, v1, v0, vcc
; %bb.5627:                             ;   in Loop: Header=BB6_5473 Depth=4
	s_or_b64 exec, exec, s[34:35]
.LBB6_5628:                             ;   in Loop: Header=BB6_5473 Depth=4
	s_or_b64 exec, exec, s[30:31]
.LBB6_5629:                             ;   in Loop: Header=BB6_5473 Depth=4
	s_or_b64 exec, exec, s[28:29]
	v_mul_f32_e32 v0, v12, v1
	v_and_b32_e32 v1, 0x7f800000, v0
	v_mov_b32_e32 v2, v33
	v_cmp_ne_u64_e32 vcc, s[76:77], v[1:2]
	v_and_b32_e32 v32, 0x7fffff, v0
                                        ; implicit-def: $vgpr38
	s_and_saveexec_b64 s[28:29], vcc
	s_xor_b64 s[30:31], exec, s[28:29]
	s_cbranch_execz .LBB6_5643
; %bb.5630:                             ;   in Loop: Header=BB6_5473 Depth=4
	v_and_b32_e32 v1, 0x7fffffff, v0
	v_mov_b32_e32 v2, v33
	v_cmp_gt_u64_e32 vcc, s[78:79], v[1:2]
	v_and_b32_sdwa v5, v0, s97 dst_sel:DWORD dst_unused:UNUSED_PAD src0_sel:BYTE_3 src1_sel:DWORD
                                        ; implicit-def: $vgpr38
	s_and_saveexec_b64 s[28:29], vcc
	s_xor_b64 s[34:35], exec, s[28:29]
	s_cbranch_execz .LBB6_5640
; %bb.5631:                             ;   in Loop: Header=BB6_5473 Depth=4
	v_mov_b32_e32 v38, 0
	v_cmp_ne_u32_e32 vcc, 0, v0
	s_and_saveexec_b64 s[36:37], vcc
	s_cbranch_execz .LBB6_5639
; %bb.5632:                             ;   in Loop: Header=BB6_5473 Depth=4
	v_bfe_u32 v6, v0, 23, 8
	v_cmp_gt_u32_e64 s[28:29], s47, v6
	v_sub_u32_e32 v0, 0x71, v6
	v_cmp_eq_u32_e32 vcc, 0, v6
	v_cndmask_b32_e64 v0, 0, v0, s[28:29]
	v_mov_b32_e32 v2, 0x70
	v_cndmask_b32_e32 v7, v0, v2, vcc
	v_add_u32_e32 v2, 21, v7
	v_or_b32_e32 v1, 0x800000, v32
	v_lshlrev_b64 v[13:14], v2, -1
	v_cndmask_b32_e32 v0, v1, v32, vcc
	v_mov_b32_e32 v1, v33
	v_add_u32_e32 v2, 20, v7
	v_bfi_b32 v13, v13, 0, v0
	v_lshlrev_b64 v[15:16], v2, 1
	v_lshrrev_b64 v[0:1], v7, v[0:1]
	v_bfi_b32 v14, v14, 0, 0
	v_cmp_eq_u64_e64 s[28:29], v[13:14], v[15:16]
	v_mov_b32_e32 v2, v1
	v_mov_b32_e32 v1, v0
	s_and_saveexec_b64 s[38:39], s[28:29]
; %bb.5633:                             ;   in Loop: Header=BB6_5473 Depth=4
	v_bfe_u32 v1, v0, 21, 1
	v_add_co_u32_e64 v1, s[28:29], v0, v1
	v_add_co_u32_e64 v1, s[28:29], -1, v1
; %bb.5634:                             ;   in Loop: Header=BB6_5473 Depth=4
	s_or_b64 exec, exec, s[38:39]
	v_add_u32_e32 v2, 0xffffff81, v6
	v_mov_b32_e32 v6, 0xffffff82
	v_cndmask_b32_e32 v2, v2, v6, vcc
	v_lshrrev_b32_e32 v6, 23, v0
	v_add3_u32 v7, v7, v2, v6
	v_add_u32_e32 v6, 14, v7
	v_and_b32_e32 v1, 0x1fffff, v1
	v_add_u32_e32 v32, v1, v0
	v_cmp_ne_u32_e32 vcc, 0, v6
                                        ; implicit-def: $vgpr0_vgpr1
                                        ; implicit-def: $vgpr2
	s_and_saveexec_b64 s[28:29], vcc
	s_xor_b64 s[28:29], exec, s[28:29]
; %bb.5635:                             ;   in Loop: Header=BB6_5473 Depth=4
	v_cmp_lt_u64_e32 vcc, s[88:89], v[32:33]
	v_add_u32_e32 v0, 15, v7
	v_cndmask_b32_e32 v2, v6, v0, vcc
	v_cndmask_b32_e64 v0, 0, 1, vcc
	v_lshrrev_b64 v[0:1], v0, v[32:33]
; %bb.5636:                             ;   in Loop: Header=BB6_5473 Depth=4
	s_andn2_saveexec_b64 s[28:29], s[28:29]
; %bb.5637:                             ;   in Loop: Header=BB6_5473 Depth=4
	v_mov_b32_e32 v0, v32
	v_mov_b32_e32 v1, v33
	v_bfe_u32 v2, v32, 23, 1
; %bb.5638:                             ;   in Loop: Header=BB6_5473 Depth=4
	s_or_b64 exec, exec, s[28:29]
	v_lshrrev_b64 v[0:1], 21, v[0:1]
	v_cmp_gt_i32_e32 vcc, 32, v2
	v_cndmask_b32_e32 v1, 0, v1, vcc
	v_cndmask_b32_e32 v0, 3, v0, vcc
	v_cmp_eq_u64_e64 s[28:29], 0, v[0:1]
	v_min_i32_e32 v1, 31, v2
	v_lshlrev_b32_e32 v1, 2, v1
	v_cmp_eq_u32_e32 vcc, 0, v2
	v_and_b32_e32 v1, 0xfc, v1
	v_and_or_b32 v0, v0, 3, v1
	s_and_b64 s[28:29], vcc, s[28:29]
	v_cndmask_b32_e64 v0, v0, 0, s[28:29]
	v_or_b32_e32 v38, v0, v5
.LBB6_5639:                             ;   in Loop: Header=BB6_5473 Depth=4
	s_or_b64 exec, exec, s[36:37]
                                        ; implicit-def: $vgpr5
.LBB6_5640:                             ;   in Loop: Header=BB6_5473 Depth=4
	s_andn2_saveexec_b64 s[28:29], s[34:35]
; %bb.5641:                             ;   in Loop: Header=BB6_5473 Depth=4
	v_or_b32_e32 v38, 0x7b, v5
; %bb.5642:                             ;   in Loop: Header=BB6_5473 Depth=4
	s_or_b64 exec, exec, s[28:29]
                                        ; implicit-def: $vgpr0
.LBB6_5643:                             ;   in Loop: Header=BB6_5473 Depth=4
	s_andn2_saveexec_b64 s[28:29], s[30:31]
	s_cbranch_execz .LBB6_5649
; %bb.5644:                             ;   in Loop: Header=BB6_5473 Depth=4
	v_cmp_ne_u64_e32 vcc, 0, v[32:33]
                                        ; implicit-def: $vgpr38
	s_and_saveexec_b64 s[62:63], vcc
	s_xor_b64 vcc, exec, s[62:63]
; %bb.5645:                             ;   in Loop: Header=BB6_5473 Depth=4
	v_or_b32_sdwa v38, v0, s44 dst_sel:DWORD dst_unused:UNUSED_PAD src0_sel:BYTE_3 src1_sel:DWORD
                                        ; implicit-def: $vgpr0
; %bb.5646:                             ;   in Loop: Header=BB6_5473 Depth=4
	s_andn2_saveexec_b64 s[30:31], vcc
; %bb.5647:                             ;   in Loop: Header=BB6_5473 Depth=4
	v_cmp_lt_i32_e32 vcc, -1, v0
	v_bfrev_b32_e32 v0, 0.5
	v_mov_b32_e32 v1, 0x7c
	v_cndmask_b32_e32 v38, v0, v1, vcc
; %bb.5648:                             ;   in Loop: Header=BB6_5473 Depth=4
	s_or_b64 exec, exec, s[30:31]
.LBB6_5649:                             ;   in Loop: Header=BB6_5473 Depth=4
	s_or_b64 exec, exec, s[28:29]
	v_lshrrev_b32_e32 v0, 16, v9
	v_cmp_ne_u16_sdwa s[62:63], v0, v33 src0_sel:BYTE_0 src1_sel:DWORD
	v_mov_b32_e32 v1, 0
	s_and_saveexec_b64 s[28:29], s[62:63]
	s_cbranch_execz .LBB6_5657
; %bb.5650:                             ;   in Loop: Header=BB6_5473 Depth=4
	v_cmp_ne_u16_sdwa s[62:63], v0, s97 src0_sel:BYTE_0 src1_sel:DWORD
	v_bfrev_b32_e32 v1, 1
	s_and_saveexec_b64 s[30:31], s[62:63]
	s_cbranch_execz .LBB6_5656
; %bb.5651:                             ;   in Loop: Header=BB6_5473 Depth=4
	v_and_b32_e32 v1, 0x7c0000, v9
	v_bfe_u32 v2, v9, 16, 2
	v_cmp_ne_u32_e32 vcc, s45, v1
                                        ; implicit-def: $vgpr1
	s_and_saveexec_b64 s[62:63], vcc
	s_xor_b64 s[34:35], exec, s[62:63]
	s_cbranch_execz .LBB6_5653
; %bb.5652:                             ;   in Loop: Header=BB6_5473 Depth=4
	v_ffbh_u32_e32 v1, v2
	v_min_u32_e32 v6, 32, v1
	v_subrev_u32_e32 v1, 29, v6
	v_lshlrev_b64 v[0:1], v1, v[0:1]
	v_bfe_u32 v5, v9, 18, 5
	v_and_b32_e32 v0, 3, v0
	v_cmp_eq_u32_e32 vcc, 0, v5
	v_sub_u32_e32 v1, 30, v6
	v_cndmask_b32_e32 v0, v2, v0, vcc
	v_lshlrev_b32_e32 v2, 8, v9
	v_cndmask_b32_e32 v1, v5, v1, vcc
	v_and_b32_e32 v2, 0x80000000, v2
	v_lshl_add_u32 v1, v1, 23, v2
	v_lshl_or_b32 v0, v0, 21, v1
	v_add_u32_e32 v1, 0x38000000, v0
                                        ; implicit-def: $vgpr2
                                        ; implicit-def: $vgpr0
.LBB6_5653:                             ;   in Loop: Header=BB6_5473 Depth=4
	s_andn2_saveexec_b64 s[34:35], s[34:35]
; %bb.5654:                             ;   in Loop: Header=BB6_5473 Depth=4
	v_mov_b32_e32 v1, -1
	v_cmp_gt_i16_sdwa vcc, sext(v0), v1 src0_sel:BYTE_0 src1_sel:DWORD
	v_mov_b32_e32 v0, 0xff800000
	v_mov_b32_e32 v1, 0x7f800000
	v_cndmask_b32_e32 v0, v0, v1, vcc
	v_cmp_eq_u32_e32 vcc, 0, v2
	v_mov_b32_e32 v1, 0x7f800001
	v_cndmask_b32_e32 v1, v1, v0, vcc
; %bb.5655:                             ;   in Loop: Header=BB6_5473 Depth=4
	s_or_b64 exec, exec, s[34:35]
.LBB6_5656:                             ;   in Loop: Header=BB6_5473 Depth=4
	s_or_b64 exec, exec, s[30:31]
.LBB6_5657:                             ;   in Loop: Header=BB6_5473 Depth=4
	s_or_b64 exec, exec, s[28:29]
	v_mul_f32_e32 v0, v12, v1
	v_and_b32_e32 v1, 0x7f800000, v0
	v_mov_b32_e32 v2, v33
	v_cmp_ne_u64_e32 vcc, s[76:77], v[1:2]
	v_and_b32_e32 v32, 0x7fffff, v0
                                        ; implicit-def: $vgpr49
	s_and_saveexec_b64 s[28:29], vcc
	s_xor_b64 s[30:31], exec, s[28:29]
	s_cbranch_execz .LBB6_5671
; %bb.5658:                             ;   in Loop: Header=BB6_5473 Depth=4
	v_and_b32_e32 v1, 0x7fffffff, v0
	v_mov_b32_e32 v2, v33
	v_cmp_gt_u64_e32 vcc, s[78:79], v[1:2]
	v_and_b32_sdwa v5, v0, s97 dst_sel:DWORD dst_unused:UNUSED_PAD src0_sel:BYTE_3 src1_sel:DWORD
                                        ; implicit-def: $vgpr49
	s_and_saveexec_b64 s[28:29], vcc
	s_xor_b64 s[34:35], exec, s[28:29]
	s_cbranch_execz .LBB6_5668
; %bb.5659:                             ;   in Loop: Header=BB6_5473 Depth=4
	v_mov_b32_e32 v49, 0
	v_cmp_ne_u32_e32 vcc, 0, v0
	s_and_saveexec_b64 s[36:37], vcc
	s_cbranch_execz .LBB6_5667
; %bb.5660:                             ;   in Loop: Header=BB6_5473 Depth=4
	v_bfe_u32 v6, v0, 23, 8
	v_cmp_gt_u32_e64 s[28:29], s47, v6
	v_sub_u32_e32 v0, 0x71, v6
	v_cmp_eq_u32_e32 vcc, 0, v6
	v_cndmask_b32_e64 v0, 0, v0, s[28:29]
	v_mov_b32_e32 v2, 0x70
	v_cndmask_b32_e32 v7, v0, v2, vcc
	v_add_u32_e32 v2, 21, v7
	v_or_b32_e32 v1, 0x800000, v32
	v_lshlrev_b64 v[13:14], v2, -1
	v_cndmask_b32_e32 v0, v1, v32, vcc
	v_mov_b32_e32 v1, v33
	v_add_u32_e32 v2, 20, v7
	v_bfi_b32 v13, v13, 0, v0
	v_lshlrev_b64 v[15:16], v2, 1
	v_lshrrev_b64 v[0:1], v7, v[0:1]
	v_bfi_b32 v14, v14, 0, 0
	v_cmp_eq_u64_e64 s[28:29], v[13:14], v[15:16]
	v_mov_b32_e32 v2, v1
	v_mov_b32_e32 v1, v0
	s_and_saveexec_b64 s[38:39], s[28:29]
; %bb.5661:                             ;   in Loop: Header=BB6_5473 Depth=4
	v_bfe_u32 v1, v0, 21, 1
	v_add_co_u32_e64 v1, s[28:29], v0, v1
	v_add_co_u32_e64 v1, s[28:29], -1, v1
; %bb.5662:                             ;   in Loop: Header=BB6_5473 Depth=4
	s_or_b64 exec, exec, s[38:39]
	v_add_u32_e32 v2, 0xffffff81, v6
	v_mov_b32_e32 v6, 0xffffff82
	v_cndmask_b32_e32 v2, v2, v6, vcc
	v_lshrrev_b32_e32 v6, 23, v0
	v_add3_u32 v7, v7, v2, v6
	v_add_u32_e32 v6, 14, v7
	v_and_b32_e32 v1, 0x1fffff, v1
	v_add_u32_e32 v32, v1, v0
	v_cmp_ne_u32_e32 vcc, 0, v6
                                        ; implicit-def: $vgpr0_vgpr1
                                        ; implicit-def: $vgpr2
	s_and_saveexec_b64 s[28:29], vcc
	s_xor_b64 s[28:29], exec, s[28:29]
; %bb.5663:                             ;   in Loop: Header=BB6_5473 Depth=4
	v_cmp_lt_u64_e32 vcc, s[88:89], v[32:33]
	v_add_u32_e32 v0, 15, v7
	v_cndmask_b32_e32 v2, v6, v0, vcc
	v_cndmask_b32_e64 v0, 0, 1, vcc
	v_lshrrev_b64 v[0:1], v0, v[32:33]
; %bb.5664:                             ;   in Loop: Header=BB6_5473 Depth=4
	s_andn2_saveexec_b64 s[28:29], s[28:29]
; %bb.5665:                             ;   in Loop: Header=BB6_5473 Depth=4
	v_mov_b32_e32 v0, v32
	v_mov_b32_e32 v1, v33
	v_bfe_u32 v2, v32, 23, 1
; %bb.5666:                             ;   in Loop: Header=BB6_5473 Depth=4
	s_or_b64 exec, exec, s[28:29]
	v_lshrrev_b64 v[0:1], 21, v[0:1]
	v_cmp_gt_i32_e32 vcc, 32, v2
	v_cndmask_b32_e32 v1, 0, v1, vcc
	v_cndmask_b32_e32 v0, 3, v0, vcc
	v_cmp_eq_u64_e64 s[28:29], 0, v[0:1]
	v_min_i32_e32 v1, 31, v2
	v_lshlrev_b32_e32 v1, 2, v1
	v_cmp_eq_u32_e32 vcc, 0, v2
	v_and_b32_e32 v1, 0xfc, v1
	v_and_or_b32 v0, v0, 3, v1
	s_and_b64 s[28:29], vcc, s[28:29]
	v_cndmask_b32_e64 v0, v0, 0, s[28:29]
	v_or_b32_e32 v49, v0, v5
.LBB6_5667:                             ;   in Loop: Header=BB6_5473 Depth=4
	s_or_b64 exec, exec, s[36:37]
                                        ; implicit-def: $vgpr5
.LBB6_5668:                             ;   in Loop: Header=BB6_5473 Depth=4
	s_andn2_saveexec_b64 s[28:29], s[34:35]
; %bb.5669:                             ;   in Loop: Header=BB6_5473 Depth=4
	v_or_b32_e32 v49, 0x7b, v5
; %bb.5670:                             ;   in Loop: Header=BB6_5473 Depth=4
	s_or_b64 exec, exec, s[28:29]
                                        ; implicit-def: $vgpr0
.LBB6_5671:                             ;   in Loop: Header=BB6_5473 Depth=4
	s_andn2_saveexec_b64 s[28:29], s[30:31]
	s_cbranch_execz .LBB6_5677
; %bb.5672:                             ;   in Loop: Header=BB6_5473 Depth=4
	v_cmp_ne_u64_e32 vcc, 0, v[32:33]
                                        ; implicit-def: $vgpr49
	s_and_saveexec_b64 s[62:63], vcc
	s_xor_b64 vcc, exec, s[62:63]
; %bb.5673:                             ;   in Loop: Header=BB6_5473 Depth=4
	v_or_b32_sdwa v49, v0, s44 dst_sel:DWORD dst_unused:UNUSED_PAD src0_sel:BYTE_3 src1_sel:DWORD
                                        ; implicit-def: $vgpr0
; %bb.5674:                             ;   in Loop: Header=BB6_5473 Depth=4
	s_andn2_saveexec_b64 s[30:31], vcc
; %bb.5675:                             ;   in Loop: Header=BB6_5473 Depth=4
	v_cmp_lt_i32_e32 vcc, -1, v0
	v_bfrev_b32_e32 v0, 0.5
	v_mov_b32_e32 v1, 0x7c
	v_cndmask_b32_e32 v49, v0, v1, vcc
; %bb.5676:                             ;   in Loop: Header=BB6_5473 Depth=4
	s_or_b64 exec, exec, s[30:31]
.LBB6_5677:                             ;   in Loop: Header=BB6_5473 Depth=4
	s_or_b64 exec, exec, s[28:29]
	v_cmp_lt_u64_e32 vcc, s[56:57], v[8:9]
	v_mov_b32_e32 v1, 0
	s_and_saveexec_b64 s[28:29], vcc
	s_cbranch_execz .LBB6_5685
; %bb.5678:                             ;   in Loop: Header=BB6_5473 Depth=4
	v_lshrrev_b32_e32 v0, 24, v9
	v_cmp_ne_u32_e32 vcc, s97, v0
	v_bfrev_b32_e32 v1, 1
	s_and_saveexec_b64 s[30:31], vcc
	s_cbranch_execz .LBB6_5684
; %bb.5679:                             ;   in Loop: Header=BB6_5473 Depth=4
	v_and_b32_e32 v1, 0x7c000000, v9
	v_bfe_u32 v2, v9, 24, 2
	v_cmp_ne_u32_e32 vcc, s68, v1
                                        ; implicit-def: $vgpr1
	s_and_saveexec_b64 s[62:63], vcc
	s_xor_b64 s[34:35], exec, s[62:63]
	s_cbranch_execz .LBB6_5681
; %bb.5680:                             ;   in Loop: Header=BB6_5473 Depth=4
	v_ffbh_u32_e32 v1, v2
	v_min_u32_e32 v6, 32, v1
	v_subrev_u32_e32 v1, 29, v6
	v_lshlrev_b64 v[0:1], v1, v[0:1]
	v_bfe_u32 v5, v9, 26, 5
	v_sub_u32_e32 v1, 30, v6
	v_and_b32_e32 v0, 3, v0
	v_cmp_eq_u32_e32 vcc, 0, v5
	v_cndmask_b32_e32 v1, v5, v1, vcc
	v_cndmask_b32_e32 v0, v2, v0, vcc
	v_and_b32_e32 v2, 0x80000000, v9
	v_lshl_add_u32 v1, v1, 23, v2
	v_lshl_or_b32 v0, v0, 21, v1
	v_add_u32_e32 v1, 0x38000000, v0
                                        ; implicit-def: $vgpr2
.LBB6_5681:                             ;   in Loop: Header=BB6_5473 Depth=4
	s_andn2_saveexec_b64 s[34:35], s[34:35]
; %bb.5682:                             ;   in Loop: Header=BB6_5473 Depth=4
	v_cmp_lt_i64_e32 vcc, -1, v[8:9]
	v_mov_b32_e32 v0, 0xff800000
	v_mov_b32_e32 v1, 0x7f800000
	v_cndmask_b32_e32 v0, v0, v1, vcc
	v_cmp_eq_u32_e32 vcc, 0, v2
	v_mov_b32_e32 v1, 0x7f800001
	v_cndmask_b32_e32 v1, v1, v0, vcc
; %bb.5683:                             ;   in Loop: Header=BB6_5473 Depth=4
	s_or_b64 exec, exec, s[34:35]
.LBB6_5684:                             ;   in Loop: Header=BB6_5473 Depth=4
	s_or_b64 exec, exec, s[30:31]
.LBB6_5685:                             ;   in Loop: Header=BB6_5473 Depth=4
	s_or_b64 exec, exec, s[28:29]
	v_mul_f32_e32 v0, v12, v1
	v_and_b32_e32 v1, 0x7f800000, v0
	v_mov_b32_e32 v2, v33
	v_cmp_ne_u64_e32 vcc, s[76:77], v[1:2]
	v_and_b32_e32 v32, 0x7fffff, v0
                                        ; implicit-def: $vgpr54
	s_and_saveexec_b64 s[28:29], vcc
	s_xor_b64 s[30:31], exec, s[28:29]
	s_cbranch_execz .LBB6_5699
; %bb.5686:                             ;   in Loop: Header=BB6_5473 Depth=4
	v_and_b32_e32 v1, 0x7fffffff, v0
	v_mov_b32_e32 v2, v33
	v_cmp_gt_u64_e32 vcc, s[78:79], v[1:2]
	v_and_b32_sdwa v5, v0, s97 dst_sel:DWORD dst_unused:UNUSED_PAD src0_sel:BYTE_3 src1_sel:DWORD
                                        ; implicit-def: $vgpr54
	s_and_saveexec_b64 s[28:29], vcc
	s_xor_b64 s[34:35], exec, s[28:29]
	s_cbranch_execz .LBB6_5696
; %bb.5687:                             ;   in Loop: Header=BB6_5473 Depth=4
	v_mov_b32_e32 v54, 0
	v_cmp_ne_u32_e32 vcc, 0, v0
	s_and_saveexec_b64 s[36:37], vcc
	s_cbranch_execz .LBB6_5695
; %bb.5688:                             ;   in Loop: Header=BB6_5473 Depth=4
	v_bfe_u32 v6, v0, 23, 8
	v_cmp_gt_u32_e64 s[28:29], s47, v6
	v_sub_u32_e32 v0, 0x71, v6
	v_cmp_eq_u32_e32 vcc, 0, v6
	v_cndmask_b32_e64 v0, 0, v0, s[28:29]
	v_mov_b32_e32 v2, 0x70
	v_cndmask_b32_e32 v7, v0, v2, vcc
	v_add_u32_e32 v2, 21, v7
	v_or_b32_e32 v1, 0x800000, v32
	v_lshlrev_b64 v[8:9], v2, -1
	v_cndmask_b32_e32 v0, v1, v32, vcc
	v_mov_b32_e32 v1, v33
	v_add_u32_e32 v2, 20, v7
	v_bfi_b32 v8, v8, 0, v0
	v_lshlrev_b64 v[13:14], v2, 1
	v_lshrrev_b64 v[0:1], v7, v[0:1]
	v_bfi_b32 v9, v9, 0, 0
	v_cmp_eq_u64_e64 s[28:29], v[8:9], v[13:14]
	v_mov_b32_e32 v2, v1
	v_mov_b32_e32 v1, v0
	s_and_saveexec_b64 s[38:39], s[28:29]
; %bb.5689:                             ;   in Loop: Header=BB6_5473 Depth=4
	v_bfe_u32 v1, v0, 21, 1
	v_add_co_u32_e64 v1, s[28:29], v0, v1
	v_add_co_u32_e64 v1, s[28:29], -1, v1
; %bb.5690:                             ;   in Loop: Header=BB6_5473 Depth=4
	s_or_b64 exec, exec, s[38:39]
	v_add_u32_e32 v2, 0xffffff81, v6
	v_mov_b32_e32 v6, 0xffffff82
	v_cndmask_b32_e32 v2, v2, v6, vcc
	v_lshrrev_b32_e32 v6, 23, v0
	v_add3_u32 v7, v7, v2, v6
	v_add_u32_e32 v6, 14, v7
	v_and_b32_e32 v1, 0x1fffff, v1
	v_add_u32_e32 v32, v1, v0
	v_cmp_ne_u32_e32 vcc, 0, v6
                                        ; implicit-def: $vgpr0_vgpr1
                                        ; implicit-def: $vgpr2
	s_and_saveexec_b64 s[28:29], vcc
	s_xor_b64 s[28:29], exec, s[28:29]
; %bb.5691:                             ;   in Loop: Header=BB6_5473 Depth=4
	v_cmp_lt_u64_e32 vcc, s[88:89], v[32:33]
	v_add_u32_e32 v0, 15, v7
	v_cndmask_b32_e32 v2, v6, v0, vcc
	v_cndmask_b32_e64 v0, 0, 1, vcc
	v_lshrrev_b64 v[0:1], v0, v[32:33]
; %bb.5692:                             ;   in Loop: Header=BB6_5473 Depth=4
	s_andn2_saveexec_b64 s[28:29], s[28:29]
; %bb.5693:                             ;   in Loop: Header=BB6_5473 Depth=4
	v_mov_b32_e32 v0, v32
	v_mov_b32_e32 v1, v33
	v_bfe_u32 v2, v32, 23, 1
; %bb.5694:                             ;   in Loop: Header=BB6_5473 Depth=4
	s_or_b64 exec, exec, s[28:29]
	v_lshrrev_b64 v[0:1], 21, v[0:1]
	v_cmp_gt_i32_e32 vcc, 32, v2
	v_cndmask_b32_e32 v1, 0, v1, vcc
	v_cndmask_b32_e32 v0, 3, v0, vcc
	v_cmp_eq_u64_e64 s[28:29], 0, v[0:1]
	v_min_i32_e32 v1, 31, v2
	v_lshlrev_b32_e32 v1, 2, v1
	v_cmp_eq_u32_e32 vcc, 0, v2
	v_and_b32_e32 v1, 0xfc, v1
	v_and_or_b32 v0, v0, 3, v1
	s_and_b64 s[28:29], vcc, s[28:29]
	v_cndmask_b32_e64 v0, v0, 0, s[28:29]
	v_or_b32_e32 v54, v0, v5
.LBB6_5695:                             ;   in Loop: Header=BB6_5473 Depth=4
	s_or_b64 exec, exec, s[36:37]
                                        ; implicit-def: $vgpr5
.LBB6_5696:                             ;   in Loop: Header=BB6_5473 Depth=4
	s_andn2_saveexec_b64 s[28:29], s[34:35]
; %bb.5697:                             ;   in Loop: Header=BB6_5473 Depth=4
	v_or_b32_e32 v54, 0x7b, v5
; %bb.5698:                             ;   in Loop: Header=BB6_5473 Depth=4
	s_or_b64 exec, exec, s[28:29]
                                        ; implicit-def: $vgpr0
.LBB6_5699:                             ;   in Loop: Header=BB6_5473 Depth=4
	s_andn2_saveexec_b64 s[28:29], s[30:31]
	s_cbranch_execz .LBB6_5705
; %bb.5700:                             ;   in Loop: Header=BB6_5473 Depth=4
	v_cmp_ne_u64_e32 vcc, 0, v[32:33]
                                        ; implicit-def: $vgpr54
	s_and_saveexec_b64 s[62:63], vcc
	s_xor_b64 vcc, exec, s[62:63]
; %bb.5701:                             ;   in Loop: Header=BB6_5473 Depth=4
	v_or_b32_sdwa v54, v0, s44 dst_sel:DWORD dst_unused:UNUSED_PAD src0_sel:BYTE_3 src1_sel:DWORD
                                        ; implicit-def: $vgpr0
; %bb.5702:                             ;   in Loop: Header=BB6_5473 Depth=4
	s_andn2_saveexec_b64 s[30:31], vcc
; %bb.5703:                             ;   in Loop: Header=BB6_5473 Depth=4
	v_cmp_lt_i32_e32 vcc, -1, v0
	v_bfrev_b32_e32 v0, 0.5
	v_mov_b32_e32 v1, 0x7c
	v_cndmask_b32_e32 v54, v0, v1, vcc
; %bb.5704:                             ;   in Loop: Header=BB6_5473 Depth=4
	s_or_b64 exec, exec, s[30:31]
.LBB6_5705:                             ;   in Loop: Header=BB6_5473 Depth=4
	s_or_b64 exec, exec, s[28:29]
	v_cmp_ne_u16_sdwa s[62:63], v10, v33 src0_sel:BYTE_0 src1_sel:DWORD
	v_mov_b32_e32 v0, 0
	s_and_saveexec_b64 s[28:29], s[62:63]
	s_cbranch_execz .LBB6_5713
; %bb.5706:                             ;   in Loop: Header=BB6_5473 Depth=4
	v_cmp_ne_u16_sdwa s[62:63], sext(v10), s46 src0_sel:BYTE_0 src1_sel:DWORD
	v_bfrev_b32_e32 v0, 1
	s_and_saveexec_b64 s[30:31], s[62:63]
	s_cbranch_execz .LBB6_5712
; %bb.5707:                             ;   in Loop: Header=BB6_5473 Depth=4
	v_and_b32_e32 v0, 0x7c, v10
	v_and_b32_e32 v1, 3, v10
	v_cmp_ne_u32_e32 vcc, s86, v0
                                        ; implicit-def: $vgpr0
	s_and_saveexec_b64 s[62:63], vcc
	s_xor_b64 s[34:35], exec, s[62:63]
	s_cbranch_execz .LBB6_5709
; %bb.5708:                             ;   in Loop: Header=BB6_5473 Depth=4
	v_ffbh_u32_e32 v2, v1
	v_min_u32_e32 v2, 32, v2
	v_bfe_u32 v0, v10, 2, 5
	v_subrev_u32_e32 v5, 29, v2
	v_lshlrev_b64 v[5:6], v5, v[10:11]
	v_sub_u32_e32 v2, 30, v2
	v_cmp_eq_u32_e32 vcc, 0, v0
	v_cndmask_b32_e32 v0, v0, v2, vcc
	v_lshlrev_b32_e32 v2, 24, v10
	v_and_b32_e32 v5, 3, v5
	v_and_b32_e32 v2, 0x80000000, v2
	v_cndmask_b32_e32 v1, v1, v5, vcc
	v_lshl_add_u32 v0, v0, 23, v2
	v_lshl_or_b32 v0, v1, 21, v0
	v_add_u32_e32 v0, 0x38000000, v0
                                        ; implicit-def: $vgpr1
.LBB6_5709:                             ;   in Loop: Header=BB6_5473 Depth=4
	s_andn2_saveexec_b64 s[34:35], s[34:35]
; %bb.5710:                             ;   in Loop: Header=BB6_5473 Depth=4
	v_mov_b32_e32 v0, -1
	v_cmp_gt_i16_sdwa vcc, sext(v10), v0 src0_sel:BYTE_0 src1_sel:DWORD
	v_mov_b32_e32 v0, 0xff800000
	v_mov_b32_e32 v2, 0x7f800000
	v_cndmask_b32_e32 v0, v0, v2, vcc
	v_cmp_eq_u32_e32 vcc, 0, v1
	v_mov_b32_e32 v1, 0x7f800001
	v_cndmask_b32_e32 v0, v1, v0, vcc
; %bb.5711:                             ;   in Loop: Header=BB6_5473 Depth=4
	s_or_b64 exec, exec, s[34:35]
.LBB6_5712:                             ;   in Loop: Header=BB6_5473 Depth=4
	s_or_b64 exec, exec, s[30:31]
.LBB6_5713:                             ;   in Loop: Header=BB6_5473 Depth=4
	s_or_b64 exec, exec, s[28:29]
	v_mul_f32_e32 v0, v12, v0
	v_and_b32_e32 v1, 0x7f800000, v0
	v_mov_b32_e32 v2, v33
	v_cmp_ne_u64_e32 vcc, s[76:77], v[1:2]
	v_and_b32_e32 v32, 0x7fffff, v0
                                        ; implicit-def: $vgpr52
	s_and_saveexec_b64 s[28:29], vcc
	s_xor_b64 s[30:31], exec, s[28:29]
	s_cbranch_execz .LBB6_5727
; %bb.5714:                             ;   in Loop: Header=BB6_5473 Depth=4
	v_and_b32_e32 v1, 0x7fffffff, v0
	v_mov_b32_e32 v2, v33
	v_cmp_gt_u64_e32 vcc, s[78:79], v[1:2]
	v_and_b32_sdwa v5, v0, s97 dst_sel:DWORD dst_unused:UNUSED_PAD src0_sel:BYTE_3 src1_sel:DWORD
                                        ; implicit-def: $vgpr52
	s_and_saveexec_b64 s[28:29], vcc
	s_xor_b64 s[34:35], exec, s[28:29]
	s_cbranch_execz .LBB6_5724
; %bb.5715:                             ;   in Loop: Header=BB6_5473 Depth=4
	v_mov_b32_e32 v52, 0
	v_cmp_ne_u32_e32 vcc, 0, v0
	s_and_saveexec_b64 s[36:37], vcc
	s_cbranch_execz .LBB6_5723
; %bb.5716:                             ;   in Loop: Header=BB6_5473 Depth=4
	v_bfe_u32 v6, v0, 23, 8
	v_cmp_gt_u32_e64 s[28:29], s47, v6
	v_sub_u32_e32 v0, 0x71, v6
	v_cmp_eq_u32_e32 vcc, 0, v6
	v_cndmask_b32_e64 v0, 0, v0, s[28:29]
	v_mov_b32_e32 v2, 0x70
	v_cndmask_b32_e32 v7, v0, v2, vcc
	v_add_u32_e32 v2, 21, v7
	v_or_b32_e32 v1, 0x800000, v32
	v_lshlrev_b64 v[8:9], v2, -1
	v_cndmask_b32_e32 v0, v1, v32, vcc
	v_mov_b32_e32 v1, v33
	v_add_u32_e32 v2, 20, v7
	v_bfi_b32 v8, v8, 0, v0
	v_lshlrev_b64 v[13:14], v2, 1
	v_lshrrev_b64 v[0:1], v7, v[0:1]
	v_bfi_b32 v9, v9, 0, 0
	v_cmp_eq_u64_e64 s[28:29], v[8:9], v[13:14]
	v_mov_b32_e32 v2, v1
	v_mov_b32_e32 v1, v0
	s_and_saveexec_b64 s[38:39], s[28:29]
; %bb.5717:                             ;   in Loop: Header=BB6_5473 Depth=4
	v_bfe_u32 v1, v0, 21, 1
	v_add_co_u32_e64 v1, s[28:29], v0, v1
	v_add_co_u32_e64 v1, s[28:29], -1, v1
; %bb.5718:                             ;   in Loop: Header=BB6_5473 Depth=4
	s_or_b64 exec, exec, s[38:39]
	v_add_u32_e32 v2, 0xffffff81, v6
	v_mov_b32_e32 v6, 0xffffff82
	v_cndmask_b32_e32 v2, v2, v6, vcc
	v_lshrrev_b32_e32 v6, 23, v0
	v_add3_u32 v7, v7, v2, v6
	v_add_u32_e32 v6, 14, v7
	v_and_b32_e32 v1, 0x1fffff, v1
	v_add_u32_e32 v32, v1, v0
	v_cmp_ne_u32_e32 vcc, 0, v6
                                        ; implicit-def: $vgpr0_vgpr1
                                        ; implicit-def: $vgpr2
	s_and_saveexec_b64 s[28:29], vcc
	s_xor_b64 s[28:29], exec, s[28:29]
; %bb.5719:                             ;   in Loop: Header=BB6_5473 Depth=4
	v_cmp_lt_u64_e32 vcc, s[88:89], v[32:33]
	v_add_u32_e32 v0, 15, v7
	v_cndmask_b32_e32 v2, v6, v0, vcc
	v_cndmask_b32_e64 v0, 0, 1, vcc
	v_lshrrev_b64 v[0:1], v0, v[32:33]
; %bb.5720:                             ;   in Loop: Header=BB6_5473 Depth=4
	s_andn2_saveexec_b64 s[28:29], s[28:29]
; %bb.5721:                             ;   in Loop: Header=BB6_5473 Depth=4
	v_mov_b32_e32 v0, v32
	v_mov_b32_e32 v1, v33
	v_bfe_u32 v2, v32, 23, 1
; %bb.5722:                             ;   in Loop: Header=BB6_5473 Depth=4
	s_or_b64 exec, exec, s[28:29]
	v_lshrrev_b64 v[0:1], 21, v[0:1]
	v_cmp_gt_i32_e32 vcc, 32, v2
	v_cndmask_b32_e32 v1, 0, v1, vcc
	v_cndmask_b32_e32 v0, 3, v0, vcc
	v_cmp_eq_u64_e64 s[28:29], 0, v[0:1]
	v_min_i32_e32 v1, 31, v2
	v_lshlrev_b32_e32 v1, 2, v1
	v_cmp_eq_u32_e32 vcc, 0, v2
	v_and_b32_e32 v1, 0xfc, v1
	v_and_or_b32 v0, v0, 3, v1
	s_and_b64 s[28:29], vcc, s[28:29]
	v_cndmask_b32_e64 v0, v0, 0, s[28:29]
	v_or_b32_e32 v52, v0, v5
.LBB6_5723:                             ;   in Loop: Header=BB6_5473 Depth=4
	s_or_b64 exec, exec, s[36:37]
                                        ; implicit-def: $vgpr5
.LBB6_5724:                             ;   in Loop: Header=BB6_5473 Depth=4
	s_andn2_saveexec_b64 s[28:29], s[34:35]
; %bb.5725:                             ;   in Loop: Header=BB6_5473 Depth=4
	v_or_b32_e32 v52, 0x7b, v5
; %bb.5726:                             ;   in Loop: Header=BB6_5473 Depth=4
	s_or_b64 exec, exec, s[28:29]
                                        ; implicit-def: $vgpr0
.LBB6_5727:                             ;   in Loop: Header=BB6_5473 Depth=4
	s_andn2_saveexec_b64 s[28:29], s[30:31]
	s_cbranch_execz .LBB6_5733
; %bb.5728:                             ;   in Loop: Header=BB6_5473 Depth=4
	v_cmp_ne_u64_e32 vcc, 0, v[32:33]
                                        ; implicit-def: $vgpr52
	s_and_saveexec_b64 s[62:63], vcc
	s_xor_b64 vcc, exec, s[62:63]
; %bb.5729:                             ;   in Loop: Header=BB6_5473 Depth=4
	v_or_b32_sdwa v52, v0, s44 dst_sel:DWORD dst_unused:UNUSED_PAD src0_sel:BYTE_3 src1_sel:DWORD
                                        ; implicit-def: $vgpr0
; %bb.5730:                             ;   in Loop: Header=BB6_5473 Depth=4
	s_andn2_saveexec_b64 s[30:31], vcc
; %bb.5731:                             ;   in Loop: Header=BB6_5473 Depth=4
	v_cmp_lt_i32_e32 vcc, -1, v0
	v_bfrev_b32_e32 v0, 0.5
	v_mov_b32_e32 v1, 0x7c
	v_cndmask_b32_e32 v52, v0, v1, vcc
; %bb.5732:                             ;   in Loop: Header=BB6_5473 Depth=4
	s_or_b64 exec, exec, s[30:31]
.LBB6_5733:                             ;   in Loop: Header=BB6_5473 Depth=4
	s_or_b64 exec, exec, s[28:29]
	v_lshrrev_b16_e32 v0, 8, v10
	v_cmp_ne_u16_e32 vcc, 0, v0
	v_mov_b32_e32 v1, 0
	s_and_saveexec_b64 s[28:29], vcc
	s_cbranch_execz .LBB6_5741
; %bb.5734:                             ;   in Loop: Header=BB6_5473 Depth=4
	v_cmp_ne_u16_e32 vcc, s97, v0
	v_bfrev_b32_e32 v1, 1
	s_and_saveexec_b64 s[30:31], vcc
	s_cbranch_execz .LBB6_5740
; %bb.5735:                             ;   in Loop: Header=BB6_5473 Depth=4
	v_and_b32_e32 v1, 0x7c, v0
	v_and_b32_e32 v2, 3, v0
	v_cmp_ne_u32_e32 vcc, s86, v1
                                        ; implicit-def: $vgpr1
	s_and_saveexec_b64 s[62:63], vcc
	s_xor_b64 s[34:35], exec, s[62:63]
	s_cbranch_execz .LBB6_5737
; %bb.5736:                             ;   in Loop: Header=BB6_5473 Depth=4
	v_ffbh_u32_e32 v6, v2
	v_min_u32_e32 v6, 32, v6
	v_mov_b32_e32 v1, v33
	v_subrev_u32_e32 v7, 29, v6
	v_bfe_u32 v5, v0, 2, 5
	v_lshlrev_b64 v[0:1], v7, v[0:1]
	v_cmp_eq_u32_e32 vcc, 0, v5
	v_and_b32_e32 v0, 3, v0
	v_sub_u32_e32 v1, 30, v6
	v_cndmask_b32_e32 v0, v2, v0, vcc
	v_lshlrev_b32_e32 v2, 16, v10
	v_cndmask_b32_e32 v1, v5, v1, vcc
	v_and_b32_e32 v2, 0x80000000, v2
	v_lshl_add_u32 v1, v1, 23, v2
	v_lshl_or_b32 v0, v0, 21, v1
	v_add_u32_e32 v1, 0x38000000, v0
                                        ; implicit-def: $vgpr2
.LBB6_5737:                             ;   in Loop: Header=BB6_5473 Depth=4
	s_andn2_saveexec_b64 s[34:35], s[34:35]
; %bb.5738:                             ;   in Loop: Header=BB6_5473 Depth=4
	v_cmp_lt_i16_e32 vcc, -1, v10
	v_mov_b32_e32 v0, 0xff800000
	v_mov_b32_e32 v1, 0x7f800000
	v_cndmask_b32_e32 v0, v0, v1, vcc
	v_cmp_eq_u32_e32 vcc, 0, v2
	v_mov_b32_e32 v1, 0x7f800001
	v_cndmask_b32_e32 v1, v1, v0, vcc
; %bb.5739:                             ;   in Loop: Header=BB6_5473 Depth=4
	s_or_b64 exec, exec, s[34:35]
.LBB6_5740:                             ;   in Loop: Header=BB6_5473 Depth=4
	s_or_b64 exec, exec, s[30:31]
.LBB6_5741:                             ;   in Loop: Header=BB6_5473 Depth=4
	s_or_b64 exec, exec, s[28:29]
	v_mul_f32_e32 v0, v12, v1
	v_and_b32_e32 v1, 0x7f800000, v0
	v_mov_b32_e32 v2, v33
	v_cmp_ne_u64_e32 vcc, s[76:77], v[1:2]
	v_and_b32_e32 v32, 0x7fffff, v0
                                        ; implicit-def: $vgpr42
	s_and_saveexec_b64 s[28:29], vcc
	s_xor_b64 s[30:31], exec, s[28:29]
	s_cbranch_execz .LBB6_5755
; %bb.5742:                             ;   in Loop: Header=BB6_5473 Depth=4
	v_and_b32_e32 v1, 0x7fffffff, v0
	v_mov_b32_e32 v2, v33
	v_cmp_gt_u64_e32 vcc, s[78:79], v[1:2]
	v_and_b32_sdwa v5, v0, s97 dst_sel:DWORD dst_unused:UNUSED_PAD src0_sel:BYTE_3 src1_sel:DWORD
                                        ; implicit-def: $vgpr42
	s_and_saveexec_b64 s[28:29], vcc
	s_xor_b64 s[34:35], exec, s[28:29]
	s_cbranch_execz .LBB6_5752
; %bb.5743:                             ;   in Loop: Header=BB6_5473 Depth=4
	v_mov_b32_e32 v42, 0
	v_cmp_ne_u32_e32 vcc, 0, v0
	s_and_saveexec_b64 s[36:37], vcc
	s_cbranch_execz .LBB6_5751
; %bb.5744:                             ;   in Loop: Header=BB6_5473 Depth=4
	v_bfe_u32 v6, v0, 23, 8
	v_cmp_gt_u32_e64 s[28:29], s47, v6
	v_sub_u32_e32 v0, 0x71, v6
	v_cmp_eq_u32_e32 vcc, 0, v6
	v_cndmask_b32_e64 v0, 0, v0, s[28:29]
	v_mov_b32_e32 v2, 0x70
	v_cndmask_b32_e32 v7, v0, v2, vcc
	v_add_u32_e32 v2, 21, v7
	v_or_b32_e32 v1, 0x800000, v32
	v_lshlrev_b64 v[8:9], v2, -1
	v_cndmask_b32_e32 v0, v1, v32, vcc
	v_mov_b32_e32 v1, v33
	v_add_u32_e32 v2, 20, v7
	v_bfi_b32 v8, v8, 0, v0
	v_lshlrev_b64 v[13:14], v2, 1
	v_lshrrev_b64 v[0:1], v7, v[0:1]
	v_bfi_b32 v9, v9, 0, 0
	v_cmp_eq_u64_e64 s[28:29], v[8:9], v[13:14]
	v_mov_b32_e32 v2, v1
	v_mov_b32_e32 v1, v0
	s_and_saveexec_b64 s[38:39], s[28:29]
; %bb.5745:                             ;   in Loop: Header=BB6_5473 Depth=4
	v_bfe_u32 v1, v0, 21, 1
	v_add_co_u32_e64 v1, s[28:29], v0, v1
	v_add_co_u32_e64 v1, s[28:29], -1, v1
; %bb.5746:                             ;   in Loop: Header=BB6_5473 Depth=4
	s_or_b64 exec, exec, s[38:39]
	v_add_u32_e32 v2, 0xffffff81, v6
	v_mov_b32_e32 v6, 0xffffff82
	v_cndmask_b32_e32 v2, v2, v6, vcc
	v_lshrrev_b32_e32 v6, 23, v0
	v_add3_u32 v7, v7, v2, v6
	v_add_u32_e32 v6, 14, v7
	v_and_b32_e32 v1, 0x1fffff, v1
	v_add_u32_e32 v32, v1, v0
	v_cmp_ne_u32_e32 vcc, 0, v6
                                        ; implicit-def: $vgpr0_vgpr1
                                        ; implicit-def: $vgpr2
	s_and_saveexec_b64 s[28:29], vcc
	s_xor_b64 s[28:29], exec, s[28:29]
; %bb.5747:                             ;   in Loop: Header=BB6_5473 Depth=4
	v_cmp_lt_u64_e32 vcc, s[88:89], v[32:33]
	v_add_u32_e32 v0, 15, v7
	v_cndmask_b32_e32 v2, v6, v0, vcc
	v_cndmask_b32_e64 v0, 0, 1, vcc
	v_lshrrev_b64 v[0:1], v0, v[32:33]
; %bb.5748:                             ;   in Loop: Header=BB6_5473 Depth=4
	s_andn2_saveexec_b64 s[28:29], s[28:29]
; %bb.5749:                             ;   in Loop: Header=BB6_5473 Depth=4
	v_mov_b32_e32 v0, v32
	v_mov_b32_e32 v1, v33
	v_bfe_u32 v2, v32, 23, 1
; %bb.5750:                             ;   in Loop: Header=BB6_5473 Depth=4
	s_or_b64 exec, exec, s[28:29]
	v_lshrrev_b64 v[0:1], 21, v[0:1]
	v_cmp_gt_i32_e32 vcc, 32, v2
	v_cndmask_b32_e32 v1, 0, v1, vcc
	v_cndmask_b32_e32 v0, 3, v0, vcc
	v_cmp_eq_u64_e64 s[28:29], 0, v[0:1]
	v_min_i32_e32 v1, 31, v2
	v_lshlrev_b32_e32 v1, 2, v1
	v_cmp_eq_u32_e32 vcc, 0, v2
	v_and_b32_e32 v1, 0xfc, v1
	v_and_or_b32 v0, v0, 3, v1
	s_and_b64 s[28:29], vcc, s[28:29]
	v_cndmask_b32_e64 v0, v0, 0, s[28:29]
	v_or_b32_e32 v42, v0, v5
.LBB6_5751:                             ;   in Loop: Header=BB6_5473 Depth=4
	s_or_b64 exec, exec, s[36:37]
                                        ; implicit-def: $vgpr5
.LBB6_5752:                             ;   in Loop: Header=BB6_5473 Depth=4
	s_andn2_saveexec_b64 s[28:29], s[34:35]
; %bb.5753:                             ;   in Loop: Header=BB6_5473 Depth=4
	v_or_b32_e32 v42, 0x7b, v5
; %bb.5754:                             ;   in Loop: Header=BB6_5473 Depth=4
	s_or_b64 exec, exec, s[28:29]
                                        ; implicit-def: $vgpr0
.LBB6_5755:                             ;   in Loop: Header=BB6_5473 Depth=4
	s_andn2_saveexec_b64 s[28:29], s[30:31]
	s_cbranch_execz .LBB6_5761
; %bb.5756:                             ;   in Loop: Header=BB6_5473 Depth=4
	v_cmp_ne_u64_e32 vcc, 0, v[32:33]
                                        ; implicit-def: $vgpr42
	s_and_saveexec_b64 s[62:63], vcc
	s_xor_b64 vcc, exec, s[62:63]
; %bb.5757:                             ;   in Loop: Header=BB6_5473 Depth=4
	v_or_b32_sdwa v42, v0, s44 dst_sel:DWORD dst_unused:UNUSED_PAD src0_sel:BYTE_3 src1_sel:DWORD
                                        ; implicit-def: $vgpr0
; %bb.5758:                             ;   in Loop: Header=BB6_5473 Depth=4
	s_andn2_saveexec_b64 s[30:31], vcc
; %bb.5759:                             ;   in Loop: Header=BB6_5473 Depth=4
	v_cmp_lt_i32_e32 vcc, -1, v0
	v_bfrev_b32_e32 v0, 0.5
	v_mov_b32_e32 v1, 0x7c
	v_cndmask_b32_e32 v42, v0, v1, vcc
; %bb.5760:                             ;   in Loop: Header=BB6_5473 Depth=4
	s_or_b64 exec, exec, s[30:31]
.LBB6_5761:                             ;   in Loop: Header=BB6_5473 Depth=4
	s_or_b64 exec, exec, s[28:29]
	v_lshrrev_b32_e32 v0, 16, v10
	v_cmp_ne_u16_sdwa s[62:63], v0, v33 src0_sel:BYTE_0 src1_sel:DWORD
	v_mov_b32_e32 v1, 0
	s_and_saveexec_b64 s[28:29], s[62:63]
	s_cbranch_execz .LBB6_5769
; %bb.5762:                             ;   in Loop: Header=BB6_5473 Depth=4
	v_cmp_ne_u16_sdwa s[62:63], v0, s97 src0_sel:BYTE_0 src1_sel:DWORD
	v_bfrev_b32_e32 v1, 1
	s_and_saveexec_b64 s[30:31], s[62:63]
	s_cbranch_execz .LBB6_5768
; %bb.5763:                             ;   in Loop: Header=BB6_5473 Depth=4
	v_and_b32_e32 v1, 0x7c0000, v10
	v_bfe_u32 v2, v10, 16, 2
	v_cmp_ne_u32_e32 vcc, s45, v1
                                        ; implicit-def: $vgpr1
	s_and_saveexec_b64 s[62:63], vcc
	s_xor_b64 s[34:35], exec, s[62:63]
	s_cbranch_execz .LBB6_5765
; %bb.5764:                             ;   in Loop: Header=BB6_5473 Depth=4
	v_ffbh_u32_e32 v1, v2
	v_min_u32_e32 v6, 32, v1
	v_subrev_u32_e32 v1, 29, v6
	v_lshlrev_b64 v[0:1], v1, v[0:1]
	v_bfe_u32 v5, v10, 18, 5
	v_and_b32_e32 v0, 3, v0
	v_cmp_eq_u32_e32 vcc, 0, v5
	v_sub_u32_e32 v1, 30, v6
	v_cndmask_b32_e32 v0, v2, v0, vcc
	v_lshlrev_b32_e32 v2, 8, v10
	v_cndmask_b32_e32 v1, v5, v1, vcc
	v_and_b32_e32 v2, 0x80000000, v2
	v_lshl_add_u32 v1, v1, 23, v2
	v_lshl_or_b32 v0, v0, 21, v1
	v_add_u32_e32 v1, 0x38000000, v0
                                        ; implicit-def: $vgpr2
                                        ; implicit-def: $vgpr0
.LBB6_5765:                             ;   in Loop: Header=BB6_5473 Depth=4
	s_andn2_saveexec_b64 s[34:35], s[34:35]
; %bb.5766:                             ;   in Loop: Header=BB6_5473 Depth=4
	v_mov_b32_e32 v1, -1
	v_cmp_gt_i16_sdwa vcc, sext(v0), v1 src0_sel:BYTE_0 src1_sel:DWORD
	v_mov_b32_e32 v0, 0xff800000
	v_mov_b32_e32 v1, 0x7f800000
	v_cndmask_b32_e32 v0, v0, v1, vcc
	v_cmp_eq_u32_e32 vcc, 0, v2
	v_mov_b32_e32 v1, 0x7f800001
	v_cndmask_b32_e32 v1, v1, v0, vcc
; %bb.5767:                             ;   in Loop: Header=BB6_5473 Depth=4
	s_or_b64 exec, exec, s[34:35]
.LBB6_5768:                             ;   in Loop: Header=BB6_5473 Depth=4
	s_or_b64 exec, exec, s[30:31]
.LBB6_5769:                             ;   in Loop: Header=BB6_5473 Depth=4
	s_or_b64 exec, exec, s[28:29]
	v_mul_f32_e32 v0, v12, v1
	v_and_b32_e32 v1, 0x7f800000, v0
	v_mov_b32_e32 v2, v33
	v_cmp_ne_u64_e32 vcc, s[76:77], v[1:2]
	v_and_b32_e32 v32, 0x7fffff, v0
                                        ; implicit-def: $vgpr36
	s_and_saveexec_b64 s[28:29], vcc
	s_xor_b64 s[30:31], exec, s[28:29]
	s_cbranch_execz .LBB6_5783
; %bb.5770:                             ;   in Loop: Header=BB6_5473 Depth=4
	v_and_b32_e32 v1, 0x7fffffff, v0
	v_mov_b32_e32 v2, v33
	v_cmp_gt_u64_e32 vcc, s[78:79], v[1:2]
	v_and_b32_sdwa v5, v0, s97 dst_sel:DWORD dst_unused:UNUSED_PAD src0_sel:BYTE_3 src1_sel:DWORD
                                        ; implicit-def: $vgpr36
	s_and_saveexec_b64 s[28:29], vcc
	s_xor_b64 s[34:35], exec, s[28:29]
	s_cbranch_execz .LBB6_5780
; %bb.5771:                             ;   in Loop: Header=BB6_5473 Depth=4
	v_mov_b32_e32 v36, 0
	v_cmp_ne_u32_e32 vcc, 0, v0
	s_and_saveexec_b64 s[36:37], vcc
	s_cbranch_execz .LBB6_5779
; %bb.5772:                             ;   in Loop: Header=BB6_5473 Depth=4
	v_bfe_u32 v6, v0, 23, 8
	v_cmp_gt_u32_e64 s[28:29], s47, v6
	v_sub_u32_e32 v0, 0x71, v6
	v_cmp_eq_u32_e32 vcc, 0, v6
	v_cndmask_b32_e64 v0, 0, v0, s[28:29]
	v_mov_b32_e32 v2, 0x70
	v_cndmask_b32_e32 v7, v0, v2, vcc
	v_add_u32_e32 v2, 21, v7
	v_or_b32_e32 v1, 0x800000, v32
	v_lshlrev_b64 v[8:9], v2, -1
	v_cndmask_b32_e32 v0, v1, v32, vcc
	v_mov_b32_e32 v1, v33
	v_add_u32_e32 v2, 20, v7
	v_bfi_b32 v8, v8, 0, v0
	v_lshlrev_b64 v[13:14], v2, 1
	v_lshrrev_b64 v[0:1], v7, v[0:1]
	v_bfi_b32 v9, v9, 0, 0
	v_cmp_eq_u64_e64 s[28:29], v[8:9], v[13:14]
	v_mov_b32_e32 v2, v1
	v_mov_b32_e32 v1, v0
	s_and_saveexec_b64 s[38:39], s[28:29]
; %bb.5773:                             ;   in Loop: Header=BB6_5473 Depth=4
	v_bfe_u32 v1, v0, 21, 1
	v_add_co_u32_e64 v1, s[28:29], v0, v1
	v_add_co_u32_e64 v1, s[28:29], -1, v1
; %bb.5774:                             ;   in Loop: Header=BB6_5473 Depth=4
	s_or_b64 exec, exec, s[38:39]
	v_add_u32_e32 v2, 0xffffff81, v6
	v_mov_b32_e32 v6, 0xffffff82
	v_cndmask_b32_e32 v2, v2, v6, vcc
	v_lshrrev_b32_e32 v6, 23, v0
	v_add3_u32 v7, v7, v2, v6
	v_add_u32_e32 v6, 14, v7
	v_and_b32_e32 v1, 0x1fffff, v1
	v_add_u32_e32 v32, v1, v0
	v_cmp_ne_u32_e32 vcc, 0, v6
                                        ; implicit-def: $vgpr0_vgpr1
                                        ; implicit-def: $vgpr2
	s_and_saveexec_b64 s[28:29], vcc
	s_xor_b64 s[28:29], exec, s[28:29]
; %bb.5775:                             ;   in Loop: Header=BB6_5473 Depth=4
	v_cmp_lt_u64_e32 vcc, s[88:89], v[32:33]
	v_add_u32_e32 v0, 15, v7
	v_cndmask_b32_e32 v2, v6, v0, vcc
	v_cndmask_b32_e64 v0, 0, 1, vcc
	v_lshrrev_b64 v[0:1], v0, v[32:33]
; %bb.5776:                             ;   in Loop: Header=BB6_5473 Depth=4
	s_andn2_saveexec_b64 s[28:29], s[28:29]
; %bb.5777:                             ;   in Loop: Header=BB6_5473 Depth=4
	v_mov_b32_e32 v0, v32
	v_mov_b32_e32 v1, v33
	v_bfe_u32 v2, v32, 23, 1
; %bb.5778:                             ;   in Loop: Header=BB6_5473 Depth=4
	s_or_b64 exec, exec, s[28:29]
	v_lshrrev_b64 v[0:1], 21, v[0:1]
	v_cmp_gt_i32_e32 vcc, 32, v2
	v_cndmask_b32_e32 v1, 0, v1, vcc
	v_cndmask_b32_e32 v0, 3, v0, vcc
	v_cmp_eq_u64_e64 s[28:29], 0, v[0:1]
	v_min_i32_e32 v1, 31, v2
	v_lshlrev_b32_e32 v1, 2, v1
	v_cmp_eq_u32_e32 vcc, 0, v2
	v_and_b32_e32 v1, 0xfc, v1
	v_and_or_b32 v0, v0, 3, v1
	s_and_b64 s[28:29], vcc, s[28:29]
	v_cndmask_b32_e64 v0, v0, 0, s[28:29]
	v_or_b32_e32 v36, v0, v5
.LBB6_5779:                             ;   in Loop: Header=BB6_5473 Depth=4
	s_or_b64 exec, exec, s[36:37]
                                        ; implicit-def: $vgpr5
.LBB6_5780:                             ;   in Loop: Header=BB6_5473 Depth=4
	s_andn2_saveexec_b64 s[28:29], s[34:35]
; %bb.5781:                             ;   in Loop: Header=BB6_5473 Depth=4
	v_or_b32_e32 v36, 0x7b, v5
; %bb.5782:                             ;   in Loop: Header=BB6_5473 Depth=4
	s_or_b64 exec, exec, s[28:29]
                                        ; implicit-def: $vgpr0
.LBB6_5783:                             ;   in Loop: Header=BB6_5473 Depth=4
	s_andn2_saveexec_b64 s[28:29], s[30:31]
	s_cbranch_execz .LBB6_5789
; %bb.5784:                             ;   in Loop: Header=BB6_5473 Depth=4
	v_cmp_ne_u64_e32 vcc, 0, v[32:33]
                                        ; implicit-def: $vgpr36
	s_and_saveexec_b64 s[62:63], vcc
	s_xor_b64 vcc, exec, s[62:63]
; %bb.5785:                             ;   in Loop: Header=BB6_5473 Depth=4
	v_or_b32_sdwa v36, v0, s44 dst_sel:DWORD dst_unused:UNUSED_PAD src0_sel:BYTE_3 src1_sel:DWORD
                                        ; implicit-def: $vgpr0
; %bb.5786:                             ;   in Loop: Header=BB6_5473 Depth=4
	s_andn2_saveexec_b64 s[30:31], vcc
; %bb.5787:                             ;   in Loop: Header=BB6_5473 Depth=4
	v_cmp_lt_i32_e32 vcc, -1, v0
	v_bfrev_b32_e32 v0, 0.5
	v_mov_b32_e32 v1, 0x7c
	v_cndmask_b32_e32 v36, v0, v1, vcc
; %bb.5788:                             ;   in Loop: Header=BB6_5473 Depth=4
	s_or_b64 exec, exec, s[30:31]
.LBB6_5789:                             ;   in Loop: Header=BB6_5473 Depth=4
	s_or_b64 exec, exec, s[28:29]
	v_cmp_lt_u32_e32 vcc, s57, v10
	v_mov_b32_e32 v1, 0
	s_and_saveexec_b64 s[28:29], vcc
	s_cbranch_execz .LBB6_5797
; %bb.5790:                             ;   in Loop: Header=BB6_5473 Depth=4
	v_lshrrev_b32_e32 v0, 24, v10
	v_cmp_ne_u32_e32 vcc, s97, v0
	v_bfrev_b32_e32 v1, 1
	s_and_saveexec_b64 s[30:31], vcc
	s_cbranch_execz .LBB6_5796
; %bb.5791:                             ;   in Loop: Header=BB6_5473 Depth=4
	v_and_b32_e32 v1, 0x7c000000, v10
	v_bfe_u32 v2, v10, 24, 2
	v_cmp_ne_u32_e32 vcc, s68, v1
                                        ; implicit-def: $vgpr1
	s_and_saveexec_b64 s[62:63], vcc
	s_xor_b64 s[34:35], exec, s[62:63]
	s_cbranch_execz .LBB6_5793
; %bb.5792:                             ;   in Loop: Header=BB6_5473 Depth=4
	v_ffbh_u32_e32 v1, v2
	v_min_u32_e32 v6, 32, v1
	v_subrev_u32_e32 v1, 29, v6
	v_lshlrev_b64 v[0:1], v1, v[0:1]
	v_bfe_u32 v5, v10, 26, 5
	v_sub_u32_e32 v1, 30, v6
	v_and_b32_e32 v0, 3, v0
	v_cmp_eq_u32_e32 vcc, 0, v5
	v_cndmask_b32_e32 v1, v5, v1, vcc
	v_cndmask_b32_e32 v0, v2, v0, vcc
	v_and_b32_e32 v2, 0x80000000, v10
	v_lshl_add_u32 v1, v1, 23, v2
	v_lshl_or_b32 v0, v0, 21, v1
	v_add_u32_e32 v1, 0x38000000, v0
                                        ; implicit-def: $vgpr2
.LBB6_5793:                             ;   in Loop: Header=BB6_5473 Depth=4
	s_andn2_saveexec_b64 s[34:35], s[34:35]
; %bb.5794:                             ;   in Loop: Header=BB6_5473 Depth=4
	v_cmp_lt_i32_e32 vcc, -1, v10
	v_mov_b32_e32 v0, 0xff800000
	v_mov_b32_e32 v1, 0x7f800000
	v_cndmask_b32_e32 v0, v0, v1, vcc
	v_cmp_eq_u32_e32 vcc, 0, v2
	v_mov_b32_e32 v1, 0x7f800001
	v_cndmask_b32_e32 v1, v1, v0, vcc
; %bb.5795:                             ;   in Loop: Header=BB6_5473 Depth=4
	s_or_b64 exec, exec, s[34:35]
.LBB6_5796:                             ;   in Loop: Header=BB6_5473 Depth=4
	s_or_b64 exec, exec, s[30:31]
.LBB6_5797:                             ;   in Loop: Header=BB6_5473 Depth=4
	s_or_b64 exec, exec, s[28:29]
	v_mul_f32_e32 v0, v12, v1
	v_and_b32_e32 v1, 0x7f800000, v0
	v_mov_b32_e32 v2, v33
	v_cmp_ne_u64_e32 vcc, s[76:77], v[1:2]
	v_and_b32_e32 v32, 0x7fffff, v0
                                        ; implicit-def: $vgpr48
	s_and_saveexec_b64 s[28:29], vcc
	s_xor_b64 s[30:31], exec, s[28:29]
	s_cbranch_execz .LBB6_5811
; %bb.5798:                             ;   in Loop: Header=BB6_5473 Depth=4
	v_and_b32_e32 v1, 0x7fffffff, v0
	v_mov_b32_e32 v2, v33
	v_cmp_gt_u64_e32 vcc, s[78:79], v[1:2]
	v_and_b32_sdwa v5, v0, s97 dst_sel:DWORD dst_unused:UNUSED_PAD src0_sel:BYTE_3 src1_sel:DWORD
                                        ; implicit-def: $vgpr48
	s_and_saveexec_b64 s[28:29], vcc
	s_xor_b64 s[34:35], exec, s[28:29]
	s_cbranch_execz .LBB6_5808
; %bb.5799:                             ;   in Loop: Header=BB6_5473 Depth=4
	v_mov_b32_e32 v48, 0
	v_cmp_ne_u32_e32 vcc, 0, v0
	s_and_saveexec_b64 s[36:37], vcc
	s_cbranch_execz .LBB6_5807
; %bb.5800:                             ;   in Loop: Header=BB6_5473 Depth=4
	v_bfe_u32 v6, v0, 23, 8
	v_cmp_gt_u32_e64 s[28:29], s47, v6
	v_sub_u32_e32 v0, 0x71, v6
	v_cmp_eq_u32_e32 vcc, 0, v6
	v_cndmask_b32_e64 v0, 0, v0, s[28:29]
	v_mov_b32_e32 v2, 0x70
	v_cndmask_b32_e32 v7, v0, v2, vcc
	v_add_u32_e32 v2, 21, v7
	v_or_b32_e32 v1, 0x800000, v32
	v_lshlrev_b64 v[8:9], v2, -1
	v_cndmask_b32_e32 v0, v1, v32, vcc
	v_mov_b32_e32 v1, v33
	v_add_u32_e32 v2, 20, v7
	v_bfi_b32 v8, v8, 0, v0
	v_lshlrev_b64 v[13:14], v2, 1
	v_lshrrev_b64 v[0:1], v7, v[0:1]
	v_bfi_b32 v9, v9, 0, 0
	v_cmp_eq_u64_e64 s[28:29], v[8:9], v[13:14]
	v_mov_b32_e32 v2, v1
	v_mov_b32_e32 v1, v0
	s_and_saveexec_b64 s[38:39], s[28:29]
; %bb.5801:                             ;   in Loop: Header=BB6_5473 Depth=4
	v_bfe_u32 v1, v0, 21, 1
	v_add_co_u32_e64 v1, s[28:29], v0, v1
	v_add_co_u32_e64 v1, s[28:29], -1, v1
; %bb.5802:                             ;   in Loop: Header=BB6_5473 Depth=4
	s_or_b64 exec, exec, s[38:39]
	v_add_u32_e32 v2, 0xffffff81, v6
	v_mov_b32_e32 v6, 0xffffff82
	v_cndmask_b32_e32 v2, v2, v6, vcc
	v_lshrrev_b32_e32 v6, 23, v0
	v_add3_u32 v7, v7, v2, v6
	v_add_u32_e32 v6, 14, v7
	v_and_b32_e32 v1, 0x1fffff, v1
	v_add_u32_e32 v32, v1, v0
	v_cmp_ne_u32_e32 vcc, 0, v6
                                        ; implicit-def: $vgpr0_vgpr1
                                        ; implicit-def: $vgpr2
	s_and_saveexec_b64 s[28:29], vcc
	s_xor_b64 s[28:29], exec, s[28:29]
; %bb.5803:                             ;   in Loop: Header=BB6_5473 Depth=4
	v_cmp_lt_u64_e32 vcc, s[88:89], v[32:33]
	v_add_u32_e32 v0, 15, v7
	v_cndmask_b32_e32 v2, v6, v0, vcc
	v_cndmask_b32_e64 v0, 0, 1, vcc
	v_lshrrev_b64 v[0:1], v0, v[32:33]
; %bb.5804:                             ;   in Loop: Header=BB6_5473 Depth=4
	s_andn2_saveexec_b64 s[28:29], s[28:29]
; %bb.5805:                             ;   in Loop: Header=BB6_5473 Depth=4
	v_mov_b32_e32 v0, v32
	v_mov_b32_e32 v1, v33
	v_bfe_u32 v2, v32, 23, 1
; %bb.5806:                             ;   in Loop: Header=BB6_5473 Depth=4
	s_or_b64 exec, exec, s[28:29]
	v_lshrrev_b64 v[0:1], 21, v[0:1]
	v_cmp_gt_i32_e32 vcc, 32, v2
	v_cndmask_b32_e32 v1, 0, v1, vcc
	v_cndmask_b32_e32 v0, 3, v0, vcc
	v_cmp_eq_u64_e64 s[28:29], 0, v[0:1]
	v_min_i32_e32 v1, 31, v2
	v_lshlrev_b32_e32 v1, 2, v1
	v_cmp_eq_u32_e32 vcc, 0, v2
	v_and_b32_e32 v1, 0xfc, v1
	v_and_or_b32 v0, v0, 3, v1
	s_and_b64 s[28:29], vcc, s[28:29]
	v_cndmask_b32_e64 v0, v0, 0, s[28:29]
	v_or_b32_e32 v48, v0, v5
.LBB6_5807:                             ;   in Loop: Header=BB6_5473 Depth=4
	s_or_b64 exec, exec, s[36:37]
                                        ; implicit-def: $vgpr5
.LBB6_5808:                             ;   in Loop: Header=BB6_5473 Depth=4
	s_andn2_saveexec_b64 s[28:29], s[34:35]
; %bb.5809:                             ;   in Loop: Header=BB6_5473 Depth=4
	v_or_b32_e32 v48, 0x7b, v5
; %bb.5810:                             ;   in Loop: Header=BB6_5473 Depth=4
	s_or_b64 exec, exec, s[28:29]
                                        ; implicit-def: $vgpr0
.LBB6_5811:                             ;   in Loop: Header=BB6_5473 Depth=4
	s_andn2_saveexec_b64 s[28:29], s[30:31]
	s_cbranch_execz .LBB6_5817
; %bb.5812:                             ;   in Loop: Header=BB6_5473 Depth=4
	v_cmp_ne_u64_e32 vcc, 0, v[32:33]
                                        ; implicit-def: $vgpr48
	s_and_saveexec_b64 s[62:63], vcc
	s_xor_b64 vcc, exec, s[62:63]
; %bb.5813:                             ;   in Loop: Header=BB6_5473 Depth=4
	v_or_b32_sdwa v48, v0, s44 dst_sel:DWORD dst_unused:UNUSED_PAD src0_sel:BYTE_3 src1_sel:DWORD
                                        ; implicit-def: $vgpr0
; %bb.5814:                             ;   in Loop: Header=BB6_5473 Depth=4
	s_andn2_saveexec_b64 s[30:31], vcc
; %bb.5815:                             ;   in Loop: Header=BB6_5473 Depth=4
	v_cmp_lt_i32_e32 vcc, -1, v0
	v_bfrev_b32_e32 v0, 0.5
	v_mov_b32_e32 v1, 0x7c
	v_cndmask_b32_e32 v48, v0, v1, vcc
; %bb.5816:                             ;   in Loop: Header=BB6_5473 Depth=4
	s_or_b64 exec, exec, s[30:31]
.LBB6_5817:                             ;   in Loop: Header=BB6_5473 Depth=4
	s_or_b64 exec, exec, s[28:29]
	v_mov_b32_e32 v32, v11
	v_cmp_ne_u16_sdwa s[62:63], v11, v33 src0_sel:BYTE_0 src1_sel:DWORD
	v_mov_b32_e32 v0, 0
	s_and_saveexec_b64 s[28:29], s[62:63]
	s_cbranch_execz .LBB6_5825
; %bb.5818:                             ;   in Loop: Header=BB6_5473 Depth=4
	v_cmp_ne_u16_sdwa s[62:63], v11, s97 src0_sel:BYTE_0 src1_sel:DWORD
	v_bfrev_b32_e32 v0, 1
	s_and_saveexec_b64 s[30:31], s[62:63]
	s_cbranch_execz .LBB6_5824
; %bb.5819:                             ;   in Loop: Header=BB6_5473 Depth=4
	v_and_b32_e32 v0, 0x7c, v11
	v_and_b32_e32 v1, 3, v11
	v_cmp_ne_u32_e32 vcc, s86, v0
                                        ; implicit-def: $vgpr0
	s_and_saveexec_b64 s[62:63], vcc
	s_xor_b64 s[34:35], exec, s[62:63]
	s_cbranch_execz .LBB6_5821
; %bb.5820:                             ;   in Loop: Header=BB6_5473 Depth=4
	v_ffbh_u32_e32 v2, v1
	v_min_u32_e32 v2, 32, v2
	v_bfe_u32 v0, v11, 2, 5
	v_subrev_u32_e32 v5, 29, v2
	v_lshlrev_b64 v[5:6], v5, v[32:33]
	v_sub_u32_e32 v2, 30, v2
	v_cmp_eq_u32_e32 vcc, 0, v0
	v_cndmask_b32_e32 v0, v0, v2, vcc
	v_lshlrev_b32_e32 v2, 24, v11
	v_and_b32_e32 v5, 3, v5
	v_and_b32_e32 v2, 0x80000000, v2
	v_cndmask_b32_e32 v1, v1, v5, vcc
	v_lshl_add_u32 v0, v0, 23, v2
	v_lshl_or_b32 v0, v1, 21, v0
	v_add_u32_e32 v0, 0x38000000, v0
                                        ; implicit-def: $vgpr1
.LBB6_5821:                             ;   in Loop: Header=BB6_5473 Depth=4
	s_andn2_saveexec_b64 s[34:35], s[34:35]
; %bb.5822:                             ;   in Loop: Header=BB6_5473 Depth=4
	v_mov_b32_e32 v0, -1
	v_cmp_gt_i16_sdwa vcc, sext(v11), v0 src0_sel:BYTE_0 src1_sel:DWORD
	v_mov_b32_e32 v0, 0xff800000
	v_mov_b32_e32 v2, 0x7f800000
	v_cndmask_b32_e32 v0, v0, v2, vcc
	v_cmp_eq_u32_e32 vcc, 0, v1
	v_mov_b32_e32 v1, 0x7f800001
	v_cndmask_b32_e32 v0, v1, v0, vcc
; %bb.5823:                             ;   in Loop: Header=BB6_5473 Depth=4
	s_or_b64 exec, exec, s[34:35]
.LBB6_5824:                             ;   in Loop: Header=BB6_5473 Depth=4
	s_or_b64 exec, exec, s[30:31]
.LBB6_5825:                             ;   in Loop: Header=BB6_5473 Depth=4
	s_or_b64 exec, exec, s[28:29]
	v_mul_f32_e32 v2, v12, v0
	v_and_b32_e32 v5, 0x7f800000, v2
	v_mov_b32_e32 v6, v33
	v_cmp_ne_u64_e32 vcc, s[76:77], v[5:6]
	v_and_b32_e32 v0, 0x7fffff, v2
	v_mov_b32_e32 v1, v33
                                        ; implicit-def: $vgpr43
	s_and_saveexec_b64 s[28:29], vcc
	s_xor_b64 s[30:31], exec, s[28:29]
	s_cbranch_execz .LBB6_5839
; %bb.5826:                             ;   in Loop: Header=BB6_5473 Depth=4
	v_and_b32_e32 v5, 0x7fffffff, v2
	v_mov_b32_e32 v6, v33
	v_cmp_gt_u64_e32 vcc, s[78:79], v[5:6]
	v_and_b32_sdwa v5, v2, s97 dst_sel:DWORD dst_unused:UNUSED_PAD src0_sel:BYTE_3 src1_sel:DWORD
                                        ; implicit-def: $vgpr43
	s_and_saveexec_b64 s[28:29], vcc
	s_xor_b64 s[34:35], exec, s[28:29]
	s_cbranch_execz .LBB6_5836
; %bb.5827:                             ;   in Loop: Header=BB6_5473 Depth=4
	v_mov_b32_e32 v43, 0
	v_cmp_ne_u32_e32 vcc, 0, v2
	s_and_saveexec_b64 s[36:37], vcc
	s_cbranch_execz .LBB6_5835
; %bb.5828:                             ;   in Loop: Header=BB6_5473 Depth=4
	v_bfe_u32 v6, v2, 23, 8
	v_cmp_gt_u32_e64 s[28:29], s47, v6
	v_sub_u32_e32 v2, 0x71, v6
	v_cmp_eq_u32_e32 vcc, 0, v6
	v_cndmask_b32_e64 v2, 0, v2, s[28:29]
	v_mov_b32_e32 v7, 0x70
	v_cndmask_b32_e32 v7, v2, v7, vcc
	v_or_b32_e32 v8, 0x800000, v0
	v_add_u32_e32 v2, 21, v7
	v_cndmask_b32_e32 v0, v8, v0, vcc
	v_lshlrev_b64 v[8:9], v2, -1
	v_add_u32_e32 v2, 20, v7
	v_bfi_b32 v8, v8, 0, v0
	v_lshlrev_b64 v[13:14], v2, 1
	v_lshrrev_b64 v[0:1], v7, v[0:1]
	v_bfi_b32 v9, v9, 0, 0
	v_cmp_eq_u64_e64 s[28:29], v[8:9], v[13:14]
	v_mov_b32_e32 v2, v1
	v_mov_b32_e32 v1, v0
	s_and_saveexec_b64 s[38:39], s[28:29]
; %bb.5829:                             ;   in Loop: Header=BB6_5473 Depth=4
	v_bfe_u32 v1, v0, 21, 1
	v_add_co_u32_e64 v1, s[28:29], v0, v1
	v_add_co_u32_e64 v1, s[28:29], -1, v1
; %bb.5830:                             ;   in Loop: Header=BB6_5473 Depth=4
	s_or_b64 exec, exec, s[38:39]
	v_add_u32_e32 v2, 0xffffff81, v6
	v_mov_b32_e32 v6, 0xffffff82
	v_cndmask_b32_e32 v2, v2, v6, vcc
	v_lshrrev_b32_e32 v6, 23, v0
	v_add3_u32 v7, v7, v2, v6
	v_add_u32_e32 v6, 14, v7
	v_and_b32_e32 v1, 0x1fffff, v1
	v_add_u32_e32 v0, v1, v0
	v_mov_b32_e32 v1, v33
	v_cmp_ne_u32_e32 vcc, 0, v6
                                        ; implicit-def: $vgpr2
	s_and_saveexec_b64 s[28:29], vcc
	s_xor_b64 s[28:29], exec, s[28:29]
; %bb.5831:                             ;   in Loop: Header=BB6_5473 Depth=4
	v_cmp_lt_u64_e32 vcc, s[88:89], v[0:1]
	v_add_u32_e32 v2, 15, v7
	v_cndmask_b32_e32 v2, v6, v2, vcc
	v_cndmask_b32_e64 v6, 0, 1, vcc
	v_lshrrev_b64 v[0:1], v6, v[0:1]
; %bb.5832:                             ;   in Loop: Header=BB6_5473 Depth=4
	s_andn2_saveexec_b64 s[28:29], s[28:29]
; %bb.5833:                             ;   in Loop: Header=BB6_5473 Depth=4
	v_bfe_u32 v2, v0, 23, 1
; %bb.5834:                             ;   in Loop: Header=BB6_5473 Depth=4
	s_or_b64 exec, exec, s[28:29]
	v_lshrrev_b64 v[0:1], 21, v[0:1]
	v_cmp_gt_i32_e32 vcc, 32, v2
	v_cndmask_b32_e32 v1, 0, v1, vcc
	v_cndmask_b32_e32 v0, 3, v0, vcc
	v_cmp_eq_u64_e64 s[28:29], 0, v[0:1]
	v_min_i32_e32 v1, 31, v2
	v_lshlrev_b32_e32 v1, 2, v1
	v_cmp_eq_u32_e32 vcc, 0, v2
	v_and_b32_e32 v1, 0xfc, v1
	v_and_or_b32 v0, v0, 3, v1
	s_and_b64 s[28:29], vcc, s[28:29]
	v_cndmask_b32_e64 v0, v0, 0, s[28:29]
	v_or_b32_e32 v43, v0, v5
.LBB6_5835:                             ;   in Loop: Header=BB6_5473 Depth=4
	s_or_b64 exec, exec, s[36:37]
                                        ; implicit-def: $vgpr5
.LBB6_5836:                             ;   in Loop: Header=BB6_5473 Depth=4
	s_andn2_saveexec_b64 s[28:29], s[34:35]
; %bb.5837:                             ;   in Loop: Header=BB6_5473 Depth=4
	v_or_b32_e32 v43, 0x7b, v5
; %bb.5838:                             ;   in Loop: Header=BB6_5473 Depth=4
	s_or_b64 exec, exec, s[28:29]
                                        ; implicit-def: $vgpr2
                                        ; implicit-def: $vgpr0_vgpr1
.LBB6_5839:                             ;   in Loop: Header=BB6_5473 Depth=4
	s_andn2_saveexec_b64 s[28:29], s[30:31]
	s_cbranch_execz .LBB6_5845
; %bb.5840:                             ;   in Loop: Header=BB6_5473 Depth=4
	v_cmp_ne_u64_e32 vcc, 0, v[0:1]
                                        ; implicit-def: $vgpr43
	s_and_saveexec_b64 s[62:63], vcc
	s_xor_b64 vcc, exec, s[62:63]
; %bb.5841:                             ;   in Loop: Header=BB6_5473 Depth=4
	v_or_b32_sdwa v43, v2, s44 dst_sel:DWORD dst_unused:UNUSED_PAD src0_sel:BYTE_3 src1_sel:DWORD
                                        ; implicit-def: $vgpr2
; %bb.5842:                             ;   in Loop: Header=BB6_5473 Depth=4
	s_andn2_saveexec_b64 s[30:31], vcc
; %bb.5843:                             ;   in Loop: Header=BB6_5473 Depth=4
	v_cmp_lt_i32_e32 vcc, -1, v2
	v_bfrev_b32_e32 v0, 0.5
	v_mov_b32_e32 v1, 0x7c
	v_cndmask_b32_e32 v43, v0, v1, vcc
; %bb.5844:                             ;   in Loop: Header=BB6_5473 Depth=4
	s_or_b64 exec, exec, s[30:31]
.LBB6_5845:                             ;   in Loop: Header=BB6_5473 Depth=4
	s_or_b64 exec, exec, s[28:29]
	v_lshrrev_b16_e32 v0, 8, v32
	v_cmp_ne_u16_e32 vcc, 0, v0
	v_mov_b32_e32 v1, 0
	s_and_saveexec_b64 s[28:29], vcc
	s_cbranch_execz .LBB6_5853
; %bb.5846:                             ;   in Loop: Header=BB6_5473 Depth=4
	v_cmp_ne_u16_e32 vcc, s97, v0
	v_bfrev_b32_e32 v1, 1
	s_and_saveexec_b64 s[30:31], vcc
	s_cbranch_execz .LBB6_5852
; %bb.5847:                             ;   in Loop: Header=BB6_5473 Depth=4
	v_and_b32_e32 v1, 0x7c, v0
	v_and_b32_e32 v2, 3, v0
	v_cmp_ne_u32_e32 vcc, s86, v1
                                        ; implicit-def: $vgpr1
	s_and_saveexec_b64 s[62:63], vcc
	s_xor_b64 s[34:35], exec, s[62:63]
	s_cbranch_execz .LBB6_5849
; %bb.5848:                             ;   in Loop: Header=BB6_5473 Depth=4
	v_ffbh_u32_e32 v6, v2
	v_min_u32_e32 v6, 32, v6
	v_mov_b32_e32 v1, v33
	v_subrev_u32_e32 v7, 29, v6
	v_bfe_u32 v5, v0, 2, 5
	v_lshlrev_b64 v[0:1], v7, v[0:1]
	v_cmp_eq_u32_e32 vcc, 0, v5
	v_and_b32_e32 v0, 3, v0
	v_sub_u32_e32 v1, 30, v6
	v_cndmask_b32_e32 v0, v2, v0, vcc
	v_lshlrev_b32_e32 v2, 16, v32
	v_cndmask_b32_e32 v1, v5, v1, vcc
	v_and_b32_e32 v2, 0x80000000, v2
	v_lshl_add_u32 v1, v1, 23, v2
	v_lshl_or_b32 v0, v0, 21, v1
	v_add_u32_e32 v1, 0x38000000, v0
                                        ; implicit-def: $vgpr2
.LBB6_5849:                             ;   in Loop: Header=BB6_5473 Depth=4
	s_andn2_saveexec_b64 s[34:35], s[34:35]
; %bb.5850:                             ;   in Loop: Header=BB6_5473 Depth=4
	v_cmp_lt_i16_e32 vcc, -1, v32
	v_mov_b32_e32 v0, 0xff800000
	v_mov_b32_e32 v1, 0x7f800000
	v_cndmask_b32_e32 v0, v0, v1, vcc
	v_cmp_eq_u32_e32 vcc, 0, v2
	v_mov_b32_e32 v1, 0x7f800001
	v_cndmask_b32_e32 v1, v1, v0, vcc
; %bb.5851:                             ;   in Loop: Header=BB6_5473 Depth=4
	s_or_b64 exec, exec, s[34:35]
.LBB6_5852:                             ;   in Loop: Header=BB6_5473 Depth=4
	s_or_b64 exec, exec, s[30:31]
.LBB6_5853:                             ;   in Loop: Header=BB6_5473 Depth=4
	s_or_b64 exec, exec, s[28:29]
	v_mul_f32_e32 v0, v12, v1
	v_and_b32_e32 v1, 0x7f800000, v0
	v_mov_b32_e32 v2, v33
	v_cmp_ne_u64_e32 vcc, s[76:77], v[1:2]
	v_and_b32_e32 v32, 0x7fffff, v0
                                        ; implicit-def: $vgpr1
                                        ; kill: killed $vgpr1
	s_and_saveexec_b64 s[28:29], vcc
	s_xor_b64 s[30:31], exec, s[28:29]
	s_cbranch_execz .LBB6_5867
; %bb.5854:                             ;   in Loop: Header=BB6_5473 Depth=4
	v_and_b32_e32 v1, 0x7fffffff, v0
	v_mov_b32_e32 v2, v33
	v_cmp_gt_u64_e32 vcc, s[78:79], v[1:2]
	v_and_b32_sdwa v5, v0, s97 dst_sel:DWORD dst_unused:UNUSED_PAD src0_sel:BYTE_3 src1_sel:DWORD
                                        ; implicit-def: $vgpr1
                                        ; kill: killed $vgpr1
	s_and_saveexec_b64 s[28:29], vcc
	s_xor_b64 s[34:35], exec, s[28:29]
	s_cbranch_execz .LBB6_5864
; %bb.5855:                             ;   in Loop: Header=BB6_5473 Depth=4
	v_mov_b32_e32 v1, 0
	v_cmp_ne_u32_e32 vcc, 0, v0
	buffer_store_dword v1, off, s[0:3], s33 offset:368 ; 4-byte Folded Spill
	s_and_saveexec_b64 s[36:37], vcc
	s_cbranch_execz .LBB6_5863
; %bb.5856:                             ;   in Loop: Header=BB6_5473 Depth=4
	v_bfe_u32 v6, v0, 23, 8
	v_cmp_gt_u32_e64 s[28:29], s47, v6
	v_sub_u32_e32 v0, 0x71, v6
	v_cmp_eq_u32_e32 vcc, 0, v6
	v_cndmask_b32_e64 v0, 0, v0, s[28:29]
	v_mov_b32_e32 v2, 0x70
	v_cndmask_b32_e32 v7, v0, v2, vcc
	v_add_u32_e32 v2, 21, v7
	v_or_b32_e32 v1, 0x800000, v32
	v_lshlrev_b64 v[8:9], v2, -1
	v_cndmask_b32_e32 v0, v1, v32, vcc
	v_mov_b32_e32 v1, v33
	v_add_u32_e32 v2, 20, v7
	v_bfi_b32 v8, v8, 0, v0
	v_lshlrev_b64 v[13:14], v2, 1
	v_lshrrev_b64 v[0:1], v7, v[0:1]
	v_bfi_b32 v9, v9, 0, 0
	v_cmp_eq_u64_e64 s[28:29], v[8:9], v[13:14]
	v_mov_b32_e32 v2, v1
	v_mov_b32_e32 v1, v0
	s_and_saveexec_b64 s[38:39], s[28:29]
; %bb.5857:                             ;   in Loop: Header=BB6_5473 Depth=4
	v_bfe_u32 v1, v0, 21, 1
	v_add_co_u32_e64 v1, s[28:29], v0, v1
	v_add_co_u32_e64 v1, s[28:29], -1, v1
; %bb.5858:                             ;   in Loop: Header=BB6_5473 Depth=4
	s_or_b64 exec, exec, s[38:39]
	v_add_u32_e32 v2, 0xffffff81, v6
	v_mov_b32_e32 v6, 0xffffff82
	v_cndmask_b32_e32 v2, v2, v6, vcc
	v_lshrrev_b32_e32 v6, 23, v0
	v_add3_u32 v7, v7, v2, v6
	v_add_u32_e32 v6, 14, v7
	v_and_b32_e32 v1, 0x1fffff, v1
	v_add_u32_e32 v32, v1, v0
	v_cmp_ne_u32_e32 vcc, 0, v6
                                        ; implicit-def: $vgpr0_vgpr1
                                        ; implicit-def: $vgpr2
	s_and_saveexec_b64 s[28:29], vcc
	s_xor_b64 s[28:29], exec, s[28:29]
; %bb.5859:                             ;   in Loop: Header=BB6_5473 Depth=4
	v_cmp_lt_u64_e32 vcc, s[88:89], v[32:33]
	v_add_u32_e32 v0, 15, v7
	v_cndmask_b32_e32 v2, v6, v0, vcc
	v_cndmask_b32_e64 v0, 0, 1, vcc
	v_lshrrev_b64 v[0:1], v0, v[32:33]
; %bb.5860:                             ;   in Loop: Header=BB6_5473 Depth=4
	s_andn2_saveexec_b64 s[28:29], s[28:29]
; %bb.5861:                             ;   in Loop: Header=BB6_5473 Depth=4
	v_mov_b32_e32 v0, v32
	v_mov_b32_e32 v1, v33
	v_bfe_u32 v2, v32, 23, 1
; %bb.5862:                             ;   in Loop: Header=BB6_5473 Depth=4
	s_or_b64 exec, exec, s[28:29]
	v_lshrrev_b64 v[0:1], 21, v[0:1]
	v_cmp_gt_i32_e32 vcc, 32, v2
	v_cndmask_b32_e32 v1, 0, v1, vcc
	v_cndmask_b32_e32 v0, 3, v0, vcc
	v_cmp_eq_u64_e64 s[28:29], 0, v[0:1]
	v_min_i32_e32 v1, 31, v2
	v_lshlrev_b32_e32 v1, 2, v1
	v_cmp_eq_u32_e32 vcc, 0, v2
	v_and_b32_e32 v1, 0xfc, v1
	v_and_or_b32 v0, v0, 3, v1
	s_and_b64 s[28:29], vcc, s[28:29]
	v_cndmask_b32_e64 v0, v0, 0, s[28:29]
	v_or_b32_e32 v0, v0, v5
	buffer_store_dword v0, off, s[0:3], s33 offset:368 ; 4-byte Folded Spill
.LBB6_5863:                             ;   in Loop: Header=BB6_5473 Depth=4
	s_or_b64 exec, exec, s[36:37]
                                        ; implicit-def: $vgpr5
.LBB6_5864:                             ;   in Loop: Header=BB6_5473 Depth=4
	s_andn2_saveexec_b64 s[28:29], s[34:35]
	s_cbranch_execz .LBB6_5866
; %bb.5865:                             ;   in Loop: Header=BB6_5473 Depth=4
	v_or_b32_e32 v0, 0x7b, v5
	buffer_store_dword v0, off, s[0:3], s33 offset:368 ; 4-byte Folded Spill
.LBB6_5866:                             ;   in Loop: Header=BB6_5473 Depth=4
	s_or_b64 exec, exec, s[28:29]
                                        ; implicit-def: $vgpr0
.LBB6_5867:                             ;   in Loop: Header=BB6_5473 Depth=4
	s_andn2_saveexec_b64 s[28:29], s[30:31]
	s_cbranch_execz .LBB6_5873
; %bb.5868:                             ;   in Loop: Header=BB6_5473 Depth=4
	v_cmp_ne_u64_e32 vcc, 0, v[32:33]
                                        ; implicit-def: $vgpr1
                                        ; kill: killed $vgpr1
	s_and_saveexec_b64 s[62:63], vcc
	s_xor_b64 vcc, exec, s[62:63]
	s_cbranch_execz .LBB6_5870
; %bb.5869:                             ;   in Loop: Header=BB6_5473 Depth=4
	v_or_b32_sdwa v0, v0, s44 dst_sel:DWORD dst_unused:UNUSED_PAD src0_sel:BYTE_3 src1_sel:DWORD
	buffer_store_dword v0, off, s[0:3], s33 offset:368 ; 4-byte Folded Spill
                                        ; implicit-def: $vgpr0
.LBB6_5870:                             ;   in Loop: Header=BB6_5473 Depth=4
	s_andn2_saveexec_b64 s[30:31], vcc
	s_cbranch_execz .LBB6_5872
; %bb.5871:                             ;   in Loop: Header=BB6_5473 Depth=4
	v_cmp_lt_i32_e32 vcc, -1, v0
	v_bfrev_b32_e32 v0, 0.5
	v_mov_b32_e32 v1, 0x7c
	v_cndmask_b32_e32 v0, v0, v1, vcc
	buffer_store_dword v0, off, s[0:3], s33 offset:368 ; 4-byte Folded Spill
.LBB6_5872:                             ;   in Loop: Header=BB6_5473 Depth=4
	s_or_b64 exec, exec, s[30:31]
.LBB6_5873:                             ;   in Loop: Header=BB6_5473 Depth=4
	s_or_b64 exec, exec, s[28:29]
	v_lshrrev_b32_e32 v0, 16, v11
	v_cmp_ne_u16_sdwa s[62:63], v0, v33 src0_sel:BYTE_0 src1_sel:DWORD
	v_mov_b32_e32 v1, 0
	s_and_saveexec_b64 s[28:29], s[62:63]
	s_cbranch_execz .LBB6_5881
; %bb.5874:                             ;   in Loop: Header=BB6_5473 Depth=4
	v_cmp_ne_u16_sdwa s[62:63], v0, s97 src0_sel:BYTE_0 src1_sel:DWORD
	v_bfrev_b32_e32 v1, 1
	s_and_saveexec_b64 s[30:31], s[62:63]
	s_cbranch_execz .LBB6_5880
; %bb.5875:                             ;   in Loop: Header=BB6_5473 Depth=4
	v_and_b32_e32 v1, 0x7c0000, v11
	v_bfe_u32 v2, v11, 16, 2
	v_cmp_ne_u32_e32 vcc, s45, v1
                                        ; implicit-def: $vgpr1
	s_and_saveexec_b64 s[62:63], vcc
	s_xor_b64 s[34:35], exec, s[62:63]
	s_cbranch_execz .LBB6_5877
; %bb.5876:                             ;   in Loop: Header=BB6_5473 Depth=4
	v_ffbh_u32_e32 v1, v2
	v_min_u32_e32 v6, 32, v1
	v_subrev_u32_e32 v1, 29, v6
	v_lshlrev_b64 v[0:1], v1, v[0:1]
	v_bfe_u32 v5, v11, 18, 5
	v_and_b32_e32 v0, 3, v0
	v_cmp_eq_u32_e32 vcc, 0, v5
	v_sub_u32_e32 v1, 30, v6
	v_cndmask_b32_e32 v0, v2, v0, vcc
	v_lshlrev_b32_e32 v2, 8, v11
	v_cndmask_b32_e32 v1, v5, v1, vcc
	v_and_b32_e32 v2, 0x80000000, v2
	v_lshl_add_u32 v1, v1, 23, v2
	v_lshl_or_b32 v0, v0, 21, v1
	v_add_u32_e32 v1, 0x38000000, v0
                                        ; implicit-def: $vgpr2
                                        ; implicit-def: $vgpr0
.LBB6_5877:                             ;   in Loop: Header=BB6_5473 Depth=4
	s_andn2_saveexec_b64 s[34:35], s[34:35]
; %bb.5878:                             ;   in Loop: Header=BB6_5473 Depth=4
	v_mov_b32_e32 v1, -1
	v_cmp_gt_i16_sdwa vcc, sext(v0), v1 src0_sel:BYTE_0 src1_sel:DWORD
	v_mov_b32_e32 v0, 0xff800000
	v_mov_b32_e32 v1, 0x7f800000
	v_cndmask_b32_e32 v0, v0, v1, vcc
	v_cmp_eq_u32_e32 vcc, 0, v2
	v_mov_b32_e32 v1, 0x7f800001
	v_cndmask_b32_e32 v1, v1, v0, vcc
; %bb.5879:                             ;   in Loop: Header=BB6_5473 Depth=4
	s_or_b64 exec, exec, s[34:35]
.LBB6_5880:                             ;   in Loop: Header=BB6_5473 Depth=4
	s_or_b64 exec, exec, s[30:31]
.LBB6_5881:                             ;   in Loop: Header=BB6_5473 Depth=4
	s_or_b64 exec, exec, s[28:29]
	v_mul_f32_e32 v0, v12, v1
	v_and_b32_e32 v1, 0x7f800000, v0
	v_mov_b32_e32 v2, v33
	v_cmp_ne_u64_e32 vcc, s[76:77], v[1:2]
	v_and_b32_e32 v32, 0x7fffff, v0
                                        ; implicit-def: $vgpr1
                                        ; kill: killed $vgpr1
	s_and_saveexec_b64 s[28:29], vcc
	s_xor_b64 s[30:31], exec, s[28:29]
	s_cbranch_execz .LBB6_5895
; %bb.5882:                             ;   in Loop: Header=BB6_5473 Depth=4
	v_and_b32_e32 v1, 0x7fffffff, v0
	v_mov_b32_e32 v2, v33
	v_cmp_gt_u64_e32 vcc, s[78:79], v[1:2]
	v_and_b32_sdwa v5, v0, s97 dst_sel:DWORD dst_unused:UNUSED_PAD src0_sel:BYTE_3 src1_sel:DWORD
                                        ; implicit-def: $vgpr1
                                        ; kill: killed $vgpr1
	s_and_saveexec_b64 s[28:29], vcc
	s_xor_b64 s[34:35], exec, s[28:29]
	s_cbranch_execz .LBB6_5892
; %bb.5883:                             ;   in Loop: Header=BB6_5473 Depth=4
	v_mov_b32_e32 v1, 0
	v_cmp_ne_u32_e32 vcc, 0, v0
	buffer_store_dword v1, off, s[0:3], s33 offset:376 ; 4-byte Folded Spill
	s_and_saveexec_b64 s[36:37], vcc
	s_cbranch_execz .LBB6_5891
; %bb.5884:                             ;   in Loop: Header=BB6_5473 Depth=4
	v_bfe_u32 v6, v0, 23, 8
	v_cmp_gt_u32_e64 s[28:29], s47, v6
	v_sub_u32_e32 v0, 0x71, v6
	v_cmp_eq_u32_e32 vcc, 0, v6
	v_cndmask_b32_e64 v0, 0, v0, s[28:29]
	v_mov_b32_e32 v2, 0x70
	v_cndmask_b32_e32 v7, v0, v2, vcc
	v_add_u32_e32 v2, 21, v7
	v_or_b32_e32 v1, 0x800000, v32
	v_lshlrev_b64 v[8:9], v2, -1
	v_cndmask_b32_e32 v0, v1, v32, vcc
	v_mov_b32_e32 v1, v33
	v_add_u32_e32 v2, 20, v7
	v_bfi_b32 v8, v8, 0, v0
	v_lshlrev_b64 v[13:14], v2, 1
	v_lshrrev_b64 v[0:1], v7, v[0:1]
	v_bfi_b32 v9, v9, 0, 0
	v_cmp_eq_u64_e64 s[28:29], v[8:9], v[13:14]
	v_mov_b32_e32 v2, v1
	v_mov_b32_e32 v1, v0
	s_and_saveexec_b64 s[38:39], s[28:29]
; %bb.5885:                             ;   in Loop: Header=BB6_5473 Depth=4
	v_bfe_u32 v1, v0, 21, 1
	v_add_co_u32_e64 v1, s[28:29], v0, v1
	v_add_co_u32_e64 v1, s[28:29], -1, v1
; %bb.5886:                             ;   in Loop: Header=BB6_5473 Depth=4
	s_or_b64 exec, exec, s[38:39]
	v_add_u32_e32 v2, 0xffffff81, v6
	v_mov_b32_e32 v6, 0xffffff82
	v_cndmask_b32_e32 v2, v2, v6, vcc
	v_lshrrev_b32_e32 v6, 23, v0
	v_add3_u32 v7, v7, v2, v6
	v_add_u32_e32 v6, 14, v7
	v_and_b32_e32 v1, 0x1fffff, v1
	v_add_u32_e32 v32, v1, v0
	v_cmp_ne_u32_e32 vcc, 0, v6
                                        ; implicit-def: $vgpr0_vgpr1
                                        ; implicit-def: $vgpr2
	s_and_saveexec_b64 s[28:29], vcc
	s_xor_b64 s[28:29], exec, s[28:29]
; %bb.5887:                             ;   in Loop: Header=BB6_5473 Depth=4
	v_cmp_lt_u64_e32 vcc, s[88:89], v[32:33]
	v_add_u32_e32 v0, 15, v7
	v_cndmask_b32_e32 v2, v6, v0, vcc
	v_cndmask_b32_e64 v0, 0, 1, vcc
	v_lshrrev_b64 v[0:1], v0, v[32:33]
; %bb.5888:                             ;   in Loop: Header=BB6_5473 Depth=4
	s_andn2_saveexec_b64 s[28:29], s[28:29]
; %bb.5889:                             ;   in Loop: Header=BB6_5473 Depth=4
	v_mov_b32_e32 v0, v32
	v_mov_b32_e32 v1, v33
	v_bfe_u32 v2, v32, 23, 1
; %bb.5890:                             ;   in Loop: Header=BB6_5473 Depth=4
	s_or_b64 exec, exec, s[28:29]
	v_lshrrev_b64 v[0:1], 21, v[0:1]
	v_cmp_gt_i32_e32 vcc, 32, v2
	v_cndmask_b32_e32 v1, 0, v1, vcc
	v_cndmask_b32_e32 v0, 3, v0, vcc
	v_cmp_eq_u64_e64 s[28:29], 0, v[0:1]
	v_min_i32_e32 v1, 31, v2
	v_lshlrev_b32_e32 v1, 2, v1
	v_cmp_eq_u32_e32 vcc, 0, v2
	v_and_b32_e32 v1, 0xfc, v1
	v_and_or_b32 v0, v0, 3, v1
	s_and_b64 s[28:29], vcc, s[28:29]
	v_cndmask_b32_e64 v0, v0, 0, s[28:29]
	v_or_b32_e32 v0, v0, v5
	buffer_store_dword v0, off, s[0:3], s33 offset:376 ; 4-byte Folded Spill
.LBB6_5891:                             ;   in Loop: Header=BB6_5473 Depth=4
	s_or_b64 exec, exec, s[36:37]
                                        ; implicit-def: $vgpr5
.LBB6_5892:                             ;   in Loop: Header=BB6_5473 Depth=4
	s_andn2_saveexec_b64 s[28:29], s[34:35]
	s_cbranch_execz .LBB6_5894
; %bb.5893:                             ;   in Loop: Header=BB6_5473 Depth=4
	v_or_b32_e32 v0, 0x7b, v5
	buffer_store_dword v0, off, s[0:3], s33 offset:376 ; 4-byte Folded Spill
.LBB6_5894:                             ;   in Loop: Header=BB6_5473 Depth=4
	s_or_b64 exec, exec, s[28:29]
                                        ; implicit-def: $vgpr0
.LBB6_5895:                             ;   in Loop: Header=BB6_5473 Depth=4
	s_andn2_saveexec_b64 s[28:29], s[30:31]
	s_cbranch_execz .LBB6_5901
; %bb.5896:                             ;   in Loop: Header=BB6_5473 Depth=4
	v_cmp_ne_u64_e32 vcc, 0, v[32:33]
                                        ; implicit-def: $vgpr1
                                        ; kill: killed $vgpr1
	s_and_saveexec_b64 s[62:63], vcc
	s_xor_b64 vcc, exec, s[62:63]
	s_cbranch_execz .LBB6_5898
; %bb.5897:                             ;   in Loop: Header=BB6_5473 Depth=4
	v_or_b32_sdwa v0, v0, s44 dst_sel:DWORD dst_unused:UNUSED_PAD src0_sel:BYTE_3 src1_sel:DWORD
	buffer_store_dword v0, off, s[0:3], s33 offset:376 ; 4-byte Folded Spill
                                        ; implicit-def: $vgpr0
.LBB6_5898:                             ;   in Loop: Header=BB6_5473 Depth=4
	s_andn2_saveexec_b64 s[30:31], vcc
	s_cbranch_execz .LBB6_5900
; %bb.5899:                             ;   in Loop: Header=BB6_5473 Depth=4
	v_cmp_lt_i32_e32 vcc, -1, v0
	v_bfrev_b32_e32 v0, 0.5
	v_mov_b32_e32 v1, 0x7c
	v_cndmask_b32_e32 v0, v0, v1, vcc
	buffer_store_dword v0, off, s[0:3], s33 offset:376 ; 4-byte Folded Spill
.LBB6_5900:                             ;   in Loop: Header=BB6_5473 Depth=4
	s_or_b64 exec, exec, s[30:31]
.LBB6_5901:                             ;   in Loop: Header=BB6_5473 Depth=4
	s_or_b64 exec, exec, s[28:29]
	v_cmp_lt_u64_e32 vcc, s[56:57], v[10:11]
	v_mov_b32_e32 v1, 0
	s_and_saveexec_b64 s[28:29], vcc
	s_cbranch_execz .LBB6_5909
; %bb.5902:                             ;   in Loop: Header=BB6_5473 Depth=4
	v_lshrrev_b32_e32 v0, 24, v11
	v_cmp_ne_u32_e32 vcc, s97, v0
	v_bfrev_b32_e32 v1, 1
	s_and_saveexec_b64 s[30:31], vcc
	s_cbranch_execz .LBB6_5908
; %bb.5903:                             ;   in Loop: Header=BB6_5473 Depth=4
	v_and_b32_e32 v1, 0x7c000000, v11
	v_bfe_u32 v2, v11, 24, 2
	v_cmp_ne_u32_e32 vcc, s68, v1
                                        ; implicit-def: $vgpr1
	s_and_saveexec_b64 s[62:63], vcc
	s_xor_b64 s[34:35], exec, s[62:63]
	s_cbranch_execz .LBB6_5905
; %bb.5904:                             ;   in Loop: Header=BB6_5473 Depth=4
	v_ffbh_u32_e32 v1, v2
	v_min_u32_e32 v6, 32, v1
	v_subrev_u32_e32 v1, 29, v6
	v_lshlrev_b64 v[0:1], v1, v[0:1]
	v_bfe_u32 v5, v11, 26, 5
	v_sub_u32_e32 v1, 30, v6
	v_and_b32_e32 v0, 3, v0
	v_cmp_eq_u32_e32 vcc, 0, v5
	v_cndmask_b32_e32 v1, v5, v1, vcc
	v_cndmask_b32_e32 v0, v2, v0, vcc
	v_and_b32_e32 v2, 0x80000000, v11
	v_lshl_add_u32 v1, v1, 23, v2
	v_lshl_or_b32 v0, v0, 21, v1
	v_add_u32_e32 v1, 0x38000000, v0
                                        ; implicit-def: $vgpr2
                                        ; implicit-def: $vgpr10_vgpr11
.LBB6_5905:                             ;   in Loop: Header=BB6_5473 Depth=4
	s_andn2_saveexec_b64 s[34:35], s[34:35]
; %bb.5906:                             ;   in Loop: Header=BB6_5473 Depth=4
	v_cmp_lt_i64_e32 vcc, -1, v[10:11]
	v_mov_b32_e32 v0, 0xff800000
	v_mov_b32_e32 v1, 0x7f800000
	v_cndmask_b32_e32 v0, v0, v1, vcc
	v_cmp_eq_u32_e32 vcc, 0, v2
	v_mov_b32_e32 v1, 0x7f800001
	v_cndmask_b32_e32 v1, v1, v0, vcc
; %bb.5907:                             ;   in Loop: Header=BB6_5473 Depth=4
	s_or_b64 exec, exec, s[34:35]
.LBB6_5908:                             ;   in Loop: Header=BB6_5473 Depth=4
	s_or_b64 exec, exec, s[30:31]
.LBB6_5909:                             ;   in Loop: Header=BB6_5473 Depth=4
	s_or_b64 exec, exec, s[28:29]
	v_mul_f32_e32 v0, v12, v1
	v_and_b32_e32 v1, 0x7f800000, v0
	v_mov_b32_e32 v2, v33
	v_cmp_ne_u64_e32 vcc, s[76:77], v[1:2]
	v_and_b32_e32 v32, 0x7fffff, v0
                                        ; implicit-def: $vgpr35
	s_and_saveexec_b64 s[28:29], vcc
	s_xor_b64 s[30:31], exec, s[28:29]
	s_cbranch_execz .LBB6_5923
; %bb.5910:                             ;   in Loop: Header=BB6_5473 Depth=4
	v_and_b32_e32 v1, 0x7fffffff, v0
	v_mov_b32_e32 v2, v33
	v_cmp_gt_u64_e32 vcc, s[78:79], v[1:2]
	v_and_b32_sdwa v5, v0, s97 dst_sel:DWORD dst_unused:UNUSED_PAD src0_sel:BYTE_3 src1_sel:DWORD
                                        ; implicit-def: $vgpr35
	s_and_saveexec_b64 s[28:29], vcc
	s_xor_b64 s[34:35], exec, s[28:29]
	s_cbranch_execz .LBB6_5920
; %bb.5911:                             ;   in Loop: Header=BB6_5473 Depth=4
	v_mov_b32_e32 v35, 0
	v_cmp_ne_u32_e32 vcc, 0, v0
	s_and_saveexec_b64 s[36:37], vcc
	s_cbranch_execz .LBB6_5919
; %bb.5912:                             ;   in Loop: Header=BB6_5473 Depth=4
	v_bfe_u32 v6, v0, 23, 8
	v_cmp_gt_u32_e64 s[28:29], s47, v6
	v_sub_u32_e32 v0, 0x71, v6
	v_cmp_eq_u32_e32 vcc, 0, v6
	v_cndmask_b32_e64 v0, 0, v0, s[28:29]
	v_mov_b32_e32 v2, 0x70
	v_cndmask_b32_e32 v7, v0, v2, vcc
	v_add_u32_e32 v2, 21, v7
	v_or_b32_e32 v1, 0x800000, v32
	v_lshlrev_b64 v[8:9], v2, -1
	v_cndmask_b32_e32 v0, v1, v32, vcc
	v_mov_b32_e32 v1, v33
	v_add_u32_e32 v2, 20, v7
	v_bfi_b32 v8, v8, 0, v0
	v_lshlrev_b64 v[10:11], v2, 1
	v_lshrrev_b64 v[0:1], v7, v[0:1]
	v_bfi_b32 v9, v9, 0, 0
	v_cmp_eq_u64_e64 s[28:29], v[8:9], v[10:11]
	v_mov_b32_e32 v2, v1
	v_mov_b32_e32 v1, v0
	s_and_saveexec_b64 s[38:39], s[28:29]
; %bb.5913:                             ;   in Loop: Header=BB6_5473 Depth=4
	v_bfe_u32 v1, v0, 21, 1
	v_add_co_u32_e64 v1, s[28:29], v0, v1
	v_add_co_u32_e64 v1, s[28:29], -1, v1
; %bb.5914:                             ;   in Loop: Header=BB6_5473 Depth=4
	s_or_b64 exec, exec, s[38:39]
	v_add_u32_e32 v2, 0xffffff81, v6
	v_mov_b32_e32 v6, 0xffffff82
	v_cndmask_b32_e32 v2, v2, v6, vcc
	v_lshrrev_b32_e32 v6, 23, v0
	v_add3_u32 v7, v7, v2, v6
	v_add_u32_e32 v6, 14, v7
	v_and_b32_e32 v1, 0x1fffff, v1
	v_add_u32_e32 v32, v1, v0
	v_cmp_ne_u32_e32 vcc, 0, v6
                                        ; implicit-def: $vgpr0_vgpr1
                                        ; implicit-def: $vgpr2
	s_and_saveexec_b64 s[28:29], vcc
	s_xor_b64 s[28:29], exec, s[28:29]
; %bb.5915:                             ;   in Loop: Header=BB6_5473 Depth=4
	v_cmp_lt_u64_e32 vcc, s[88:89], v[32:33]
	v_add_u32_e32 v0, 15, v7
	v_cndmask_b32_e32 v2, v6, v0, vcc
	v_cndmask_b32_e64 v0, 0, 1, vcc
	v_lshrrev_b64 v[0:1], v0, v[32:33]
; %bb.5916:                             ;   in Loop: Header=BB6_5473 Depth=4
	s_andn2_saveexec_b64 s[28:29], s[28:29]
; %bb.5917:                             ;   in Loop: Header=BB6_5473 Depth=4
	v_mov_b32_e32 v0, v32
	v_mov_b32_e32 v1, v33
	v_bfe_u32 v2, v32, 23, 1
; %bb.5918:                             ;   in Loop: Header=BB6_5473 Depth=4
	s_or_b64 exec, exec, s[28:29]
	v_lshrrev_b64 v[0:1], 21, v[0:1]
	v_cmp_gt_i32_e32 vcc, 32, v2
	v_cndmask_b32_e32 v1, 0, v1, vcc
	v_cndmask_b32_e32 v0, 3, v0, vcc
	v_cmp_eq_u64_e64 s[28:29], 0, v[0:1]
	v_min_i32_e32 v1, 31, v2
	v_lshlrev_b32_e32 v1, 2, v1
	v_cmp_eq_u32_e32 vcc, 0, v2
	v_and_b32_e32 v1, 0xfc, v1
	v_and_or_b32 v0, v0, 3, v1
	s_and_b64 s[28:29], vcc, s[28:29]
	v_cndmask_b32_e64 v0, v0, 0, s[28:29]
	v_or_b32_e32 v35, v0, v5
.LBB6_5919:                             ;   in Loop: Header=BB6_5473 Depth=4
	s_or_b64 exec, exec, s[36:37]
                                        ; implicit-def: $vgpr5
.LBB6_5920:                             ;   in Loop: Header=BB6_5473 Depth=4
	s_andn2_saveexec_b64 s[28:29], s[34:35]
; %bb.5921:                             ;   in Loop: Header=BB6_5473 Depth=4
	v_or_b32_e32 v35, 0x7b, v5
; %bb.5922:                             ;   in Loop: Header=BB6_5473 Depth=4
	s_or_b64 exec, exec, s[28:29]
                                        ; implicit-def: $vgpr0
.LBB6_5923:                             ;   in Loop: Header=BB6_5473 Depth=4
	s_andn2_saveexec_b64 s[28:29], s[30:31]
	s_cbranch_execz .LBB6_5929
; %bb.5924:                             ;   in Loop: Header=BB6_5473 Depth=4
	v_cmp_ne_u64_e32 vcc, 0, v[32:33]
                                        ; implicit-def: $vgpr35
	s_and_saveexec_b64 s[62:63], vcc
	s_xor_b64 vcc, exec, s[62:63]
; %bb.5925:                             ;   in Loop: Header=BB6_5473 Depth=4
	v_or_b32_sdwa v35, v0, s44 dst_sel:DWORD dst_unused:UNUSED_PAD src0_sel:BYTE_3 src1_sel:DWORD
                                        ; implicit-def: $vgpr0
; %bb.5926:                             ;   in Loop: Header=BB6_5473 Depth=4
	s_andn2_saveexec_b64 s[30:31], vcc
; %bb.5927:                             ;   in Loop: Header=BB6_5473 Depth=4
	v_cmp_lt_i32_e32 vcc, -1, v0
	v_bfrev_b32_e32 v0, 0.5
	v_mov_b32_e32 v1, 0x7c
	v_cndmask_b32_e32 v35, v0, v1, vcc
; %bb.5928:                             ;   in Loop: Header=BB6_5473 Depth=4
	s_or_b64 exec, exec, s[30:31]
.LBB6_5929:                             ;   in Loop: Header=BB6_5473 Depth=4
	s_or_b64 exec, exec, s[28:29]
	global_load_dwordx4 v[8:11], v[26:27], off offset:1024 glc slc
	v_mov_b32_e32 v0, 0
	s_waitcnt vmcnt(0)
	v_cmp_ne_u16_sdwa s[62:63], v8, v33 src0_sel:BYTE_0 src1_sel:DWORD
	s_and_saveexec_b64 s[28:29], s[62:63]
	s_cbranch_execz .LBB6_5937
; %bb.5930:                             ;   in Loop: Header=BB6_5473 Depth=4
	v_cmp_ne_u16_sdwa s[62:63], sext(v8), s46 src0_sel:BYTE_0 src1_sel:DWORD
	v_bfrev_b32_e32 v0, 1
	s_and_saveexec_b64 s[30:31], s[62:63]
	s_cbranch_execz .LBB6_5936
; %bb.5931:                             ;   in Loop: Header=BB6_5473 Depth=4
	v_and_b32_e32 v0, 0x7c, v8
	v_and_b32_e32 v1, 3, v8
	v_cmp_ne_u32_e32 vcc, s86, v0
                                        ; implicit-def: $vgpr0
	s_and_saveexec_b64 s[62:63], vcc
	s_xor_b64 s[34:35], exec, s[62:63]
	s_cbranch_execz .LBB6_5933
; %bb.5932:                             ;   in Loop: Header=BB6_5473 Depth=4
	v_ffbh_u32_e32 v2, v1
	v_min_u32_e32 v2, 32, v2
	v_bfe_u32 v0, v8, 2, 5
	v_subrev_u32_e32 v5, 29, v2
	v_lshlrev_b64 v[5:6], v5, v[8:9]
	v_sub_u32_e32 v2, 30, v2
	v_cmp_eq_u32_e32 vcc, 0, v0
	v_cndmask_b32_e32 v0, v0, v2, vcc
	v_lshlrev_b32_e32 v2, 24, v8
	v_and_b32_e32 v5, 3, v5
	v_and_b32_e32 v2, 0x80000000, v2
	v_cndmask_b32_e32 v1, v1, v5, vcc
	v_lshl_add_u32 v0, v0, 23, v2
	v_lshl_or_b32 v0, v1, 21, v0
	v_add_u32_e32 v0, 0x38000000, v0
                                        ; implicit-def: $vgpr1
.LBB6_5933:                             ;   in Loop: Header=BB6_5473 Depth=4
	s_andn2_saveexec_b64 s[34:35], s[34:35]
; %bb.5934:                             ;   in Loop: Header=BB6_5473 Depth=4
	v_mov_b32_e32 v0, -1
	v_cmp_gt_i16_sdwa vcc, sext(v8), v0 src0_sel:BYTE_0 src1_sel:DWORD
	v_mov_b32_e32 v0, 0xff800000
	v_mov_b32_e32 v2, 0x7f800000
	v_cndmask_b32_e32 v0, v0, v2, vcc
	v_cmp_eq_u32_e32 vcc, 0, v1
	v_mov_b32_e32 v1, 0x7f800001
	v_cndmask_b32_e32 v0, v1, v0, vcc
; %bb.5935:                             ;   in Loop: Header=BB6_5473 Depth=4
	s_or_b64 exec, exec, s[34:35]
.LBB6_5936:                             ;   in Loop: Header=BB6_5473 Depth=4
	s_or_b64 exec, exec, s[30:31]
.LBB6_5937:                             ;   in Loop: Header=BB6_5473 Depth=4
	s_or_b64 exec, exec, s[28:29]
	v_mul_f32_e32 v0, v12, v0
	v_and_b32_e32 v1, 0x7f800000, v0
	v_mov_b32_e32 v2, v33
	v_cmp_ne_u64_e32 vcc, s[76:77], v[1:2]
	v_and_b32_e32 v32, 0x7fffff, v0
                                        ; implicit-def: $vgpr53
	s_and_saveexec_b64 s[28:29], vcc
	s_xor_b64 s[30:31], exec, s[28:29]
	s_cbranch_execz .LBB6_5951
; %bb.5938:                             ;   in Loop: Header=BB6_5473 Depth=4
	v_and_b32_e32 v1, 0x7fffffff, v0
	v_mov_b32_e32 v2, v33
	v_cmp_gt_u64_e32 vcc, s[78:79], v[1:2]
	v_and_b32_sdwa v5, v0, s97 dst_sel:DWORD dst_unused:UNUSED_PAD src0_sel:BYTE_3 src1_sel:DWORD
                                        ; implicit-def: $vgpr53
	s_and_saveexec_b64 s[28:29], vcc
	s_xor_b64 s[34:35], exec, s[28:29]
	s_cbranch_execz .LBB6_5948
; %bb.5939:                             ;   in Loop: Header=BB6_5473 Depth=4
	v_mov_b32_e32 v53, 0
	v_cmp_ne_u32_e32 vcc, 0, v0
	s_and_saveexec_b64 s[36:37], vcc
	s_cbranch_execz .LBB6_5947
; %bb.5940:                             ;   in Loop: Header=BB6_5473 Depth=4
	v_bfe_u32 v6, v0, 23, 8
	v_cmp_gt_u32_e64 s[28:29], s47, v6
	v_sub_u32_e32 v0, 0x71, v6
	v_cmp_eq_u32_e32 vcc, 0, v6
	v_cndmask_b32_e64 v0, 0, v0, s[28:29]
	v_mov_b32_e32 v2, 0x70
	v_cndmask_b32_e32 v7, v0, v2, vcc
	v_add_u32_e32 v2, 21, v7
	v_or_b32_e32 v1, 0x800000, v32
	v_lshlrev_b64 v[13:14], v2, -1
	v_cndmask_b32_e32 v0, v1, v32, vcc
	v_mov_b32_e32 v1, v33
	v_add_u32_e32 v2, 20, v7
	v_bfi_b32 v13, v13, 0, v0
	v_lshlrev_b64 v[15:16], v2, 1
	v_lshrrev_b64 v[0:1], v7, v[0:1]
	v_bfi_b32 v14, v14, 0, 0
	v_cmp_eq_u64_e64 s[28:29], v[13:14], v[15:16]
	v_mov_b32_e32 v2, v1
	v_mov_b32_e32 v1, v0
	s_and_saveexec_b64 s[38:39], s[28:29]
; %bb.5941:                             ;   in Loop: Header=BB6_5473 Depth=4
	v_bfe_u32 v1, v0, 21, 1
	v_add_co_u32_e64 v1, s[28:29], v0, v1
	v_add_co_u32_e64 v1, s[28:29], -1, v1
; %bb.5942:                             ;   in Loop: Header=BB6_5473 Depth=4
	s_or_b64 exec, exec, s[38:39]
	v_add_u32_e32 v2, 0xffffff81, v6
	v_mov_b32_e32 v6, 0xffffff82
	v_cndmask_b32_e32 v2, v2, v6, vcc
	v_lshrrev_b32_e32 v6, 23, v0
	v_add3_u32 v7, v7, v2, v6
	v_add_u32_e32 v6, 14, v7
	v_and_b32_e32 v1, 0x1fffff, v1
	v_add_u32_e32 v32, v1, v0
	v_cmp_ne_u32_e32 vcc, 0, v6
                                        ; implicit-def: $vgpr0_vgpr1
                                        ; implicit-def: $vgpr2
	s_and_saveexec_b64 s[28:29], vcc
	s_xor_b64 s[28:29], exec, s[28:29]
; %bb.5943:                             ;   in Loop: Header=BB6_5473 Depth=4
	v_cmp_lt_u64_e32 vcc, s[88:89], v[32:33]
	v_add_u32_e32 v0, 15, v7
	v_cndmask_b32_e32 v2, v6, v0, vcc
	v_cndmask_b32_e64 v0, 0, 1, vcc
	v_lshrrev_b64 v[0:1], v0, v[32:33]
; %bb.5944:                             ;   in Loop: Header=BB6_5473 Depth=4
	s_andn2_saveexec_b64 s[28:29], s[28:29]
; %bb.5945:                             ;   in Loop: Header=BB6_5473 Depth=4
	v_mov_b32_e32 v0, v32
	v_mov_b32_e32 v1, v33
	v_bfe_u32 v2, v32, 23, 1
; %bb.5946:                             ;   in Loop: Header=BB6_5473 Depth=4
	s_or_b64 exec, exec, s[28:29]
	v_lshrrev_b64 v[0:1], 21, v[0:1]
	v_cmp_gt_i32_e32 vcc, 32, v2
	v_cndmask_b32_e32 v1, 0, v1, vcc
	v_cndmask_b32_e32 v0, 3, v0, vcc
	v_cmp_eq_u64_e64 s[28:29], 0, v[0:1]
	v_min_i32_e32 v1, 31, v2
	v_lshlrev_b32_e32 v1, 2, v1
	v_cmp_eq_u32_e32 vcc, 0, v2
	v_and_b32_e32 v1, 0xfc, v1
	v_and_or_b32 v0, v0, 3, v1
	s_and_b64 s[28:29], vcc, s[28:29]
	v_cndmask_b32_e64 v0, v0, 0, s[28:29]
	v_or_b32_e32 v53, v0, v5
.LBB6_5947:                             ;   in Loop: Header=BB6_5473 Depth=4
	s_or_b64 exec, exec, s[36:37]
                                        ; implicit-def: $vgpr5
.LBB6_5948:                             ;   in Loop: Header=BB6_5473 Depth=4
	s_andn2_saveexec_b64 s[28:29], s[34:35]
; %bb.5949:                             ;   in Loop: Header=BB6_5473 Depth=4
	v_or_b32_e32 v53, 0x7b, v5
; %bb.5950:                             ;   in Loop: Header=BB6_5473 Depth=4
	s_or_b64 exec, exec, s[28:29]
                                        ; implicit-def: $vgpr0
.LBB6_5951:                             ;   in Loop: Header=BB6_5473 Depth=4
	s_andn2_saveexec_b64 s[28:29], s[30:31]
	s_cbranch_execz .LBB6_5957
; %bb.5952:                             ;   in Loop: Header=BB6_5473 Depth=4
	v_cmp_ne_u64_e32 vcc, 0, v[32:33]
                                        ; implicit-def: $vgpr53
	s_and_saveexec_b64 s[62:63], vcc
	s_xor_b64 vcc, exec, s[62:63]
; %bb.5953:                             ;   in Loop: Header=BB6_5473 Depth=4
	v_or_b32_sdwa v53, v0, s44 dst_sel:DWORD dst_unused:UNUSED_PAD src0_sel:BYTE_3 src1_sel:DWORD
                                        ; implicit-def: $vgpr0
; %bb.5954:                             ;   in Loop: Header=BB6_5473 Depth=4
	s_andn2_saveexec_b64 s[30:31], vcc
; %bb.5955:                             ;   in Loop: Header=BB6_5473 Depth=4
	v_cmp_lt_i32_e32 vcc, -1, v0
	v_bfrev_b32_e32 v0, 0.5
	v_mov_b32_e32 v1, 0x7c
	v_cndmask_b32_e32 v53, v0, v1, vcc
; %bb.5956:                             ;   in Loop: Header=BB6_5473 Depth=4
	s_or_b64 exec, exec, s[30:31]
.LBB6_5957:                             ;   in Loop: Header=BB6_5473 Depth=4
	s_or_b64 exec, exec, s[28:29]
	v_lshrrev_b16_e32 v0, 8, v8
	v_cmp_ne_u16_e32 vcc, 0, v0
	v_mov_b32_e32 v1, 0
	s_and_saveexec_b64 s[28:29], vcc
	s_cbranch_execz .LBB6_5965
; %bb.5958:                             ;   in Loop: Header=BB6_5473 Depth=4
	v_cmp_ne_u16_e32 vcc, s97, v0
	v_bfrev_b32_e32 v1, 1
	s_and_saveexec_b64 s[30:31], vcc
	s_cbranch_execz .LBB6_5964
; %bb.5959:                             ;   in Loop: Header=BB6_5473 Depth=4
	v_and_b32_e32 v1, 0x7c, v0
	v_and_b32_e32 v2, 3, v0
	v_cmp_ne_u32_e32 vcc, s86, v1
                                        ; implicit-def: $vgpr1
	s_and_saveexec_b64 s[62:63], vcc
	s_xor_b64 s[34:35], exec, s[62:63]
	s_cbranch_execz .LBB6_5961
; %bb.5960:                             ;   in Loop: Header=BB6_5473 Depth=4
	v_ffbh_u32_e32 v6, v2
	v_min_u32_e32 v6, 32, v6
	v_mov_b32_e32 v1, v33
	v_subrev_u32_e32 v7, 29, v6
	v_bfe_u32 v5, v0, 2, 5
	v_lshlrev_b64 v[0:1], v7, v[0:1]
	v_cmp_eq_u32_e32 vcc, 0, v5
	v_and_b32_e32 v0, 3, v0
	v_sub_u32_e32 v1, 30, v6
	v_cndmask_b32_e32 v0, v2, v0, vcc
	v_lshlrev_b32_e32 v2, 16, v8
	v_cndmask_b32_e32 v1, v5, v1, vcc
	v_and_b32_e32 v2, 0x80000000, v2
	v_lshl_add_u32 v1, v1, 23, v2
	v_lshl_or_b32 v0, v0, 21, v1
	v_add_u32_e32 v1, 0x38000000, v0
                                        ; implicit-def: $vgpr2
.LBB6_5961:                             ;   in Loop: Header=BB6_5473 Depth=4
	s_andn2_saveexec_b64 s[34:35], s[34:35]
; %bb.5962:                             ;   in Loop: Header=BB6_5473 Depth=4
	v_cmp_lt_i16_e32 vcc, -1, v8
	v_mov_b32_e32 v0, 0xff800000
	v_mov_b32_e32 v1, 0x7f800000
	v_cndmask_b32_e32 v0, v0, v1, vcc
	v_cmp_eq_u32_e32 vcc, 0, v2
	v_mov_b32_e32 v1, 0x7f800001
	v_cndmask_b32_e32 v1, v1, v0, vcc
; %bb.5963:                             ;   in Loop: Header=BB6_5473 Depth=4
	s_or_b64 exec, exec, s[34:35]
.LBB6_5964:                             ;   in Loop: Header=BB6_5473 Depth=4
	s_or_b64 exec, exec, s[30:31]
.LBB6_5965:                             ;   in Loop: Header=BB6_5473 Depth=4
	s_or_b64 exec, exec, s[28:29]
	v_mul_f32_e32 v0, v12, v1
	v_and_b32_e32 v1, 0x7f800000, v0
	v_mov_b32_e32 v2, v33
	v_cmp_ne_u64_e32 vcc, s[76:77], v[1:2]
	v_and_b32_e32 v32, 0x7fffff, v0
                                        ; implicit-def: $vgpr1
                                        ; kill: killed $vgpr1
	s_and_saveexec_b64 s[28:29], vcc
	s_xor_b64 s[30:31], exec, s[28:29]
	s_cbranch_execz .LBB6_5979
; %bb.5966:                             ;   in Loop: Header=BB6_5473 Depth=4
	v_and_b32_e32 v1, 0x7fffffff, v0
	v_mov_b32_e32 v2, v33
	v_cmp_gt_u64_e32 vcc, s[78:79], v[1:2]
	v_and_b32_sdwa v5, v0, s97 dst_sel:DWORD dst_unused:UNUSED_PAD src0_sel:BYTE_3 src1_sel:DWORD
                                        ; implicit-def: $vgpr1
                                        ; kill: killed $vgpr1
	s_and_saveexec_b64 s[28:29], vcc
	s_xor_b64 s[34:35], exec, s[28:29]
	s_cbranch_execz .LBB6_5976
; %bb.5967:                             ;   in Loop: Header=BB6_5473 Depth=4
	v_mov_b32_e32 v1, 0
	v_cmp_ne_u32_e32 vcc, 0, v0
	buffer_store_dword v1, off, s[0:3], s33 offset:352 ; 4-byte Folded Spill
	s_and_saveexec_b64 s[36:37], vcc
	s_cbranch_execz .LBB6_5975
; %bb.5968:                             ;   in Loop: Header=BB6_5473 Depth=4
	v_bfe_u32 v6, v0, 23, 8
	v_cmp_gt_u32_e64 s[28:29], s47, v6
	v_sub_u32_e32 v0, 0x71, v6
	v_cmp_eq_u32_e32 vcc, 0, v6
	v_cndmask_b32_e64 v0, 0, v0, s[28:29]
	v_mov_b32_e32 v2, 0x70
	v_cndmask_b32_e32 v7, v0, v2, vcc
	v_add_u32_e32 v2, 21, v7
	v_or_b32_e32 v1, 0x800000, v32
	v_lshlrev_b64 v[13:14], v2, -1
	v_cndmask_b32_e32 v0, v1, v32, vcc
	v_mov_b32_e32 v1, v33
	v_add_u32_e32 v2, 20, v7
	v_bfi_b32 v13, v13, 0, v0
	v_lshlrev_b64 v[15:16], v2, 1
	v_lshrrev_b64 v[0:1], v7, v[0:1]
	v_bfi_b32 v14, v14, 0, 0
	v_cmp_eq_u64_e64 s[28:29], v[13:14], v[15:16]
	v_mov_b32_e32 v2, v1
	v_mov_b32_e32 v1, v0
	s_and_saveexec_b64 s[38:39], s[28:29]
; %bb.5969:                             ;   in Loop: Header=BB6_5473 Depth=4
	v_bfe_u32 v1, v0, 21, 1
	v_add_co_u32_e64 v1, s[28:29], v0, v1
	v_add_co_u32_e64 v1, s[28:29], -1, v1
; %bb.5970:                             ;   in Loop: Header=BB6_5473 Depth=4
	s_or_b64 exec, exec, s[38:39]
	v_add_u32_e32 v2, 0xffffff81, v6
	v_mov_b32_e32 v6, 0xffffff82
	v_cndmask_b32_e32 v2, v2, v6, vcc
	v_lshrrev_b32_e32 v6, 23, v0
	v_add3_u32 v7, v7, v2, v6
	v_add_u32_e32 v6, 14, v7
	v_and_b32_e32 v1, 0x1fffff, v1
	v_add_u32_e32 v32, v1, v0
	v_cmp_ne_u32_e32 vcc, 0, v6
                                        ; implicit-def: $vgpr0_vgpr1
                                        ; implicit-def: $vgpr2
	s_and_saveexec_b64 s[28:29], vcc
	s_xor_b64 s[28:29], exec, s[28:29]
; %bb.5971:                             ;   in Loop: Header=BB6_5473 Depth=4
	v_cmp_lt_u64_e32 vcc, s[88:89], v[32:33]
	v_add_u32_e32 v0, 15, v7
	v_cndmask_b32_e32 v2, v6, v0, vcc
	v_cndmask_b32_e64 v0, 0, 1, vcc
	v_lshrrev_b64 v[0:1], v0, v[32:33]
; %bb.5972:                             ;   in Loop: Header=BB6_5473 Depth=4
	s_andn2_saveexec_b64 s[28:29], s[28:29]
; %bb.5973:                             ;   in Loop: Header=BB6_5473 Depth=4
	v_mov_b32_e32 v0, v32
	v_mov_b32_e32 v1, v33
	v_bfe_u32 v2, v32, 23, 1
; %bb.5974:                             ;   in Loop: Header=BB6_5473 Depth=4
	s_or_b64 exec, exec, s[28:29]
	v_lshrrev_b64 v[0:1], 21, v[0:1]
	v_cmp_gt_i32_e32 vcc, 32, v2
	v_cndmask_b32_e32 v1, 0, v1, vcc
	v_cndmask_b32_e32 v0, 3, v0, vcc
	v_cmp_eq_u64_e64 s[28:29], 0, v[0:1]
	v_min_i32_e32 v1, 31, v2
	v_lshlrev_b32_e32 v1, 2, v1
	v_cmp_eq_u32_e32 vcc, 0, v2
	v_and_b32_e32 v1, 0xfc, v1
	v_and_or_b32 v0, v0, 3, v1
	s_and_b64 s[28:29], vcc, s[28:29]
	v_cndmask_b32_e64 v0, v0, 0, s[28:29]
	v_or_b32_e32 v0, v0, v5
	buffer_store_dword v0, off, s[0:3], s33 offset:352 ; 4-byte Folded Spill
.LBB6_5975:                             ;   in Loop: Header=BB6_5473 Depth=4
	s_or_b64 exec, exec, s[36:37]
                                        ; implicit-def: $vgpr5
.LBB6_5976:                             ;   in Loop: Header=BB6_5473 Depth=4
	s_andn2_saveexec_b64 s[28:29], s[34:35]
	s_cbranch_execz .LBB6_5978
; %bb.5977:                             ;   in Loop: Header=BB6_5473 Depth=4
	v_or_b32_e32 v0, 0x7b, v5
	buffer_store_dword v0, off, s[0:3], s33 offset:352 ; 4-byte Folded Spill
.LBB6_5978:                             ;   in Loop: Header=BB6_5473 Depth=4
	s_or_b64 exec, exec, s[28:29]
                                        ; implicit-def: $vgpr0
.LBB6_5979:                             ;   in Loop: Header=BB6_5473 Depth=4
	s_andn2_saveexec_b64 s[28:29], s[30:31]
	s_cbranch_execz .LBB6_5985
; %bb.5980:                             ;   in Loop: Header=BB6_5473 Depth=4
	v_cmp_ne_u64_e32 vcc, 0, v[32:33]
                                        ; implicit-def: $vgpr1
                                        ; kill: killed $vgpr1
	s_and_saveexec_b64 s[62:63], vcc
	s_xor_b64 vcc, exec, s[62:63]
	s_cbranch_execz .LBB6_5982
; %bb.5981:                             ;   in Loop: Header=BB6_5473 Depth=4
	v_or_b32_sdwa v0, v0, s44 dst_sel:DWORD dst_unused:UNUSED_PAD src0_sel:BYTE_3 src1_sel:DWORD
	buffer_store_dword v0, off, s[0:3], s33 offset:352 ; 4-byte Folded Spill
                                        ; implicit-def: $vgpr0
.LBB6_5982:                             ;   in Loop: Header=BB6_5473 Depth=4
	s_andn2_saveexec_b64 s[30:31], vcc
	s_cbranch_execz .LBB6_5984
; %bb.5983:                             ;   in Loop: Header=BB6_5473 Depth=4
	v_cmp_lt_i32_e32 vcc, -1, v0
	v_bfrev_b32_e32 v0, 0.5
	v_mov_b32_e32 v1, 0x7c
	v_cndmask_b32_e32 v0, v0, v1, vcc
	buffer_store_dword v0, off, s[0:3], s33 offset:352 ; 4-byte Folded Spill
.LBB6_5984:                             ;   in Loop: Header=BB6_5473 Depth=4
	s_or_b64 exec, exec, s[30:31]
.LBB6_5985:                             ;   in Loop: Header=BB6_5473 Depth=4
	s_or_b64 exec, exec, s[28:29]
	v_lshrrev_b32_e32 v0, 16, v8
	v_cmp_ne_u16_sdwa s[62:63], v0, v33 src0_sel:BYTE_0 src1_sel:DWORD
	v_mov_b32_e32 v1, 0
	s_and_saveexec_b64 s[28:29], s[62:63]
	s_cbranch_execz .LBB6_5993
; %bb.5986:                             ;   in Loop: Header=BB6_5473 Depth=4
	v_cmp_ne_u16_sdwa s[62:63], v0, s97 src0_sel:BYTE_0 src1_sel:DWORD
	v_bfrev_b32_e32 v1, 1
	s_and_saveexec_b64 s[30:31], s[62:63]
	s_cbranch_execz .LBB6_5992
; %bb.5987:                             ;   in Loop: Header=BB6_5473 Depth=4
	v_and_b32_e32 v1, 0x7c0000, v8
	v_bfe_u32 v2, v8, 16, 2
	v_cmp_ne_u32_e32 vcc, s45, v1
                                        ; implicit-def: $vgpr1
	s_and_saveexec_b64 s[62:63], vcc
	s_xor_b64 s[34:35], exec, s[62:63]
	s_cbranch_execz .LBB6_5989
; %bb.5988:                             ;   in Loop: Header=BB6_5473 Depth=4
	v_ffbh_u32_e32 v1, v2
	v_min_u32_e32 v6, 32, v1
	v_subrev_u32_e32 v1, 29, v6
	v_lshlrev_b64 v[0:1], v1, v[0:1]
	v_bfe_u32 v5, v8, 18, 5
	v_and_b32_e32 v0, 3, v0
	v_cmp_eq_u32_e32 vcc, 0, v5
	v_sub_u32_e32 v1, 30, v6
	v_cndmask_b32_e32 v0, v2, v0, vcc
	v_lshlrev_b32_e32 v2, 8, v8
	v_cndmask_b32_e32 v1, v5, v1, vcc
	v_and_b32_e32 v2, 0x80000000, v2
	v_lshl_add_u32 v1, v1, 23, v2
	v_lshl_or_b32 v0, v0, 21, v1
	v_add_u32_e32 v1, 0x38000000, v0
                                        ; implicit-def: $vgpr2
                                        ; implicit-def: $vgpr0
.LBB6_5989:                             ;   in Loop: Header=BB6_5473 Depth=4
	s_andn2_saveexec_b64 s[34:35], s[34:35]
; %bb.5990:                             ;   in Loop: Header=BB6_5473 Depth=4
	v_mov_b32_e32 v1, -1
	v_cmp_gt_i16_sdwa vcc, sext(v0), v1 src0_sel:BYTE_0 src1_sel:DWORD
	v_mov_b32_e32 v0, 0xff800000
	v_mov_b32_e32 v1, 0x7f800000
	v_cndmask_b32_e32 v0, v0, v1, vcc
	v_cmp_eq_u32_e32 vcc, 0, v2
	v_mov_b32_e32 v1, 0x7f800001
	v_cndmask_b32_e32 v1, v1, v0, vcc
; %bb.5991:                             ;   in Loop: Header=BB6_5473 Depth=4
	s_or_b64 exec, exec, s[34:35]
.LBB6_5992:                             ;   in Loop: Header=BB6_5473 Depth=4
	s_or_b64 exec, exec, s[30:31]
.LBB6_5993:                             ;   in Loop: Header=BB6_5473 Depth=4
	s_or_b64 exec, exec, s[28:29]
	v_mul_f32_e32 v0, v12, v1
	v_and_b32_e32 v1, 0x7f800000, v0
	v_mov_b32_e32 v2, v33
	v_cmp_ne_u64_e32 vcc, s[76:77], v[1:2]
	v_and_b32_e32 v32, 0x7fffff, v0
                                        ; implicit-def: $vgpr1
                                        ; kill: killed $vgpr1
	s_and_saveexec_b64 s[28:29], vcc
	s_xor_b64 s[30:31], exec, s[28:29]
	s_cbranch_execz .LBB6_6007
; %bb.5994:                             ;   in Loop: Header=BB6_5473 Depth=4
	v_and_b32_e32 v1, 0x7fffffff, v0
	v_mov_b32_e32 v2, v33
	v_cmp_gt_u64_e32 vcc, s[78:79], v[1:2]
	v_and_b32_sdwa v5, v0, s97 dst_sel:DWORD dst_unused:UNUSED_PAD src0_sel:BYTE_3 src1_sel:DWORD
                                        ; implicit-def: $vgpr1
                                        ; kill: killed $vgpr1
	s_and_saveexec_b64 s[28:29], vcc
	s_xor_b64 s[34:35], exec, s[28:29]
	s_cbranch_execz .LBB6_6004
; %bb.5995:                             ;   in Loop: Header=BB6_5473 Depth=4
	v_mov_b32_e32 v1, 0
	v_cmp_ne_u32_e32 vcc, 0, v0
	buffer_store_dword v1, off, s[0:3], s33 offset:364 ; 4-byte Folded Spill
	s_and_saveexec_b64 s[36:37], vcc
	s_cbranch_execz .LBB6_6003
; %bb.5996:                             ;   in Loop: Header=BB6_5473 Depth=4
	v_bfe_u32 v6, v0, 23, 8
	v_cmp_gt_u32_e64 s[28:29], s47, v6
	v_sub_u32_e32 v0, 0x71, v6
	v_cmp_eq_u32_e32 vcc, 0, v6
	v_cndmask_b32_e64 v0, 0, v0, s[28:29]
	v_mov_b32_e32 v2, 0x70
	v_cndmask_b32_e32 v7, v0, v2, vcc
	v_add_u32_e32 v2, 21, v7
	v_or_b32_e32 v1, 0x800000, v32
	v_lshlrev_b64 v[13:14], v2, -1
	v_cndmask_b32_e32 v0, v1, v32, vcc
	v_mov_b32_e32 v1, v33
	v_add_u32_e32 v2, 20, v7
	v_bfi_b32 v13, v13, 0, v0
	v_lshlrev_b64 v[15:16], v2, 1
	v_lshrrev_b64 v[0:1], v7, v[0:1]
	v_bfi_b32 v14, v14, 0, 0
	v_cmp_eq_u64_e64 s[28:29], v[13:14], v[15:16]
	v_mov_b32_e32 v2, v1
	v_mov_b32_e32 v1, v0
	s_and_saveexec_b64 s[38:39], s[28:29]
; %bb.5997:                             ;   in Loop: Header=BB6_5473 Depth=4
	v_bfe_u32 v1, v0, 21, 1
	v_add_co_u32_e64 v1, s[28:29], v0, v1
	v_add_co_u32_e64 v1, s[28:29], -1, v1
; %bb.5998:                             ;   in Loop: Header=BB6_5473 Depth=4
	s_or_b64 exec, exec, s[38:39]
	v_add_u32_e32 v2, 0xffffff81, v6
	v_mov_b32_e32 v6, 0xffffff82
	v_cndmask_b32_e32 v2, v2, v6, vcc
	v_lshrrev_b32_e32 v6, 23, v0
	v_add3_u32 v7, v7, v2, v6
	v_add_u32_e32 v6, 14, v7
	v_and_b32_e32 v1, 0x1fffff, v1
	v_add_u32_e32 v32, v1, v0
	v_cmp_ne_u32_e32 vcc, 0, v6
                                        ; implicit-def: $vgpr0_vgpr1
                                        ; implicit-def: $vgpr2
	s_and_saveexec_b64 s[28:29], vcc
	s_xor_b64 s[28:29], exec, s[28:29]
; %bb.5999:                             ;   in Loop: Header=BB6_5473 Depth=4
	v_cmp_lt_u64_e32 vcc, s[88:89], v[32:33]
	v_add_u32_e32 v0, 15, v7
	v_cndmask_b32_e32 v2, v6, v0, vcc
	v_cndmask_b32_e64 v0, 0, 1, vcc
	v_lshrrev_b64 v[0:1], v0, v[32:33]
; %bb.6000:                             ;   in Loop: Header=BB6_5473 Depth=4
	s_andn2_saveexec_b64 s[28:29], s[28:29]
; %bb.6001:                             ;   in Loop: Header=BB6_5473 Depth=4
	v_mov_b32_e32 v0, v32
	v_mov_b32_e32 v1, v33
	v_bfe_u32 v2, v32, 23, 1
; %bb.6002:                             ;   in Loop: Header=BB6_5473 Depth=4
	s_or_b64 exec, exec, s[28:29]
	v_lshrrev_b64 v[0:1], 21, v[0:1]
	v_cmp_gt_i32_e32 vcc, 32, v2
	v_cndmask_b32_e32 v1, 0, v1, vcc
	v_cndmask_b32_e32 v0, 3, v0, vcc
	v_cmp_eq_u64_e64 s[28:29], 0, v[0:1]
	v_min_i32_e32 v1, 31, v2
	v_lshlrev_b32_e32 v1, 2, v1
	v_cmp_eq_u32_e32 vcc, 0, v2
	v_and_b32_e32 v1, 0xfc, v1
	v_and_or_b32 v0, v0, 3, v1
	s_and_b64 s[28:29], vcc, s[28:29]
	v_cndmask_b32_e64 v0, v0, 0, s[28:29]
	v_or_b32_e32 v0, v0, v5
	buffer_store_dword v0, off, s[0:3], s33 offset:364 ; 4-byte Folded Spill
.LBB6_6003:                             ;   in Loop: Header=BB6_5473 Depth=4
	s_or_b64 exec, exec, s[36:37]
                                        ; implicit-def: $vgpr5
.LBB6_6004:                             ;   in Loop: Header=BB6_5473 Depth=4
	s_andn2_saveexec_b64 s[28:29], s[34:35]
	s_cbranch_execz .LBB6_6006
; %bb.6005:                             ;   in Loop: Header=BB6_5473 Depth=4
	v_or_b32_e32 v0, 0x7b, v5
	buffer_store_dword v0, off, s[0:3], s33 offset:364 ; 4-byte Folded Spill
.LBB6_6006:                             ;   in Loop: Header=BB6_5473 Depth=4
	s_or_b64 exec, exec, s[28:29]
                                        ; implicit-def: $vgpr0
.LBB6_6007:                             ;   in Loop: Header=BB6_5473 Depth=4
	s_andn2_saveexec_b64 s[28:29], s[30:31]
	s_cbranch_execz .LBB6_6013
; %bb.6008:                             ;   in Loop: Header=BB6_5473 Depth=4
	v_cmp_ne_u64_e32 vcc, 0, v[32:33]
                                        ; implicit-def: $vgpr1
                                        ; kill: killed $vgpr1
	s_and_saveexec_b64 s[62:63], vcc
	s_xor_b64 vcc, exec, s[62:63]
	s_cbranch_execz .LBB6_6010
; %bb.6009:                             ;   in Loop: Header=BB6_5473 Depth=4
	v_or_b32_sdwa v0, v0, s44 dst_sel:DWORD dst_unused:UNUSED_PAD src0_sel:BYTE_3 src1_sel:DWORD
	buffer_store_dword v0, off, s[0:3], s33 offset:364 ; 4-byte Folded Spill
                                        ; implicit-def: $vgpr0
.LBB6_6010:                             ;   in Loop: Header=BB6_5473 Depth=4
	s_andn2_saveexec_b64 s[30:31], vcc
	s_cbranch_execz .LBB6_6012
; %bb.6011:                             ;   in Loop: Header=BB6_5473 Depth=4
	v_cmp_lt_i32_e32 vcc, -1, v0
	v_bfrev_b32_e32 v0, 0.5
	v_mov_b32_e32 v1, 0x7c
	v_cndmask_b32_e32 v0, v0, v1, vcc
	buffer_store_dword v0, off, s[0:3], s33 offset:364 ; 4-byte Folded Spill
.LBB6_6012:                             ;   in Loop: Header=BB6_5473 Depth=4
	s_or_b64 exec, exec, s[30:31]
.LBB6_6013:                             ;   in Loop: Header=BB6_5473 Depth=4
	s_or_b64 exec, exec, s[28:29]
	v_cmp_lt_u32_e32 vcc, s57, v8
	v_mov_b32_e32 v1, 0
	s_and_saveexec_b64 s[28:29], vcc
	s_cbranch_execz .LBB6_6021
; %bb.6014:                             ;   in Loop: Header=BB6_5473 Depth=4
	v_lshrrev_b32_e32 v0, 24, v8
	v_cmp_ne_u32_e32 vcc, s97, v0
	v_bfrev_b32_e32 v1, 1
	s_and_saveexec_b64 s[30:31], vcc
	s_cbranch_execz .LBB6_6020
; %bb.6015:                             ;   in Loop: Header=BB6_5473 Depth=4
	v_and_b32_e32 v1, 0x7c000000, v8
	v_bfe_u32 v2, v8, 24, 2
	v_cmp_ne_u32_e32 vcc, s68, v1
                                        ; implicit-def: $vgpr1
	s_and_saveexec_b64 s[62:63], vcc
	s_xor_b64 s[34:35], exec, s[62:63]
	s_cbranch_execz .LBB6_6017
; %bb.6016:                             ;   in Loop: Header=BB6_5473 Depth=4
	v_ffbh_u32_e32 v1, v2
	v_min_u32_e32 v6, 32, v1
	v_subrev_u32_e32 v1, 29, v6
	v_lshlrev_b64 v[0:1], v1, v[0:1]
	v_bfe_u32 v5, v8, 26, 5
	v_sub_u32_e32 v1, 30, v6
	v_and_b32_e32 v0, 3, v0
	v_cmp_eq_u32_e32 vcc, 0, v5
	v_cndmask_b32_e32 v1, v5, v1, vcc
	v_cndmask_b32_e32 v0, v2, v0, vcc
	v_and_b32_e32 v2, 0x80000000, v8
	v_lshl_add_u32 v1, v1, 23, v2
	v_lshl_or_b32 v0, v0, 21, v1
	v_add_u32_e32 v1, 0x38000000, v0
                                        ; implicit-def: $vgpr2
.LBB6_6017:                             ;   in Loop: Header=BB6_5473 Depth=4
	s_andn2_saveexec_b64 s[34:35], s[34:35]
; %bb.6018:                             ;   in Loop: Header=BB6_5473 Depth=4
	v_cmp_lt_i32_e32 vcc, -1, v8
	v_mov_b32_e32 v0, 0xff800000
	v_mov_b32_e32 v1, 0x7f800000
	v_cndmask_b32_e32 v0, v0, v1, vcc
	v_cmp_eq_u32_e32 vcc, 0, v2
	v_mov_b32_e32 v1, 0x7f800001
	v_cndmask_b32_e32 v1, v1, v0, vcc
; %bb.6019:                             ;   in Loop: Header=BB6_5473 Depth=4
	s_or_b64 exec, exec, s[34:35]
.LBB6_6020:                             ;   in Loop: Header=BB6_5473 Depth=4
	s_or_b64 exec, exec, s[30:31]
.LBB6_6021:                             ;   in Loop: Header=BB6_5473 Depth=4
	s_or_b64 exec, exec, s[28:29]
	v_mul_f32_e32 v0, v12, v1
	v_and_b32_e32 v1, 0x7f800000, v0
	v_mov_b32_e32 v2, v33
	v_cmp_ne_u64_e32 vcc, s[76:77], v[1:2]
	v_and_b32_e32 v32, 0x7fffff, v0
                                        ; implicit-def: $vgpr1
                                        ; kill: killed $vgpr1
	s_and_saveexec_b64 s[28:29], vcc
	s_xor_b64 s[30:31], exec, s[28:29]
	s_cbranch_execz .LBB6_6035
; %bb.6022:                             ;   in Loop: Header=BB6_5473 Depth=4
	v_and_b32_e32 v1, 0x7fffffff, v0
	v_mov_b32_e32 v2, v33
	v_cmp_gt_u64_e32 vcc, s[78:79], v[1:2]
	v_and_b32_sdwa v5, v0, s97 dst_sel:DWORD dst_unused:UNUSED_PAD src0_sel:BYTE_3 src1_sel:DWORD
                                        ; implicit-def: $vgpr1
                                        ; kill: killed $vgpr1
	s_and_saveexec_b64 s[28:29], vcc
	s_xor_b64 s[34:35], exec, s[28:29]
	s_cbranch_execz .LBB6_6032
; %bb.6023:                             ;   in Loop: Header=BB6_5473 Depth=4
	v_mov_b32_e32 v1, 0
	v_cmp_ne_u32_e32 vcc, 0, v0
	buffer_store_dword v1, off, s[0:3], s33 offset:372 ; 4-byte Folded Spill
	s_and_saveexec_b64 s[36:37], vcc
	s_cbranch_execz .LBB6_6031
; %bb.6024:                             ;   in Loop: Header=BB6_5473 Depth=4
	v_bfe_u32 v6, v0, 23, 8
	v_cmp_gt_u32_e64 s[28:29], s47, v6
	v_sub_u32_e32 v0, 0x71, v6
	v_cmp_eq_u32_e32 vcc, 0, v6
	v_cndmask_b32_e64 v0, 0, v0, s[28:29]
	v_mov_b32_e32 v2, 0x70
	v_cndmask_b32_e32 v7, v0, v2, vcc
	v_add_u32_e32 v2, 21, v7
	v_or_b32_e32 v1, 0x800000, v32
	v_lshlrev_b64 v[13:14], v2, -1
	v_cndmask_b32_e32 v0, v1, v32, vcc
	v_mov_b32_e32 v1, v33
	v_add_u32_e32 v2, 20, v7
	v_bfi_b32 v13, v13, 0, v0
	v_lshlrev_b64 v[15:16], v2, 1
	v_lshrrev_b64 v[0:1], v7, v[0:1]
	v_bfi_b32 v14, v14, 0, 0
	v_cmp_eq_u64_e64 s[28:29], v[13:14], v[15:16]
	v_mov_b32_e32 v2, v1
	v_mov_b32_e32 v1, v0
	s_and_saveexec_b64 s[38:39], s[28:29]
; %bb.6025:                             ;   in Loop: Header=BB6_5473 Depth=4
	v_bfe_u32 v1, v0, 21, 1
	v_add_co_u32_e64 v1, s[28:29], v0, v1
	v_add_co_u32_e64 v1, s[28:29], -1, v1
; %bb.6026:                             ;   in Loop: Header=BB6_5473 Depth=4
	s_or_b64 exec, exec, s[38:39]
	v_add_u32_e32 v2, 0xffffff81, v6
	v_mov_b32_e32 v6, 0xffffff82
	v_cndmask_b32_e32 v2, v2, v6, vcc
	v_lshrrev_b32_e32 v6, 23, v0
	v_add3_u32 v7, v7, v2, v6
	v_add_u32_e32 v6, 14, v7
	v_and_b32_e32 v1, 0x1fffff, v1
	v_add_u32_e32 v32, v1, v0
	v_cmp_ne_u32_e32 vcc, 0, v6
                                        ; implicit-def: $vgpr0_vgpr1
                                        ; implicit-def: $vgpr2
	s_and_saveexec_b64 s[28:29], vcc
	s_xor_b64 s[28:29], exec, s[28:29]
; %bb.6027:                             ;   in Loop: Header=BB6_5473 Depth=4
	v_cmp_lt_u64_e32 vcc, s[88:89], v[32:33]
	v_add_u32_e32 v0, 15, v7
	v_cndmask_b32_e32 v2, v6, v0, vcc
	v_cndmask_b32_e64 v0, 0, 1, vcc
	v_lshrrev_b64 v[0:1], v0, v[32:33]
; %bb.6028:                             ;   in Loop: Header=BB6_5473 Depth=4
	s_andn2_saveexec_b64 s[28:29], s[28:29]
; %bb.6029:                             ;   in Loop: Header=BB6_5473 Depth=4
	v_mov_b32_e32 v0, v32
	v_mov_b32_e32 v1, v33
	v_bfe_u32 v2, v32, 23, 1
; %bb.6030:                             ;   in Loop: Header=BB6_5473 Depth=4
	s_or_b64 exec, exec, s[28:29]
	v_lshrrev_b64 v[0:1], 21, v[0:1]
	v_cmp_gt_i32_e32 vcc, 32, v2
	v_cndmask_b32_e32 v1, 0, v1, vcc
	v_cndmask_b32_e32 v0, 3, v0, vcc
	v_cmp_eq_u64_e64 s[28:29], 0, v[0:1]
	v_min_i32_e32 v1, 31, v2
	v_lshlrev_b32_e32 v1, 2, v1
	v_cmp_eq_u32_e32 vcc, 0, v2
	v_and_b32_e32 v1, 0xfc, v1
	v_and_or_b32 v0, v0, 3, v1
	s_and_b64 s[28:29], vcc, s[28:29]
	v_cndmask_b32_e64 v0, v0, 0, s[28:29]
	v_or_b32_e32 v0, v0, v5
	buffer_store_dword v0, off, s[0:3], s33 offset:372 ; 4-byte Folded Spill
.LBB6_6031:                             ;   in Loop: Header=BB6_5473 Depth=4
	s_or_b64 exec, exec, s[36:37]
                                        ; implicit-def: $vgpr5
.LBB6_6032:                             ;   in Loop: Header=BB6_5473 Depth=4
	s_andn2_saveexec_b64 s[28:29], s[34:35]
	s_cbranch_execz .LBB6_6034
; %bb.6033:                             ;   in Loop: Header=BB6_5473 Depth=4
	v_or_b32_e32 v0, 0x7b, v5
	buffer_store_dword v0, off, s[0:3], s33 offset:372 ; 4-byte Folded Spill
.LBB6_6034:                             ;   in Loop: Header=BB6_5473 Depth=4
	s_or_b64 exec, exec, s[28:29]
                                        ; implicit-def: $vgpr0
.LBB6_6035:                             ;   in Loop: Header=BB6_5473 Depth=4
	s_andn2_saveexec_b64 s[28:29], s[30:31]
	s_cbranch_execz .LBB6_6041
; %bb.6036:                             ;   in Loop: Header=BB6_5473 Depth=4
	v_cmp_ne_u64_e32 vcc, 0, v[32:33]
                                        ; implicit-def: $vgpr1
                                        ; kill: killed $vgpr1
	s_and_saveexec_b64 s[62:63], vcc
	s_xor_b64 vcc, exec, s[62:63]
	s_cbranch_execz .LBB6_6038
; %bb.6037:                             ;   in Loop: Header=BB6_5473 Depth=4
	v_or_b32_sdwa v0, v0, s44 dst_sel:DWORD dst_unused:UNUSED_PAD src0_sel:BYTE_3 src1_sel:DWORD
	buffer_store_dword v0, off, s[0:3], s33 offset:372 ; 4-byte Folded Spill
                                        ; implicit-def: $vgpr0
.LBB6_6038:                             ;   in Loop: Header=BB6_5473 Depth=4
	s_andn2_saveexec_b64 s[30:31], vcc
	s_cbranch_execz .LBB6_6040
; %bb.6039:                             ;   in Loop: Header=BB6_5473 Depth=4
	v_cmp_lt_i32_e32 vcc, -1, v0
	v_bfrev_b32_e32 v0, 0.5
	v_mov_b32_e32 v1, 0x7c
	v_cndmask_b32_e32 v0, v0, v1, vcc
	buffer_store_dword v0, off, s[0:3], s33 offset:372 ; 4-byte Folded Spill
.LBB6_6040:                             ;   in Loop: Header=BB6_5473 Depth=4
	s_or_b64 exec, exec, s[30:31]
.LBB6_6041:                             ;   in Loop: Header=BB6_5473 Depth=4
	s_or_b64 exec, exec, s[28:29]
	v_mov_b32_e32 v32, v9
	v_cmp_ne_u16_sdwa s[62:63], v9, v33 src0_sel:BYTE_0 src1_sel:DWORD
	v_mov_b32_e32 v0, 0
	s_and_saveexec_b64 s[28:29], s[62:63]
	s_cbranch_execz .LBB6_6049
; %bb.6042:                             ;   in Loop: Header=BB6_5473 Depth=4
	v_cmp_ne_u16_sdwa s[62:63], v9, s97 src0_sel:BYTE_0 src1_sel:DWORD
	v_bfrev_b32_e32 v0, 1
	s_and_saveexec_b64 s[30:31], s[62:63]
	s_cbranch_execz .LBB6_6048
; %bb.6043:                             ;   in Loop: Header=BB6_5473 Depth=4
	v_and_b32_e32 v0, 0x7c, v9
	v_and_b32_e32 v1, 3, v9
	v_cmp_ne_u32_e32 vcc, s86, v0
                                        ; implicit-def: $vgpr0
	s_and_saveexec_b64 s[62:63], vcc
	s_xor_b64 s[34:35], exec, s[62:63]
	s_cbranch_execz .LBB6_6045
; %bb.6044:                             ;   in Loop: Header=BB6_5473 Depth=4
	v_ffbh_u32_e32 v2, v1
	v_min_u32_e32 v2, 32, v2
	v_bfe_u32 v0, v9, 2, 5
	v_subrev_u32_e32 v5, 29, v2
	v_lshlrev_b64 v[13:14], v5, v[32:33]
	v_sub_u32_e32 v2, 30, v2
	v_cmp_eq_u32_e32 vcc, 0, v0
	v_cndmask_b32_e32 v0, v0, v2, vcc
	v_lshlrev_b32_e32 v2, 24, v9
	v_and_b32_e32 v5, 3, v13
	v_and_b32_e32 v2, 0x80000000, v2
	v_cndmask_b32_e32 v1, v1, v5, vcc
	v_lshl_add_u32 v0, v0, 23, v2
	v_lshl_or_b32 v0, v1, 21, v0
	v_add_u32_e32 v0, 0x38000000, v0
                                        ; implicit-def: $vgpr1
.LBB6_6045:                             ;   in Loop: Header=BB6_5473 Depth=4
	s_andn2_saveexec_b64 s[34:35], s[34:35]
; %bb.6046:                             ;   in Loop: Header=BB6_5473 Depth=4
	v_mov_b32_e32 v0, -1
	v_cmp_gt_i16_sdwa vcc, sext(v9), v0 src0_sel:BYTE_0 src1_sel:DWORD
	v_mov_b32_e32 v0, 0xff800000
	v_mov_b32_e32 v2, 0x7f800000
	v_cndmask_b32_e32 v0, v0, v2, vcc
	v_cmp_eq_u32_e32 vcc, 0, v1
	v_mov_b32_e32 v1, 0x7f800001
	v_cndmask_b32_e32 v0, v1, v0, vcc
; %bb.6047:                             ;   in Loop: Header=BB6_5473 Depth=4
	s_or_b64 exec, exec, s[34:35]
.LBB6_6048:                             ;   in Loop: Header=BB6_5473 Depth=4
	s_or_b64 exec, exec, s[30:31]
.LBB6_6049:                             ;   in Loop: Header=BB6_5473 Depth=4
	s_or_b64 exec, exec, s[28:29]
	v_mul_f32_e32 v2, v12, v0
	v_and_b32_e32 v13, 0x7f800000, v2
	v_mov_b32_e32 v14, v33
	v_cmp_ne_u64_e32 vcc, s[76:77], v[13:14]
	v_and_b32_e32 v0, 0x7fffff, v2
	v_mov_b32_e32 v1, v33
                                        ; implicit-def: $vgpr39
	s_and_saveexec_b64 s[28:29], vcc
	s_xor_b64 s[30:31], exec, s[28:29]
	s_cbranch_execz .LBB6_6063
; %bb.6050:                             ;   in Loop: Header=BB6_5473 Depth=4
	v_and_b32_e32 v13, 0x7fffffff, v2
	v_mov_b32_e32 v14, v33
	v_cmp_gt_u64_e32 vcc, s[78:79], v[13:14]
	v_and_b32_sdwa v5, v2, s97 dst_sel:DWORD dst_unused:UNUSED_PAD src0_sel:BYTE_3 src1_sel:DWORD
                                        ; implicit-def: $vgpr39
	s_and_saveexec_b64 s[28:29], vcc
	s_xor_b64 s[34:35], exec, s[28:29]
	s_cbranch_execz .LBB6_6060
; %bb.6051:                             ;   in Loop: Header=BB6_5473 Depth=4
	v_mov_b32_e32 v39, 0
	v_cmp_ne_u32_e32 vcc, 0, v2
	s_and_saveexec_b64 s[36:37], vcc
	s_cbranch_execz .LBB6_6059
; %bb.6052:                             ;   in Loop: Header=BB6_5473 Depth=4
	v_bfe_u32 v7, v2, 23, 8
	v_cmp_gt_u32_e64 s[28:29], s47, v7
	v_sub_u32_e32 v2, 0x71, v7
	v_cmp_eq_u32_e32 vcc, 0, v7
	v_cndmask_b32_e64 v2, 0, v2, s[28:29]
	v_mov_b32_e32 v13, 0x70
	v_cndmask_b32_e32 v13, v2, v13, vcc
	v_or_b32_e32 v14, 0x800000, v0
	v_add_u32_e32 v2, 21, v13
	v_cndmask_b32_e32 v0, v14, v0, vcc
	v_lshlrev_b64 v[14:15], v2, -1
	v_add_u32_e32 v2, 20, v13
	v_bfi_b32 v14, v14, 0, v0
	v_lshlrev_b64 v[16:17], v2, 1
	v_lshrrev_b64 v[0:1], v13, v[0:1]
	v_bfi_b32 v15, v15, 0, 0
	v_cmp_eq_u64_e64 s[28:29], v[14:15], v[16:17]
	v_mov_b32_e32 v2, v1
	v_mov_b32_e32 v1, v0
	s_and_saveexec_b64 s[38:39], s[28:29]
; %bb.6053:                             ;   in Loop: Header=BB6_5473 Depth=4
	v_bfe_u32 v1, v0, 21, 1
	v_add_co_u32_e64 v1, s[28:29], v0, v1
	v_add_co_u32_e64 v1, s[28:29], -1, v1
; %bb.6054:                             ;   in Loop: Header=BB6_5473 Depth=4
	s_or_b64 exec, exec, s[38:39]
	v_add_u32_e32 v2, 0xffffff81, v7
	v_mov_b32_e32 v7, 0xffffff82
	v_cndmask_b32_e32 v2, v2, v7, vcc
	v_lshrrev_b32_e32 v7, 23, v0
	v_add3_u32 v13, v13, v2, v7
	v_add_u32_e32 v7, 14, v13
	v_and_b32_e32 v1, 0x1fffff, v1
	v_add_u32_e32 v0, v1, v0
	v_mov_b32_e32 v1, v33
	v_cmp_ne_u32_e32 vcc, 0, v7
                                        ; implicit-def: $vgpr2
	s_and_saveexec_b64 s[28:29], vcc
	s_xor_b64 s[28:29], exec, s[28:29]
; %bb.6055:                             ;   in Loop: Header=BB6_5473 Depth=4
	v_cmp_lt_u64_e32 vcc, s[88:89], v[0:1]
	v_add_u32_e32 v2, 15, v13
	v_cndmask_b32_e32 v2, v7, v2, vcc
	v_cndmask_b32_e64 v7, 0, 1, vcc
	v_lshrrev_b64 v[0:1], v7, v[0:1]
; %bb.6056:                             ;   in Loop: Header=BB6_5473 Depth=4
	s_andn2_saveexec_b64 s[28:29], s[28:29]
; %bb.6057:                             ;   in Loop: Header=BB6_5473 Depth=4
	v_bfe_u32 v2, v0, 23, 1
; %bb.6058:                             ;   in Loop: Header=BB6_5473 Depth=4
	s_or_b64 exec, exec, s[28:29]
	v_lshrrev_b64 v[0:1], 21, v[0:1]
	v_cmp_gt_i32_e32 vcc, 32, v2
	v_cndmask_b32_e32 v1, 0, v1, vcc
	v_cndmask_b32_e32 v0, 3, v0, vcc
	v_cmp_eq_u64_e64 s[28:29], 0, v[0:1]
	v_min_i32_e32 v1, 31, v2
	v_lshlrev_b32_e32 v1, 2, v1
	v_cmp_eq_u32_e32 vcc, 0, v2
	v_and_b32_e32 v1, 0xfc, v1
	v_and_or_b32 v0, v0, 3, v1
	s_and_b64 s[28:29], vcc, s[28:29]
	v_cndmask_b32_e64 v0, v0, 0, s[28:29]
	v_or_b32_e32 v39, v0, v5
.LBB6_6059:                             ;   in Loop: Header=BB6_5473 Depth=4
	s_or_b64 exec, exec, s[36:37]
                                        ; implicit-def: $vgpr5
.LBB6_6060:                             ;   in Loop: Header=BB6_5473 Depth=4
	s_andn2_saveexec_b64 s[28:29], s[34:35]
; %bb.6061:                             ;   in Loop: Header=BB6_5473 Depth=4
	v_or_b32_e32 v39, 0x7b, v5
; %bb.6062:                             ;   in Loop: Header=BB6_5473 Depth=4
	s_or_b64 exec, exec, s[28:29]
                                        ; implicit-def: $vgpr2
                                        ; implicit-def: $vgpr0_vgpr1
.LBB6_6063:                             ;   in Loop: Header=BB6_5473 Depth=4
	s_andn2_saveexec_b64 s[28:29], s[30:31]
	s_cbranch_execz .LBB6_6069
; %bb.6064:                             ;   in Loop: Header=BB6_5473 Depth=4
	v_cmp_ne_u64_e32 vcc, 0, v[0:1]
                                        ; implicit-def: $vgpr39
	s_and_saveexec_b64 s[62:63], vcc
	s_xor_b64 vcc, exec, s[62:63]
; %bb.6065:                             ;   in Loop: Header=BB6_5473 Depth=4
	v_or_b32_sdwa v39, v2, s44 dst_sel:DWORD dst_unused:UNUSED_PAD src0_sel:BYTE_3 src1_sel:DWORD
                                        ; implicit-def: $vgpr2
; %bb.6066:                             ;   in Loop: Header=BB6_5473 Depth=4
	s_andn2_saveexec_b64 s[30:31], vcc
; %bb.6067:                             ;   in Loop: Header=BB6_5473 Depth=4
	v_cmp_lt_i32_e32 vcc, -1, v2
	v_bfrev_b32_e32 v0, 0.5
	v_mov_b32_e32 v1, 0x7c
	v_cndmask_b32_e32 v39, v0, v1, vcc
; %bb.6068:                             ;   in Loop: Header=BB6_5473 Depth=4
	s_or_b64 exec, exec, s[30:31]
.LBB6_6069:                             ;   in Loop: Header=BB6_5473 Depth=4
	s_or_b64 exec, exec, s[28:29]
	v_lshrrev_b16_e32 v0, 8, v32
	v_cmp_ne_u16_e32 vcc, 0, v0
	v_mov_b32_e32 v1, 0
	s_and_saveexec_b64 s[28:29], vcc
	s_cbranch_execz .LBB6_6077
; %bb.6070:                             ;   in Loop: Header=BB6_5473 Depth=4
	v_cmp_ne_u16_e32 vcc, s97, v0
	v_bfrev_b32_e32 v1, 1
	s_and_saveexec_b64 s[30:31], vcc
	s_cbranch_execz .LBB6_6076
; %bb.6071:                             ;   in Loop: Header=BB6_5473 Depth=4
	v_and_b32_e32 v1, 0x7c, v0
	v_and_b32_e32 v2, 3, v0
	v_cmp_ne_u32_e32 vcc, s86, v1
                                        ; implicit-def: $vgpr1
	s_and_saveexec_b64 s[62:63], vcc
	s_xor_b64 s[34:35], exec, s[62:63]
	s_cbranch_execz .LBB6_6073
; %bb.6072:                             ;   in Loop: Header=BB6_5473 Depth=4
	v_ffbh_u32_e32 v7, v2
	v_min_u32_e32 v7, 32, v7
	v_mov_b32_e32 v1, v33
	v_subrev_u32_e32 v13, 29, v7
	v_bfe_u32 v5, v0, 2, 5
	v_lshlrev_b64 v[0:1], v13, v[0:1]
	v_cmp_eq_u32_e32 vcc, 0, v5
	v_and_b32_e32 v0, 3, v0
	v_sub_u32_e32 v1, 30, v7
	v_cndmask_b32_e32 v0, v2, v0, vcc
	v_lshlrev_b32_e32 v2, 16, v32
	v_cndmask_b32_e32 v1, v5, v1, vcc
	v_and_b32_e32 v2, 0x80000000, v2
	v_lshl_add_u32 v1, v1, 23, v2
	v_lshl_or_b32 v0, v0, 21, v1
	v_add_u32_e32 v1, 0x38000000, v0
                                        ; implicit-def: $vgpr2
.LBB6_6073:                             ;   in Loop: Header=BB6_5473 Depth=4
	s_andn2_saveexec_b64 s[34:35], s[34:35]
; %bb.6074:                             ;   in Loop: Header=BB6_5473 Depth=4
	v_cmp_lt_i16_e32 vcc, -1, v32
	v_mov_b32_e32 v0, 0xff800000
	v_mov_b32_e32 v1, 0x7f800000
	v_cndmask_b32_e32 v0, v0, v1, vcc
	v_cmp_eq_u32_e32 vcc, 0, v2
	v_mov_b32_e32 v1, 0x7f800001
	v_cndmask_b32_e32 v1, v1, v0, vcc
; %bb.6075:                             ;   in Loop: Header=BB6_5473 Depth=4
	s_or_b64 exec, exec, s[34:35]
.LBB6_6076:                             ;   in Loop: Header=BB6_5473 Depth=4
	s_or_b64 exec, exec, s[30:31]
.LBB6_6077:                             ;   in Loop: Header=BB6_5473 Depth=4
	s_or_b64 exec, exec, s[28:29]
	v_mul_f32_e32 v0, v12, v1
	v_and_b32_e32 v1, 0x7f800000, v0
	v_mov_b32_e32 v2, v33
	v_cmp_ne_u64_e32 vcc, s[76:77], v[1:2]
	v_and_b32_e32 v32, 0x7fffff, v0
                                        ; implicit-def: $vgpr1
                                        ; kill: killed $vgpr1
	s_and_saveexec_b64 s[28:29], vcc
	s_xor_b64 s[30:31], exec, s[28:29]
	s_cbranch_execz .LBB6_6091
; %bb.6078:                             ;   in Loop: Header=BB6_5473 Depth=4
	v_and_b32_e32 v1, 0x7fffffff, v0
	v_mov_b32_e32 v2, v33
	v_cmp_gt_u64_e32 vcc, s[78:79], v[1:2]
	v_and_b32_sdwa v5, v0, s97 dst_sel:DWORD dst_unused:UNUSED_PAD src0_sel:BYTE_3 src1_sel:DWORD
                                        ; implicit-def: $vgpr1
                                        ; kill: killed $vgpr1
	s_and_saveexec_b64 s[28:29], vcc
	s_xor_b64 s[34:35], exec, s[28:29]
	s_cbranch_execz .LBB6_6088
; %bb.6079:                             ;   in Loop: Header=BB6_5473 Depth=4
	v_mov_b32_e32 v1, 0
	v_cmp_ne_u32_e32 vcc, 0, v0
	buffer_store_dword v1, off, s[0:3], s33 offset:336 ; 4-byte Folded Spill
	s_and_saveexec_b64 s[36:37], vcc
	s_cbranch_execz .LBB6_6087
; %bb.6080:                             ;   in Loop: Header=BB6_5473 Depth=4
	v_bfe_u32 v7, v0, 23, 8
	v_cmp_gt_u32_e64 s[28:29], s47, v7
	v_sub_u32_e32 v0, 0x71, v7
	v_cmp_eq_u32_e32 vcc, 0, v7
	v_cndmask_b32_e64 v0, 0, v0, s[28:29]
	v_mov_b32_e32 v2, 0x70
	v_cndmask_b32_e32 v13, v0, v2, vcc
	v_add_u32_e32 v2, 21, v13
	v_or_b32_e32 v1, 0x800000, v32
	v_lshlrev_b64 v[14:15], v2, -1
	v_cndmask_b32_e32 v0, v1, v32, vcc
	v_mov_b32_e32 v1, v33
	v_add_u32_e32 v2, 20, v13
	v_bfi_b32 v14, v14, 0, v0
	v_lshlrev_b64 v[16:17], v2, 1
	v_lshrrev_b64 v[0:1], v13, v[0:1]
	v_bfi_b32 v15, v15, 0, 0
	v_cmp_eq_u64_e64 s[28:29], v[14:15], v[16:17]
	v_mov_b32_e32 v2, v1
	v_mov_b32_e32 v1, v0
	s_and_saveexec_b64 s[38:39], s[28:29]
; %bb.6081:                             ;   in Loop: Header=BB6_5473 Depth=4
	v_bfe_u32 v1, v0, 21, 1
	v_add_co_u32_e64 v1, s[28:29], v0, v1
	v_add_co_u32_e64 v1, s[28:29], -1, v1
; %bb.6082:                             ;   in Loop: Header=BB6_5473 Depth=4
	s_or_b64 exec, exec, s[38:39]
	v_add_u32_e32 v2, 0xffffff81, v7
	v_mov_b32_e32 v7, 0xffffff82
	v_cndmask_b32_e32 v2, v2, v7, vcc
	v_lshrrev_b32_e32 v7, 23, v0
	v_add3_u32 v13, v13, v2, v7
	v_add_u32_e32 v7, 14, v13
	v_and_b32_e32 v1, 0x1fffff, v1
	v_add_u32_e32 v32, v1, v0
	v_cmp_ne_u32_e32 vcc, 0, v7
                                        ; implicit-def: $vgpr0_vgpr1
                                        ; implicit-def: $vgpr2
	s_and_saveexec_b64 s[28:29], vcc
	s_xor_b64 s[28:29], exec, s[28:29]
; %bb.6083:                             ;   in Loop: Header=BB6_5473 Depth=4
	v_cmp_lt_u64_e32 vcc, s[88:89], v[32:33]
	v_add_u32_e32 v0, 15, v13
	v_cndmask_b32_e32 v2, v7, v0, vcc
	v_cndmask_b32_e64 v0, 0, 1, vcc
	v_lshrrev_b64 v[0:1], v0, v[32:33]
; %bb.6084:                             ;   in Loop: Header=BB6_5473 Depth=4
	s_andn2_saveexec_b64 s[28:29], s[28:29]
; %bb.6085:                             ;   in Loop: Header=BB6_5473 Depth=4
	v_mov_b32_e32 v0, v32
	v_mov_b32_e32 v1, v33
	v_bfe_u32 v2, v32, 23, 1
; %bb.6086:                             ;   in Loop: Header=BB6_5473 Depth=4
	s_or_b64 exec, exec, s[28:29]
	v_lshrrev_b64 v[0:1], 21, v[0:1]
	v_cmp_gt_i32_e32 vcc, 32, v2
	v_cndmask_b32_e32 v1, 0, v1, vcc
	v_cndmask_b32_e32 v0, 3, v0, vcc
	v_cmp_eq_u64_e64 s[28:29], 0, v[0:1]
	v_min_i32_e32 v1, 31, v2
	v_lshlrev_b32_e32 v1, 2, v1
	v_cmp_eq_u32_e32 vcc, 0, v2
	v_and_b32_e32 v1, 0xfc, v1
	v_and_or_b32 v0, v0, 3, v1
	s_and_b64 s[28:29], vcc, s[28:29]
	v_cndmask_b32_e64 v0, v0, 0, s[28:29]
	v_or_b32_e32 v0, v0, v5
	buffer_store_dword v0, off, s[0:3], s33 offset:336 ; 4-byte Folded Spill
.LBB6_6087:                             ;   in Loop: Header=BB6_5473 Depth=4
	s_or_b64 exec, exec, s[36:37]
                                        ; implicit-def: $vgpr5
.LBB6_6088:                             ;   in Loop: Header=BB6_5473 Depth=4
	s_andn2_saveexec_b64 s[28:29], s[34:35]
	s_cbranch_execz .LBB6_6090
; %bb.6089:                             ;   in Loop: Header=BB6_5473 Depth=4
	v_or_b32_e32 v0, 0x7b, v5
	buffer_store_dword v0, off, s[0:3], s33 offset:336 ; 4-byte Folded Spill
.LBB6_6090:                             ;   in Loop: Header=BB6_5473 Depth=4
	s_or_b64 exec, exec, s[28:29]
                                        ; implicit-def: $vgpr0
.LBB6_6091:                             ;   in Loop: Header=BB6_5473 Depth=4
	s_andn2_saveexec_b64 s[28:29], s[30:31]
	s_cbranch_execz .LBB6_6097
; %bb.6092:                             ;   in Loop: Header=BB6_5473 Depth=4
	v_cmp_ne_u64_e32 vcc, 0, v[32:33]
                                        ; implicit-def: $vgpr1
                                        ; kill: killed $vgpr1
	s_and_saveexec_b64 s[62:63], vcc
	s_xor_b64 vcc, exec, s[62:63]
	s_cbranch_execz .LBB6_6094
; %bb.6093:                             ;   in Loop: Header=BB6_5473 Depth=4
	v_or_b32_sdwa v0, v0, s44 dst_sel:DWORD dst_unused:UNUSED_PAD src0_sel:BYTE_3 src1_sel:DWORD
	buffer_store_dword v0, off, s[0:3], s33 offset:336 ; 4-byte Folded Spill
                                        ; implicit-def: $vgpr0
.LBB6_6094:                             ;   in Loop: Header=BB6_5473 Depth=4
	s_andn2_saveexec_b64 s[30:31], vcc
	s_cbranch_execz .LBB6_6096
; %bb.6095:                             ;   in Loop: Header=BB6_5473 Depth=4
	v_cmp_lt_i32_e32 vcc, -1, v0
	v_bfrev_b32_e32 v0, 0.5
	v_mov_b32_e32 v1, 0x7c
	v_cndmask_b32_e32 v0, v0, v1, vcc
	buffer_store_dword v0, off, s[0:3], s33 offset:336 ; 4-byte Folded Spill
.LBB6_6096:                             ;   in Loop: Header=BB6_5473 Depth=4
	s_or_b64 exec, exec, s[30:31]
.LBB6_6097:                             ;   in Loop: Header=BB6_5473 Depth=4
	s_or_b64 exec, exec, s[28:29]
	v_lshrrev_b32_e32 v0, 16, v9
	v_cmp_ne_u16_sdwa s[62:63], v0, v33 src0_sel:BYTE_0 src1_sel:DWORD
	v_mov_b32_e32 v1, 0
	s_and_saveexec_b64 s[28:29], s[62:63]
	s_cbranch_execz .LBB6_6105
; %bb.6098:                             ;   in Loop: Header=BB6_5473 Depth=4
	v_cmp_ne_u16_sdwa s[62:63], v0, s97 src0_sel:BYTE_0 src1_sel:DWORD
	v_bfrev_b32_e32 v1, 1
	s_and_saveexec_b64 s[30:31], s[62:63]
	s_cbranch_execz .LBB6_6104
; %bb.6099:                             ;   in Loop: Header=BB6_5473 Depth=4
	v_and_b32_e32 v1, 0x7c0000, v9
	v_bfe_u32 v2, v9, 16, 2
	v_cmp_ne_u32_e32 vcc, s45, v1
                                        ; implicit-def: $vgpr1
	s_and_saveexec_b64 s[62:63], vcc
	s_xor_b64 s[34:35], exec, s[62:63]
	s_cbranch_execz .LBB6_6101
; %bb.6100:                             ;   in Loop: Header=BB6_5473 Depth=4
	v_ffbh_u32_e32 v1, v2
	v_min_u32_e32 v7, 32, v1
	v_subrev_u32_e32 v1, 29, v7
	v_lshlrev_b64 v[0:1], v1, v[0:1]
	v_bfe_u32 v5, v9, 18, 5
	v_and_b32_e32 v0, 3, v0
	v_cmp_eq_u32_e32 vcc, 0, v5
	v_sub_u32_e32 v1, 30, v7
	v_cndmask_b32_e32 v0, v2, v0, vcc
	v_lshlrev_b32_e32 v2, 8, v9
	v_cndmask_b32_e32 v1, v5, v1, vcc
	v_and_b32_e32 v2, 0x80000000, v2
	v_lshl_add_u32 v1, v1, 23, v2
	v_lshl_or_b32 v0, v0, 21, v1
	v_add_u32_e32 v1, 0x38000000, v0
                                        ; implicit-def: $vgpr2
                                        ; implicit-def: $vgpr0
.LBB6_6101:                             ;   in Loop: Header=BB6_5473 Depth=4
	s_andn2_saveexec_b64 s[34:35], s[34:35]
; %bb.6102:                             ;   in Loop: Header=BB6_5473 Depth=4
	v_mov_b32_e32 v1, -1
	v_cmp_gt_i16_sdwa vcc, sext(v0), v1 src0_sel:BYTE_0 src1_sel:DWORD
	v_mov_b32_e32 v0, 0xff800000
	v_mov_b32_e32 v1, 0x7f800000
	v_cndmask_b32_e32 v0, v0, v1, vcc
	v_cmp_eq_u32_e32 vcc, 0, v2
	v_mov_b32_e32 v1, 0x7f800001
	v_cndmask_b32_e32 v1, v1, v0, vcc
; %bb.6103:                             ;   in Loop: Header=BB6_5473 Depth=4
	s_or_b64 exec, exec, s[34:35]
.LBB6_6104:                             ;   in Loop: Header=BB6_5473 Depth=4
	s_or_b64 exec, exec, s[30:31]
.LBB6_6105:                             ;   in Loop: Header=BB6_5473 Depth=4
	s_or_b64 exec, exec, s[28:29]
	v_mul_f32_e32 v0, v12, v1
	v_and_b32_e32 v1, 0x7f800000, v0
	v_mov_b32_e32 v2, v33
	v_cmp_ne_u64_e32 vcc, s[76:77], v[1:2]
	v_and_b32_e32 v32, 0x7fffff, v0
                                        ; implicit-def: $vgpr1
                                        ; kill: killed $vgpr1
	s_and_saveexec_b64 s[28:29], vcc
	s_xor_b64 s[30:31], exec, s[28:29]
	s_cbranch_execz .LBB6_6119
; %bb.6106:                             ;   in Loop: Header=BB6_5473 Depth=4
	v_and_b32_e32 v1, 0x7fffffff, v0
	v_mov_b32_e32 v2, v33
	v_cmp_gt_u64_e32 vcc, s[78:79], v[1:2]
	v_and_b32_sdwa v5, v0, s97 dst_sel:DWORD dst_unused:UNUSED_PAD src0_sel:BYTE_3 src1_sel:DWORD
                                        ; implicit-def: $vgpr1
                                        ; kill: killed $vgpr1
	s_and_saveexec_b64 s[28:29], vcc
	s_xor_b64 s[34:35], exec, s[28:29]
	s_cbranch_execz .LBB6_6116
; %bb.6107:                             ;   in Loop: Header=BB6_5473 Depth=4
	v_mov_b32_e32 v1, 0
	v_cmp_ne_u32_e32 vcc, 0, v0
	buffer_store_dword v1, off, s[0:3], s33 offset:348 ; 4-byte Folded Spill
	s_and_saveexec_b64 s[36:37], vcc
	s_cbranch_execz .LBB6_6115
; %bb.6108:                             ;   in Loop: Header=BB6_5473 Depth=4
	v_bfe_u32 v7, v0, 23, 8
	v_cmp_gt_u32_e64 s[28:29], s47, v7
	v_sub_u32_e32 v0, 0x71, v7
	v_cmp_eq_u32_e32 vcc, 0, v7
	v_cndmask_b32_e64 v0, 0, v0, s[28:29]
	v_mov_b32_e32 v2, 0x70
	v_cndmask_b32_e32 v13, v0, v2, vcc
	v_add_u32_e32 v2, 21, v13
	v_or_b32_e32 v1, 0x800000, v32
	v_lshlrev_b64 v[14:15], v2, -1
	v_cndmask_b32_e32 v0, v1, v32, vcc
	v_mov_b32_e32 v1, v33
	v_add_u32_e32 v2, 20, v13
	v_bfi_b32 v14, v14, 0, v0
	v_lshlrev_b64 v[16:17], v2, 1
	v_lshrrev_b64 v[0:1], v13, v[0:1]
	v_bfi_b32 v15, v15, 0, 0
	v_cmp_eq_u64_e64 s[28:29], v[14:15], v[16:17]
	v_mov_b32_e32 v2, v1
	v_mov_b32_e32 v1, v0
	s_and_saveexec_b64 s[38:39], s[28:29]
; %bb.6109:                             ;   in Loop: Header=BB6_5473 Depth=4
	v_bfe_u32 v1, v0, 21, 1
	v_add_co_u32_e64 v1, s[28:29], v0, v1
	v_add_co_u32_e64 v1, s[28:29], -1, v1
; %bb.6110:                             ;   in Loop: Header=BB6_5473 Depth=4
	s_or_b64 exec, exec, s[38:39]
	v_add_u32_e32 v2, 0xffffff81, v7
	v_mov_b32_e32 v7, 0xffffff82
	v_cndmask_b32_e32 v2, v2, v7, vcc
	v_lshrrev_b32_e32 v7, 23, v0
	v_add3_u32 v13, v13, v2, v7
	v_add_u32_e32 v7, 14, v13
	v_and_b32_e32 v1, 0x1fffff, v1
	v_add_u32_e32 v32, v1, v0
	v_cmp_ne_u32_e32 vcc, 0, v7
                                        ; implicit-def: $vgpr0_vgpr1
                                        ; implicit-def: $vgpr2
	s_and_saveexec_b64 s[28:29], vcc
	s_xor_b64 s[28:29], exec, s[28:29]
; %bb.6111:                             ;   in Loop: Header=BB6_5473 Depth=4
	v_cmp_lt_u64_e32 vcc, s[88:89], v[32:33]
	v_add_u32_e32 v0, 15, v13
	v_cndmask_b32_e32 v2, v7, v0, vcc
	v_cndmask_b32_e64 v0, 0, 1, vcc
	v_lshrrev_b64 v[0:1], v0, v[32:33]
; %bb.6112:                             ;   in Loop: Header=BB6_5473 Depth=4
	s_andn2_saveexec_b64 s[28:29], s[28:29]
; %bb.6113:                             ;   in Loop: Header=BB6_5473 Depth=4
	v_mov_b32_e32 v0, v32
	v_mov_b32_e32 v1, v33
	v_bfe_u32 v2, v32, 23, 1
; %bb.6114:                             ;   in Loop: Header=BB6_5473 Depth=4
	s_or_b64 exec, exec, s[28:29]
	v_lshrrev_b64 v[0:1], 21, v[0:1]
	v_cmp_gt_i32_e32 vcc, 32, v2
	v_cndmask_b32_e32 v1, 0, v1, vcc
	v_cndmask_b32_e32 v0, 3, v0, vcc
	v_cmp_eq_u64_e64 s[28:29], 0, v[0:1]
	v_min_i32_e32 v1, 31, v2
	v_lshlrev_b32_e32 v1, 2, v1
	v_cmp_eq_u32_e32 vcc, 0, v2
	v_and_b32_e32 v1, 0xfc, v1
	v_and_or_b32 v0, v0, 3, v1
	s_and_b64 s[28:29], vcc, s[28:29]
	v_cndmask_b32_e64 v0, v0, 0, s[28:29]
	v_or_b32_e32 v0, v0, v5
	buffer_store_dword v0, off, s[0:3], s33 offset:348 ; 4-byte Folded Spill
.LBB6_6115:                             ;   in Loop: Header=BB6_5473 Depth=4
	s_or_b64 exec, exec, s[36:37]
                                        ; implicit-def: $vgpr5
.LBB6_6116:                             ;   in Loop: Header=BB6_5473 Depth=4
	s_andn2_saveexec_b64 s[28:29], s[34:35]
	s_cbranch_execz .LBB6_6118
; %bb.6117:                             ;   in Loop: Header=BB6_5473 Depth=4
	v_or_b32_e32 v0, 0x7b, v5
	buffer_store_dword v0, off, s[0:3], s33 offset:348 ; 4-byte Folded Spill
.LBB6_6118:                             ;   in Loop: Header=BB6_5473 Depth=4
	s_or_b64 exec, exec, s[28:29]
                                        ; implicit-def: $vgpr0
.LBB6_6119:                             ;   in Loop: Header=BB6_5473 Depth=4
	s_andn2_saveexec_b64 s[28:29], s[30:31]
	s_cbranch_execz .LBB6_6125
; %bb.6120:                             ;   in Loop: Header=BB6_5473 Depth=4
	v_cmp_ne_u64_e32 vcc, 0, v[32:33]
                                        ; implicit-def: $vgpr1
                                        ; kill: killed $vgpr1
	s_and_saveexec_b64 s[62:63], vcc
	s_xor_b64 vcc, exec, s[62:63]
	s_cbranch_execz .LBB6_6122
; %bb.6121:                             ;   in Loop: Header=BB6_5473 Depth=4
	v_or_b32_sdwa v0, v0, s44 dst_sel:DWORD dst_unused:UNUSED_PAD src0_sel:BYTE_3 src1_sel:DWORD
	buffer_store_dword v0, off, s[0:3], s33 offset:348 ; 4-byte Folded Spill
                                        ; implicit-def: $vgpr0
.LBB6_6122:                             ;   in Loop: Header=BB6_5473 Depth=4
	s_andn2_saveexec_b64 s[30:31], vcc
	s_cbranch_execz .LBB6_6124
; %bb.6123:                             ;   in Loop: Header=BB6_5473 Depth=4
	v_cmp_lt_i32_e32 vcc, -1, v0
	v_bfrev_b32_e32 v0, 0.5
	v_mov_b32_e32 v1, 0x7c
	v_cndmask_b32_e32 v0, v0, v1, vcc
	buffer_store_dword v0, off, s[0:3], s33 offset:348 ; 4-byte Folded Spill
.LBB6_6124:                             ;   in Loop: Header=BB6_5473 Depth=4
	s_or_b64 exec, exec, s[30:31]
.LBB6_6125:                             ;   in Loop: Header=BB6_5473 Depth=4
	s_or_b64 exec, exec, s[28:29]
	v_cmp_lt_u64_e32 vcc, s[56:57], v[8:9]
	v_mov_b32_e32 v1, 0
	s_and_saveexec_b64 s[28:29], vcc
	s_cbranch_execz .LBB6_6133
; %bb.6126:                             ;   in Loop: Header=BB6_5473 Depth=4
	v_lshrrev_b32_e32 v0, 24, v9
	v_cmp_ne_u32_e32 vcc, s97, v0
	v_bfrev_b32_e32 v1, 1
	s_and_saveexec_b64 s[30:31], vcc
	s_cbranch_execz .LBB6_6132
; %bb.6127:                             ;   in Loop: Header=BB6_5473 Depth=4
	v_and_b32_e32 v1, 0x7c000000, v9
	v_bfe_u32 v2, v9, 24, 2
	v_cmp_ne_u32_e32 vcc, s68, v1
                                        ; implicit-def: $vgpr1
	s_and_saveexec_b64 s[62:63], vcc
	s_xor_b64 s[34:35], exec, s[62:63]
	s_cbranch_execz .LBB6_6129
; %bb.6128:                             ;   in Loop: Header=BB6_5473 Depth=4
	v_ffbh_u32_e32 v1, v2
	v_min_u32_e32 v7, 32, v1
	v_subrev_u32_e32 v1, 29, v7
	v_lshlrev_b64 v[0:1], v1, v[0:1]
	v_bfe_u32 v5, v9, 26, 5
	v_sub_u32_e32 v1, 30, v7
	v_and_b32_e32 v0, 3, v0
	v_cmp_eq_u32_e32 vcc, 0, v5
	v_cndmask_b32_e32 v1, v5, v1, vcc
	v_cndmask_b32_e32 v0, v2, v0, vcc
	v_and_b32_e32 v2, 0x80000000, v9
	v_lshl_add_u32 v1, v1, 23, v2
	v_lshl_or_b32 v0, v0, 21, v1
	v_add_u32_e32 v1, 0x38000000, v0
                                        ; implicit-def: $vgpr2
.LBB6_6129:                             ;   in Loop: Header=BB6_5473 Depth=4
	s_andn2_saveexec_b64 s[34:35], s[34:35]
; %bb.6130:                             ;   in Loop: Header=BB6_5473 Depth=4
	v_cmp_lt_i64_e32 vcc, -1, v[8:9]
	v_mov_b32_e32 v0, 0xff800000
	v_mov_b32_e32 v1, 0x7f800000
	v_cndmask_b32_e32 v0, v0, v1, vcc
	v_cmp_eq_u32_e32 vcc, 0, v2
	v_mov_b32_e32 v1, 0x7f800001
	v_cndmask_b32_e32 v1, v1, v0, vcc
; %bb.6131:                             ;   in Loop: Header=BB6_5473 Depth=4
	s_or_b64 exec, exec, s[34:35]
.LBB6_6132:                             ;   in Loop: Header=BB6_5473 Depth=4
	s_or_b64 exec, exec, s[30:31]
.LBB6_6133:                             ;   in Loop: Header=BB6_5473 Depth=4
	s_or_b64 exec, exec, s[28:29]
	v_mul_f32_e32 v0, v12, v1
	v_and_b32_e32 v1, 0x7f800000, v0
	v_mov_b32_e32 v2, v33
	v_cmp_ne_u64_e32 vcc, s[76:77], v[1:2]
	v_and_b32_e32 v32, 0x7fffff, v0
                                        ; implicit-def: $vgpr1
                                        ; kill: killed $vgpr1
	s_and_saveexec_b64 s[28:29], vcc
	s_xor_b64 s[30:31], exec, s[28:29]
	s_cbranch_execz .LBB6_6147
; %bb.6134:                             ;   in Loop: Header=BB6_5473 Depth=4
	v_and_b32_e32 v1, 0x7fffffff, v0
	v_mov_b32_e32 v2, v33
	v_cmp_gt_u64_e32 vcc, s[78:79], v[1:2]
	v_and_b32_sdwa v5, v0, s97 dst_sel:DWORD dst_unused:UNUSED_PAD src0_sel:BYTE_3 src1_sel:DWORD
                                        ; implicit-def: $vgpr1
                                        ; kill: killed $vgpr1
	s_and_saveexec_b64 s[28:29], vcc
	s_xor_b64 s[34:35], exec, s[28:29]
	s_cbranch_execz .LBB6_6144
; %bb.6135:                             ;   in Loop: Header=BB6_5473 Depth=4
	v_mov_b32_e32 v1, 0
	v_cmp_ne_u32_e32 vcc, 0, v0
	buffer_store_dword v1, off, s[0:3], s33 offset:360 ; 4-byte Folded Spill
	s_and_saveexec_b64 s[36:37], vcc
	s_cbranch_execz .LBB6_6143
; %bb.6136:                             ;   in Loop: Header=BB6_5473 Depth=4
	v_bfe_u32 v7, v0, 23, 8
	v_cmp_gt_u32_e64 s[28:29], s47, v7
	v_sub_u32_e32 v0, 0x71, v7
	v_cmp_eq_u32_e32 vcc, 0, v7
	v_cndmask_b32_e64 v0, 0, v0, s[28:29]
	v_mov_b32_e32 v2, 0x70
	v_cndmask_b32_e32 v8, v0, v2, vcc
	v_add_u32_e32 v2, 21, v8
	v_or_b32_e32 v1, 0x800000, v32
	v_lshlrev_b64 v[13:14], v2, -1
	v_cndmask_b32_e32 v0, v1, v32, vcc
	v_mov_b32_e32 v1, v33
	v_add_u32_e32 v2, 20, v8
	v_bfi_b32 v13, v13, 0, v0
	v_lshlrev_b64 v[15:16], v2, 1
	v_lshrrev_b64 v[0:1], v8, v[0:1]
	v_bfi_b32 v14, v14, 0, 0
	v_cmp_eq_u64_e64 s[28:29], v[13:14], v[15:16]
	v_mov_b32_e32 v2, v1
	v_mov_b32_e32 v1, v0
	s_and_saveexec_b64 s[38:39], s[28:29]
; %bb.6137:                             ;   in Loop: Header=BB6_5473 Depth=4
	v_bfe_u32 v1, v0, 21, 1
	v_add_co_u32_e64 v1, s[28:29], v0, v1
	v_add_co_u32_e64 v1, s[28:29], -1, v1
; %bb.6138:                             ;   in Loop: Header=BB6_5473 Depth=4
	s_or_b64 exec, exec, s[38:39]
	v_add_u32_e32 v2, 0xffffff81, v7
	v_mov_b32_e32 v7, 0xffffff82
	v_cndmask_b32_e32 v2, v2, v7, vcc
	v_lshrrev_b32_e32 v7, 23, v0
	v_add3_u32 v8, v8, v2, v7
	v_add_u32_e32 v7, 14, v8
	v_and_b32_e32 v1, 0x1fffff, v1
	v_add_u32_e32 v32, v1, v0
	v_cmp_ne_u32_e32 vcc, 0, v7
                                        ; implicit-def: $vgpr0_vgpr1
                                        ; implicit-def: $vgpr2
	s_and_saveexec_b64 s[28:29], vcc
	s_xor_b64 s[28:29], exec, s[28:29]
; %bb.6139:                             ;   in Loop: Header=BB6_5473 Depth=4
	v_cmp_lt_u64_e32 vcc, s[88:89], v[32:33]
	v_add_u32_e32 v0, 15, v8
	v_cndmask_b32_e32 v2, v7, v0, vcc
	v_cndmask_b32_e64 v0, 0, 1, vcc
	v_lshrrev_b64 v[0:1], v0, v[32:33]
; %bb.6140:                             ;   in Loop: Header=BB6_5473 Depth=4
	s_andn2_saveexec_b64 s[28:29], s[28:29]
; %bb.6141:                             ;   in Loop: Header=BB6_5473 Depth=4
	v_mov_b32_e32 v0, v32
	v_mov_b32_e32 v1, v33
	v_bfe_u32 v2, v32, 23, 1
; %bb.6142:                             ;   in Loop: Header=BB6_5473 Depth=4
	s_or_b64 exec, exec, s[28:29]
	v_lshrrev_b64 v[0:1], 21, v[0:1]
	v_cmp_gt_i32_e32 vcc, 32, v2
	v_cndmask_b32_e32 v1, 0, v1, vcc
	v_cndmask_b32_e32 v0, 3, v0, vcc
	v_cmp_eq_u64_e64 s[28:29], 0, v[0:1]
	v_min_i32_e32 v1, 31, v2
	v_lshlrev_b32_e32 v1, 2, v1
	v_cmp_eq_u32_e32 vcc, 0, v2
	v_and_b32_e32 v1, 0xfc, v1
	v_and_or_b32 v0, v0, 3, v1
	s_and_b64 s[28:29], vcc, s[28:29]
	v_cndmask_b32_e64 v0, v0, 0, s[28:29]
	v_or_b32_e32 v0, v0, v5
	buffer_store_dword v0, off, s[0:3], s33 offset:360 ; 4-byte Folded Spill
.LBB6_6143:                             ;   in Loop: Header=BB6_5473 Depth=4
	s_or_b64 exec, exec, s[36:37]
                                        ; implicit-def: $vgpr5
.LBB6_6144:                             ;   in Loop: Header=BB6_5473 Depth=4
	s_andn2_saveexec_b64 s[28:29], s[34:35]
	s_cbranch_execz .LBB6_6146
; %bb.6145:                             ;   in Loop: Header=BB6_5473 Depth=4
	v_or_b32_e32 v0, 0x7b, v5
	buffer_store_dword v0, off, s[0:3], s33 offset:360 ; 4-byte Folded Spill
.LBB6_6146:                             ;   in Loop: Header=BB6_5473 Depth=4
	s_or_b64 exec, exec, s[28:29]
                                        ; implicit-def: $vgpr0
.LBB6_6147:                             ;   in Loop: Header=BB6_5473 Depth=4
	s_andn2_saveexec_b64 s[28:29], s[30:31]
	s_cbranch_execz .LBB6_6153
; %bb.6148:                             ;   in Loop: Header=BB6_5473 Depth=4
	v_cmp_ne_u64_e32 vcc, 0, v[32:33]
                                        ; implicit-def: $vgpr1
                                        ; kill: killed $vgpr1
	s_and_saveexec_b64 s[62:63], vcc
	s_xor_b64 vcc, exec, s[62:63]
	s_cbranch_execz .LBB6_6150
; %bb.6149:                             ;   in Loop: Header=BB6_5473 Depth=4
	v_or_b32_sdwa v0, v0, s44 dst_sel:DWORD dst_unused:UNUSED_PAD src0_sel:BYTE_3 src1_sel:DWORD
	buffer_store_dword v0, off, s[0:3], s33 offset:360 ; 4-byte Folded Spill
                                        ; implicit-def: $vgpr0
.LBB6_6150:                             ;   in Loop: Header=BB6_5473 Depth=4
	s_andn2_saveexec_b64 s[30:31], vcc
	s_cbranch_execz .LBB6_6152
; %bb.6151:                             ;   in Loop: Header=BB6_5473 Depth=4
	v_cmp_lt_i32_e32 vcc, -1, v0
	v_bfrev_b32_e32 v0, 0.5
	v_mov_b32_e32 v1, 0x7c
	v_cndmask_b32_e32 v0, v0, v1, vcc
	buffer_store_dword v0, off, s[0:3], s33 offset:360 ; 4-byte Folded Spill
.LBB6_6152:                             ;   in Loop: Header=BB6_5473 Depth=4
	s_or_b64 exec, exec, s[30:31]
.LBB6_6153:                             ;   in Loop: Header=BB6_5473 Depth=4
	s_or_b64 exec, exec, s[28:29]
	v_cmp_ne_u16_sdwa s[62:63], v10, v33 src0_sel:BYTE_0 src1_sel:DWORD
	v_mov_b32_e32 v0, 0
	s_and_saveexec_b64 s[28:29], s[62:63]
	s_cbranch_execz .LBB6_6161
; %bb.6154:                             ;   in Loop: Header=BB6_5473 Depth=4
	v_cmp_ne_u16_sdwa s[62:63], sext(v10), s46 src0_sel:BYTE_0 src1_sel:DWORD
	v_bfrev_b32_e32 v0, 1
	s_and_saveexec_b64 s[30:31], s[62:63]
	s_cbranch_execz .LBB6_6160
; %bb.6155:                             ;   in Loop: Header=BB6_5473 Depth=4
	v_and_b32_e32 v0, 0x7c, v10
	v_and_b32_e32 v1, 3, v10
	v_cmp_ne_u32_e32 vcc, s86, v0
                                        ; implicit-def: $vgpr0
	s_and_saveexec_b64 s[62:63], vcc
	s_xor_b64 s[34:35], exec, s[62:63]
	s_cbranch_execz .LBB6_6157
; %bb.6156:                             ;   in Loop: Header=BB6_5473 Depth=4
	v_ffbh_u32_e32 v2, v1
	v_min_u32_e32 v2, 32, v2
	v_bfe_u32 v0, v10, 2, 5
	v_subrev_u32_e32 v5, 29, v2
	v_lshlrev_b64 v[7:8], v5, v[10:11]
	v_sub_u32_e32 v2, 30, v2
	v_cmp_eq_u32_e32 vcc, 0, v0
	v_cndmask_b32_e32 v0, v0, v2, vcc
	v_lshlrev_b32_e32 v2, 24, v10
	v_and_b32_e32 v5, 3, v7
	v_and_b32_e32 v2, 0x80000000, v2
	v_cndmask_b32_e32 v1, v1, v5, vcc
	v_lshl_add_u32 v0, v0, 23, v2
	v_lshl_or_b32 v0, v1, 21, v0
	v_add_u32_e32 v0, 0x38000000, v0
                                        ; implicit-def: $vgpr1
.LBB6_6157:                             ;   in Loop: Header=BB6_5473 Depth=4
	s_andn2_saveexec_b64 s[34:35], s[34:35]
; %bb.6158:                             ;   in Loop: Header=BB6_5473 Depth=4
	v_mov_b32_e32 v0, -1
	v_cmp_gt_i16_sdwa vcc, sext(v10), v0 src0_sel:BYTE_0 src1_sel:DWORD
	v_mov_b32_e32 v0, 0xff800000
	v_mov_b32_e32 v2, 0x7f800000
	v_cndmask_b32_e32 v0, v0, v2, vcc
	v_cmp_eq_u32_e32 vcc, 0, v1
	v_mov_b32_e32 v1, 0x7f800001
	v_cndmask_b32_e32 v0, v1, v0, vcc
; %bb.6159:                             ;   in Loop: Header=BB6_5473 Depth=4
	s_or_b64 exec, exec, s[34:35]
.LBB6_6160:                             ;   in Loop: Header=BB6_5473 Depth=4
	s_or_b64 exec, exec, s[30:31]
.LBB6_6161:                             ;   in Loop: Header=BB6_5473 Depth=4
	s_or_b64 exec, exec, s[28:29]
	v_mul_f32_e32 v0, v12, v0
	v_and_b32_e32 v1, 0x7f800000, v0
	v_mov_b32_e32 v2, v33
	v_cmp_ne_u64_e32 vcc, s[76:77], v[1:2]
	v_and_b32_e32 v32, 0x7fffff, v0
                                        ; implicit-def: $vgpr31
	s_and_saveexec_b64 s[28:29], vcc
	s_xor_b64 s[30:31], exec, s[28:29]
	s_cbranch_execz .LBB6_6175
; %bb.6162:                             ;   in Loop: Header=BB6_5473 Depth=4
	v_and_b32_e32 v1, 0x7fffffff, v0
	v_mov_b32_e32 v2, v33
	v_cmp_gt_u64_e32 vcc, s[78:79], v[1:2]
	v_and_b32_sdwa v5, v0, s97 dst_sel:DWORD dst_unused:UNUSED_PAD src0_sel:BYTE_3 src1_sel:DWORD
                                        ; implicit-def: $vgpr31
	s_and_saveexec_b64 s[28:29], vcc
	s_xor_b64 s[34:35], exec, s[28:29]
	s_cbranch_execz .LBB6_6172
; %bb.6163:                             ;   in Loop: Header=BB6_5473 Depth=4
	v_mov_b32_e32 v31, 0
	v_cmp_ne_u32_e32 vcc, 0, v0
	s_and_saveexec_b64 s[36:37], vcc
	s_cbranch_execz .LBB6_6171
; %bb.6164:                             ;   in Loop: Header=BB6_5473 Depth=4
	v_bfe_u32 v7, v0, 23, 8
	v_cmp_gt_u32_e64 s[28:29], s47, v7
	v_sub_u32_e32 v0, 0x71, v7
	v_cmp_eq_u32_e32 vcc, 0, v7
	v_cndmask_b32_e64 v0, 0, v0, s[28:29]
	v_mov_b32_e32 v2, 0x70
	v_cndmask_b32_e32 v8, v0, v2, vcc
	v_add_u32_e32 v2, 21, v8
	v_or_b32_e32 v1, 0x800000, v32
	v_lshlrev_b64 v[13:14], v2, -1
	v_cndmask_b32_e32 v0, v1, v32, vcc
	v_mov_b32_e32 v1, v33
	v_add_u32_e32 v2, 20, v8
	v_bfi_b32 v13, v13, 0, v0
	v_lshlrev_b64 v[15:16], v2, 1
	v_lshrrev_b64 v[0:1], v8, v[0:1]
	v_bfi_b32 v14, v14, 0, 0
	v_cmp_eq_u64_e64 s[28:29], v[13:14], v[15:16]
	v_mov_b32_e32 v2, v1
	v_mov_b32_e32 v1, v0
	s_and_saveexec_b64 s[38:39], s[28:29]
; %bb.6165:                             ;   in Loop: Header=BB6_5473 Depth=4
	v_bfe_u32 v1, v0, 21, 1
	v_add_co_u32_e64 v1, s[28:29], v0, v1
	v_add_co_u32_e64 v1, s[28:29], -1, v1
; %bb.6166:                             ;   in Loop: Header=BB6_5473 Depth=4
	s_or_b64 exec, exec, s[38:39]
	v_add_u32_e32 v2, 0xffffff81, v7
	v_mov_b32_e32 v7, 0xffffff82
	v_cndmask_b32_e32 v2, v2, v7, vcc
	v_lshrrev_b32_e32 v7, 23, v0
	v_add3_u32 v8, v8, v2, v7
	v_add_u32_e32 v7, 14, v8
	v_and_b32_e32 v1, 0x1fffff, v1
	v_add_u32_e32 v32, v1, v0
	v_cmp_ne_u32_e32 vcc, 0, v7
                                        ; implicit-def: $vgpr0_vgpr1
                                        ; implicit-def: $vgpr2
	s_and_saveexec_b64 s[28:29], vcc
	s_xor_b64 s[28:29], exec, s[28:29]
; %bb.6167:                             ;   in Loop: Header=BB6_5473 Depth=4
	v_cmp_lt_u64_e32 vcc, s[88:89], v[32:33]
	v_add_u32_e32 v0, 15, v8
	v_cndmask_b32_e32 v2, v7, v0, vcc
	v_cndmask_b32_e64 v0, 0, 1, vcc
	v_lshrrev_b64 v[0:1], v0, v[32:33]
; %bb.6168:                             ;   in Loop: Header=BB6_5473 Depth=4
	s_andn2_saveexec_b64 s[28:29], s[28:29]
; %bb.6169:                             ;   in Loop: Header=BB6_5473 Depth=4
	v_mov_b32_e32 v0, v32
	v_mov_b32_e32 v1, v33
	v_bfe_u32 v2, v32, 23, 1
; %bb.6170:                             ;   in Loop: Header=BB6_5473 Depth=4
	s_or_b64 exec, exec, s[28:29]
	v_lshrrev_b64 v[0:1], 21, v[0:1]
	v_cmp_gt_i32_e32 vcc, 32, v2
	v_cndmask_b32_e32 v1, 0, v1, vcc
	v_cndmask_b32_e32 v0, 3, v0, vcc
	v_cmp_eq_u64_e64 s[28:29], 0, v[0:1]
	v_min_i32_e32 v1, 31, v2
	v_lshlrev_b32_e32 v1, 2, v1
	v_cmp_eq_u32_e32 vcc, 0, v2
	v_and_b32_e32 v1, 0xfc, v1
	v_and_or_b32 v0, v0, 3, v1
	s_and_b64 s[28:29], vcc, s[28:29]
	v_cndmask_b32_e64 v0, v0, 0, s[28:29]
	v_or_b32_e32 v31, v0, v5
.LBB6_6171:                             ;   in Loop: Header=BB6_5473 Depth=4
	s_or_b64 exec, exec, s[36:37]
                                        ; implicit-def: $vgpr5
.LBB6_6172:                             ;   in Loop: Header=BB6_5473 Depth=4
	s_andn2_saveexec_b64 s[28:29], s[34:35]
; %bb.6173:                             ;   in Loop: Header=BB6_5473 Depth=4
	v_or_b32_e32 v31, 0x7b, v5
; %bb.6174:                             ;   in Loop: Header=BB6_5473 Depth=4
	s_or_b64 exec, exec, s[28:29]
                                        ; implicit-def: $vgpr0
.LBB6_6175:                             ;   in Loop: Header=BB6_5473 Depth=4
	s_andn2_saveexec_b64 s[28:29], s[30:31]
	s_cbranch_execz .LBB6_6181
; %bb.6176:                             ;   in Loop: Header=BB6_5473 Depth=4
	v_cmp_ne_u64_e32 vcc, 0, v[32:33]
                                        ; implicit-def: $vgpr31
	s_and_saveexec_b64 s[62:63], vcc
	s_xor_b64 vcc, exec, s[62:63]
; %bb.6177:                             ;   in Loop: Header=BB6_5473 Depth=4
	v_or_b32_sdwa v31, v0, s44 dst_sel:DWORD dst_unused:UNUSED_PAD src0_sel:BYTE_3 src1_sel:DWORD
                                        ; implicit-def: $vgpr0
; %bb.6178:                             ;   in Loop: Header=BB6_5473 Depth=4
	s_andn2_saveexec_b64 s[30:31], vcc
; %bb.6179:                             ;   in Loop: Header=BB6_5473 Depth=4
	v_cmp_lt_i32_e32 vcc, -1, v0
	v_bfrev_b32_e32 v0, 0.5
	v_mov_b32_e32 v1, 0x7c
	v_cndmask_b32_e32 v31, v0, v1, vcc
; %bb.6180:                             ;   in Loop: Header=BB6_5473 Depth=4
	s_or_b64 exec, exec, s[30:31]
.LBB6_6181:                             ;   in Loop: Header=BB6_5473 Depth=4
	s_or_b64 exec, exec, s[28:29]
	v_lshrrev_b16_e32 v0, 8, v10
	v_cmp_ne_u16_e32 vcc, 0, v0
	v_mov_b32_e32 v1, 0
	s_and_saveexec_b64 s[28:29], vcc
	s_cbranch_execz .LBB6_6189
; %bb.6182:                             ;   in Loop: Header=BB6_5473 Depth=4
	v_cmp_ne_u16_e32 vcc, s97, v0
	v_bfrev_b32_e32 v1, 1
	s_and_saveexec_b64 s[30:31], vcc
	s_cbranch_execz .LBB6_6188
; %bb.6183:                             ;   in Loop: Header=BB6_5473 Depth=4
	v_and_b32_e32 v1, 0x7c, v0
	v_and_b32_e32 v2, 3, v0
	v_cmp_ne_u32_e32 vcc, s86, v1
                                        ; implicit-def: $vgpr1
	s_and_saveexec_b64 s[62:63], vcc
	s_xor_b64 s[34:35], exec, s[62:63]
	s_cbranch_execz .LBB6_6185
; %bb.6184:                             ;   in Loop: Header=BB6_5473 Depth=4
	v_ffbh_u32_e32 v7, v2
	v_min_u32_e32 v7, 32, v7
	v_mov_b32_e32 v1, v33
	v_subrev_u32_e32 v8, 29, v7
	v_bfe_u32 v5, v0, 2, 5
	v_lshlrev_b64 v[0:1], v8, v[0:1]
	v_cmp_eq_u32_e32 vcc, 0, v5
	v_and_b32_e32 v0, 3, v0
	v_sub_u32_e32 v1, 30, v7
	v_cndmask_b32_e32 v0, v2, v0, vcc
	v_lshlrev_b32_e32 v2, 16, v10
	v_cndmask_b32_e32 v1, v5, v1, vcc
	v_and_b32_e32 v2, 0x80000000, v2
	v_lshl_add_u32 v1, v1, 23, v2
	v_lshl_or_b32 v0, v0, 21, v1
	v_add_u32_e32 v1, 0x38000000, v0
                                        ; implicit-def: $vgpr2
.LBB6_6185:                             ;   in Loop: Header=BB6_5473 Depth=4
	s_andn2_saveexec_b64 s[34:35], s[34:35]
; %bb.6186:                             ;   in Loop: Header=BB6_5473 Depth=4
	v_cmp_lt_i16_e32 vcc, -1, v10
	v_mov_b32_e32 v0, 0xff800000
	v_mov_b32_e32 v1, 0x7f800000
	v_cndmask_b32_e32 v0, v0, v1, vcc
	v_cmp_eq_u32_e32 vcc, 0, v2
	v_mov_b32_e32 v1, 0x7f800001
	v_cndmask_b32_e32 v1, v1, v0, vcc
; %bb.6187:                             ;   in Loop: Header=BB6_5473 Depth=4
	s_or_b64 exec, exec, s[34:35]
.LBB6_6188:                             ;   in Loop: Header=BB6_5473 Depth=4
	s_or_b64 exec, exec, s[30:31]
.LBB6_6189:                             ;   in Loop: Header=BB6_5473 Depth=4
	s_or_b64 exec, exec, s[28:29]
	v_mul_f32_e32 v0, v12, v1
	v_and_b32_e32 v1, 0x7f800000, v0
	v_mov_b32_e32 v2, v33
	v_cmp_ne_u64_e32 vcc, s[76:77], v[1:2]
	v_and_b32_e32 v32, 0x7fffff, v0
                                        ; implicit-def: $vgpr1
                                        ; kill: killed $vgpr1
	s_and_saveexec_b64 s[28:29], vcc
	s_xor_b64 s[30:31], exec, s[28:29]
	s_cbranch_execz .LBB6_6203
; %bb.6190:                             ;   in Loop: Header=BB6_5473 Depth=4
	v_and_b32_e32 v1, 0x7fffffff, v0
	v_mov_b32_e32 v2, v33
	v_cmp_gt_u64_e32 vcc, s[78:79], v[1:2]
	v_and_b32_sdwa v5, v0, s97 dst_sel:DWORD dst_unused:UNUSED_PAD src0_sel:BYTE_3 src1_sel:DWORD
                                        ; implicit-def: $vgpr1
                                        ; kill: killed $vgpr1
	s_and_saveexec_b64 s[28:29], vcc
	s_xor_b64 s[34:35], exec, s[28:29]
	s_cbranch_execz .LBB6_6200
; %bb.6191:                             ;   in Loop: Header=BB6_5473 Depth=4
	v_mov_b32_e32 v1, 0
	v_cmp_ne_u32_e32 vcc, 0, v0
	buffer_store_dword v1, off, s[0:3], s33 offset:320 ; 4-byte Folded Spill
	s_and_saveexec_b64 s[36:37], vcc
	s_cbranch_execz .LBB6_6199
; %bb.6192:                             ;   in Loop: Header=BB6_5473 Depth=4
	v_bfe_u32 v7, v0, 23, 8
	v_cmp_gt_u32_e64 s[28:29], s47, v7
	v_sub_u32_e32 v0, 0x71, v7
	v_cmp_eq_u32_e32 vcc, 0, v7
	v_cndmask_b32_e64 v0, 0, v0, s[28:29]
	v_mov_b32_e32 v2, 0x70
	v_cndmask_b32_e32 v8, v0, v2, vcc
	v_add_u32_e32 v2, 21, v8
	v_or_b32_e32 v1, 0x800000, v32
	v_lshlrev_b64 v[13:14], v2, -1
	v_cndmask_b32_e32 v0, v1, v32, vcc
	v_mov_b32_e32 v1, v33
	v_add_u32_e32 v2, 20, v8
	v_bfi_b32 v13, v13, 0, v0
	v_lshlrev_b64 v[15:16], v2, 1
	v_lshrrev_b64 v[0:1], v8, v[0:1]
	v_bfi_b32 v14, v14, 0, 0
	v_cmp_eq_u64_e64 s[28:29], v[13:14], v[15:16]
	v_mov_b32_e32 v2, v1
	v_mov_b32_e32 v1, v0
	s_and_saveexec_b64 s[38:39], s[28:29]
; %bb.6193:                             ;   in Loop: Header=BB6_5473 Depth=4
	v_bfe_u32 v1, v0, 21, 1
	v_add_co_u32_e64 v1, s[28:29], v0, v1
	v_add_co_u32_e64 v1, s[28:29], -1, v1
; %bb.6194:                             ;   in Loop: Header=BB6_5473 Depth=4
	s_or_b64 exec, exec, s[38:39]
	v_add_u32_e32 v2, 0xffffff81, v7
	v_mov_b32_e32 v7, 0xffffff82
	v_cndmask_b32_e32 v2, v2, v7, vcc
	v_lshrrev_b32_e32 v7, 23, v0
	v_add3_u32 v8, v8, v2, v7
	v_add_u32_e32 v7, 14, v8
	v_and_b32_e32 v1, 0x1fffff, v1
	v_add_u32_e32 v32, v1, v0
	v_cmp_ne_u32_e32 vcc, 0, v7
                                        ; implicit-def: $vgpr0_vgpr1
                                        ; implicit-def: $vgpr2
	s_and_saveexec_b64 s[28:29], vcc
	s_xor_b64 s[28:29], exec, s[28:29]
; %bb.6195:                             ;   in Loop: Header=BB6_5473 Depth=4
	v_cmp_lt_u64_e32 vcc, s[88:89], v[32:33]
	v_add_u32_e32 v0, 15, v8
	v_cndmask_b32_e32 v2, v7, v0, vcc
	v_cndmask_b32_e64 v0, 0, 1, vcc
	v_lshrrev_b64 v[0:1], v0, v[32:33]
; %bb.6196:                             ;   in Loop: Header=BB6_5473 Depth=4
	s_andn2_saveexec_b64 s[28:29], s[28:29]
; %bb.6197:                             ;   in Loop: Header=BB6_5473 Depth=4
	v_mov_b32_e32 v0, v32
	v_mov_b32_e32 v1, v33
	v_bfe_u32 v2, v32, 23, 1
; %bb.6198:                             ;   in Loop: Header=BB6_5473 Depth=4
	s_or_b64 exec, exec, s[28:29]
	v_lshrrev_b64 v[0:1], 21, v[0:1]
	v_cmp_gt_i32_e32 vcc, 32, v2
	v_cndmask_b32_e32 v1, 0, v1, vcc
	v_cndmask_b32_e32 v0, 3, v0, vcc
	v_cmp_eq_u64_e64 s[28:29], 0, v[0:1]
	v_min_i32_e32 v1, 31, v2
	v_lshlrev_b32_e32 v1, 2, v1
	v_cmp_eq_u32_e32 vcc, 0, v2
	v_and_b32_e32 v1, 0xfc, v1
	v_and_or_b32 v0, v0, 3, v1
	s_and_b64 s[28:29], vcc, s[28:29]
	v_cndmask_b32_e64 v0, v0, 0, s[28:29]
	v_or_b32_e32 v0, v0, v5
	buffer_store_dword v0, off, s[0:3], s33 offset:320 ; 4-byte Folded Spill
.LBB6_6199:                             ;   in Loop: Header=BB6_5473 Depth=4
	s_or_b64 exec, exec, s[36:37]
                                        ; implicit-def: $vgpr5
.LBB6_6200:                             ;   in Loop: Header=BB6_5473 Depth=4
	s_andn2_saveexec_b64 s[28:29], s[34:35]
	s_cbranch_execz .LBB6_6202
; %bb.6201:                             ;   in Loop: Header=BB6_5473 Depth=4
	v_or_b32_e32 v0, 0x7b, v5
	buffer_store_dword v0, off, s[0:3], s33 offset:320 ; 4-byte Folded Spill
.LBB6_6202:                             ;   in Loop: Header=BB6_5473 Depth=4
	s_or_b64 exec, exec, s[28:29]
                                        ; implicit-def: $vgpr0
.LBB6_6203:                             ;   in Loop: Header=BB6_5473 Depth=4
	s_andn2_saveexec_b64 s[28:29], s[30:31]
	s_cbranch_execz .LBB6_6209
; %bb.6204:                             ;   in Loop: Header=BB6_5473 Depth=4
	v_cmp_ne_u64_e32 vcc, 0, v[32:33]
                                        ; implicit-def: $vgpr1
                                        ; kill: killed $vgpr1
	s_and_saveexec_b64 s[62:63], vcc
	s_xor_b64 vcc, exec, s[62:63]
	s_cbranch_execz .LBB6_6206
; %bb.6205:                             ;   in Loop: Header=BB6_5473 Depth=4
	v_or_b32_sdwa v0, v0, s44 dst_sel:DWORD dst_unused:UNUSED_PAD src0_sel:BYTE_3 src1_sel:DWORD
	buffer_store_dword v0, off, s[0:3], s33 offset:320 ; 4-byte Folded Spill
                                        ; implicit-def: $vgpr0
.LBB6_6206:                             ;   in Loop: Header=BB6_5473 Depth=4
	s_andn2_saveexec_b64 s[30:31], vcc
	s_cbranch_execz .LBB6_6208
; %bb.6207:                             ;   in Loop: Header=BB6_5473 Depth=4
	v_cmp_lt_i32_e32 vcc, -1, v0
	v_bfrev_b32_e32 v0, 0.5
	v_mov_b32_e32 v1, 0x7c
	v_cndmask_b32_e32 v0, v0, v1, vcc
	buffer_store_dword v0, off, s[0:3], s33 offset:320 ; 4-byte Folded Spill
.LBB6_6208:                             ;   in Loop: Header=BB6_5473 Depth=4
	s_or_b64 exec, exec, s[30:31]
.LBB6_6209:                             ;   in Loop: Header=BB6_5473 Depth=4
	s_or_b64 exec, exec, s[28:29]
	v_lshrrev_b32_e32 v0, 16, v10
	v_cmp_ne_u16_sdwa s[62:63], v0, v33 src0_sel:BYTE_0 src1_sel:DWORD
	v_mov_b32_e32 v1, 0
	s_and_saveexec_b64 s[28:29], s[62:63]
	s_cbranch_execz .LBB6_6217
; %bb.6210:                             ;   in Loop: Header=BB6_5473 Depth=4
	v_cmp_ne_u16_sdwa s[62:63], v0, s97 src0_sel:BYTE_0 src1_sel:DWORD
	v_bfrev_b32_e32 v1, 1
	s_and_saveexec_b64 s[30:31], s[62:63]
	s_cbranch_execz .LBB6_6216
; %bb.6211:                             ;   in Loop: Header=BB6_5473 Depth=4
	v_and_b32_e32 v1, 0x7c0000, v10
	v_bfe_u32 v2, v10, 16, 2
	v_cmp_ne_u32_e32 vcc, s45, v1
                                        ; implicit-def: $vgpr1
	s_and_saveexec_b64 s[62:63], vcc
	s_xor_b64 s[34:35], exec, s[62:63]
	s_cbranch_execz .LBB6_6213
; %bb.6212:                             ;   in Loop: Header=BB6_5473 Depth=4
	v_ffbh_u32_e32 v1, v2
	v_min_u32_e32 v7, 32, v1
	v_subrev_u32_e32 v1, 29, v7
	v_lshlrev_b64 v[0:1], v1, v[0:1]
	v_bfe_u32 v5, v10, 18, 5
	v_and_b32_e32 v0, 3, v0
	v_cmp_eq_u32_e32 vcc, 0, v5
	v_sub_u32_e32 v1, 30, v7
	v_cndmask_b32_e32 v0, v2, v0, vcc
	v_lshlrev_b32_e32 v2, 8, v10
	v_cndmask_b32_e32 v1, v5, v1, vcc
	v_and_b32_e32 v2, 0x80000000, v2
	v_lshl_add_u32 v1, v1, 23, v2
	v_lshl_or_b32 v0, v0, 21, v1
	v_add_u32_e32 v1, 0x38000000, v0
                                        ; implicit-def: $vgpr2
                                        ; implicit-def: $vgpr0
.LBB6_6213:                             ;   in Loop: Header=BB6_5473 Depth=4
	s_andn2_saveexec_b64 s[34:35], s[34:35]
; %bb.6214:                             ;   in Loop: Header=BB6_5473 Depth=4
	v_mov_b32_e32 v1, -1
	v_cmp_gt_i16_sdwa vcc, sext(v0), v1 src0_sel:BYTE_0 src1_sel:DWORD
	v_mov_b32_e32 v0, 0xff800000
	v_mov_b32_e32 v1, 0x7f800000
	v_cndmask_b32_e32 v0, v0, v1, vcc
	v_cmp_eq_u32_e32 vcc, 0, v2
	v_mov_b32_e32 v1, 0x7f800001
	v_cndmask_b32_e32 v1, v1, v0, vcc
; %bb.6215:                             ;   in Loop: Header=BB6_5473 Depth=4
	s_or_b64 exec, exec, s[34:35]
.LBB6_6216:                             ;   in Loop: Header=BB6_5473 Depth=4
	s_or_b64 exec, exec, s[30:31]
.LBB6_6217:                             ;   in Loop: Header=BB6_5473 Depth=4
	s_or_b64 exec, exec, s[28:29]
	v_mul_f32_e32 v0, v12, v1
	v_and_b32_e32 v1, 0x7f800000, v0
	v_mov_b32_e32 v2, v33
	v_cmp_ne_u64_e32 vcc, s[76:77], v[1:2]
	v_and_b32_e32 v32, 0x7fffff, v0
                                        ; implicit-def: $vgpr1
                                        ; kill: killed $vgpr1
	s_and_saveexec_b64 s[28:29], vcc
	s_xor_b64 s[30:31], exec, s[28:29]
	s_cbranch_execz .LBB6_6231
; %bb.6218:                             ;   in Loop: Header=BB6_5473 Depth=4
	v_and_b32_e32 v1, 0x7fffffff, v0
	v_mov_b32_e32 v2, v33
	v_cmp_gt_u64_e32 vcc, s[78:79], v[1:2]
	v_and_b32_sdwa v5, v0, s97 dst_sel:DWORD dst_unused:UNUSED_PAD src0_sel:BYTE_3 src1_sel:DWORD
                                        ; implicit-def: $vgpr1
                                        ; kill: killed $vgpr1
	s_and_saveexec_b64 s[28:29], vcc
	s_xor_b64 s[34:35], exec, s[28:29]
	s_cbranch_execz .LBB6_6228
; %bb.6219:                             ;   in Loop: Header=BB6_5473 Depth=4
	v_mov_b32_e32 v1, 0
	v_cmp_ne_u32_e32 vcc, 0, v0
	buffer_store_dword v1, off, s[0:3], s33 offset:328 ; 4-byte Folded Spill
	s_and_saveexec_b64 s[36:37], vcc
	s_cbranch_execz .LBB6_6227
; %bb.6220:                             ;   in Loop: Header=BB6_5473 Depth=4
	v_bfe_u32 v7, v0, 23, 8
	v_cmp_gt_u32_e64 s[28:29], s47, v7
	v_sub_u32_e32 v0, 0x71, v7
	v_cmp_eq_u32_e32 vcc, 0, v7
	v_cndmask_b32_e64 v0, 0, v0, s[28:29]
	v_mov_b32_e32 v2, 0x70
	v_cndmask_b32_e32 v8, v0, v2, vcc
	v_add_u32_e32 v2, 21, v8
	v_or_b32_e32 v1, 0x800000, v32
	v_lshlrev_b64 v[13:14], v2, -1
	v_cndmask_b32_e32 v0, v1, v32, vcc
	v_mov_b32_e32 v1, v33
	v_add_u32_e32 v2, 20, v8
	v_bfi_b32 v13, v13, 0, v0
	v_lshlrev_b64 v[15:16], v2, 1
	v_lshrrev_b64 v[0:1], v8, v[0:1]
	v_bfi_b32 v14, v14, 0, 0
	v_cmp_eq_u64_e64 s[28:29], v[13:14], v[15:16]
	v_mov_b32_e32 v2, v1
	v_mov_b32_e32 v1, v0
	s_and_saveexec_b64 s[38:39], s[28:29]
; %bb.6221:                             ;   in Loop: Header=BB6_5473 Depth=4
	v_bfe_u32 v1, v0, 21, 1
	v_add_co_u32_e64 v1, s[28:29], v0, v1
	v_add_co_u32_e64 v1, s[28:29], -1, v1
; %bb.6222:                             ;   in Loop: Header=BB6_5473 Depth=4
	s_or_b64 exec, exec, s[38:39]
	v_add_u32_e32 v2, 0xffffff81, v7
	v_mov_b32_e32 v7, 0xffffff82
	v_cndmask_b32_e32 v2, v2, v7, vcc
	v_lshrrev_b32_e32 v7, 23, v0
	v_add3_u32 v8, v8, v2, v7
	v_add_u32_e32 v7, 14, v8
	v_and_b32_e32 v1, 0x1fffff, v1
	v_add_u32_e32 v32, v1, v0
	v_cmp_ne_u32_e32 vcc, 0, v7
                                        ; implicit-def: $vgpr0_vgpr1
                                        ; implicit-def: $vgpr2
	s_and_saveexec_b64 s[28:29], vcc
	s_xor_b64 s[28:29], exec, s[28:29]
; %bb.6223:                             ;   in Loop: Header=BB6_5473 Depth=4
	v_cmp_lt_u64_e32 vcc, s[88:89], v[32:33]
	v_add_u32_e32 v0, 15, v8
	v_cndmask_b32_e32 v2, v7, v0, vcc
	v_cndmask_b32_e64 v0, 0, 1, vcc
	v_lshrrev_b64 v[0:1], v0, v[32:33]
; %bb.6224:                             ;   in Loop: Header=BB6_5473 Depth=4
	s_andn2_saveexec_b64 s[28:29], s[28:29]
; %bb.6225:                             ;   in Loop: Header=BB6_5473 Depth=4
	v_mov_b32_e32 v0, v32
	v_mov_b32_e32 v1, v33
	v_bfe_u32 v2, v32, 23, 1
; %bb.6226:                             ;   in Loop: Header=BB6_5473 Depth=4
	s_or_b64 exec, exec, s[28:29]
	v_lshrrev_b64 v[0:1], 21, v[0:1]
	v_cmp_gt_i32_e32 vcc, 32, v2
	v_cndmask_b32_e32 v1, 0, v1, vcc
	v_cndmask_b32_e32 v0, 3, v0, vcc
	v_cmp_eq_u64_e64 s[28:29], 0, v[0:1]
	v_min_i32_e32 v1, 31, v2
	v_lshlrev_b32_e32 v1, 2, v1
	v_cmp_eq_u32_e32 vcc, 0, v2
	v_and_b32_e32 v1, 0xfc, v1
	v_and_or_b32 v0, v0, 3, v1
	s_and_b64 s[28:29], vcc, s[28:29]
	v_cndmask_b32_e64 v0, v0, 0, s[28:29]
	v_or_b32_e32 v0, v0, v5
	buffer_store_dword v0, off, s[0:3], s33 offset:328 ; 4-byte Folded Spill
.LBB6_6227:                             ;   in Loop: Header=BB6_5473 Depth=4
	s_or_b64 exec, exec, s[36:37]
                                        ; implicit-def: $vgpr5
.LBB6_6228:                             ;   in Loop: Header=BB6_5473 Depth=4
	s_andn2_saveexec_b64 s[28:29], s[34:35]
	s_cbranch_execz .LBB6_6230
; %bb.6229:                             ;   in Loop: Header=BB6_5473 Depth=4
	v_or_b32_e32 v0, 0x7b, v5
	buffer_store_dword v0, off, s[0:3], s33 offset:328 ; 4-byte Folded Spill
.LBB6_6230:                             ;   in Loop: Header=BB6_5473 Depth=4
	s_or_b64 exec, exec, s[28:29]
                                        ; implicit-def: $vgpr0
.LBB6_6231:                             ;   in Loop: Header=BB6_5473 Depth=4
	s_andn2_saveexec_b64 s[28:29], s[30:31]
	s_cbranch_execz .LBB6_6237
; %bb.6232:                             ;   in Loop: Header=BB6_5473 Depth=4
	v_cmp_ne_u64_e32 vcc, 0, v[32:33]
                                        ; implicit-def: $vgpr1
                                        ; kill: killed $vgpr1
	s_and_saveexec_b64 s[62:63], vcc
	s_xor_b64 vcc, exec, s[62:63]
	s_cbranch_execz .LBB6_6234
; %bb.6233:                             ;   in Loop: Header=BB6_5473 Depth=4
	v_or_b32_sdwa v0, v0, s44 dst_sel:DWORD dst_unused:UNUSED_PAD src0_sel:BYTE_3 src1_sel:DWORD
	buffer_store_dword v0, off, s[0:3], s33 offset:328 ; 4-byte Folded Spill
                                        ; implicit-def: $vgpr0
.LBB6_6234:                             ;   in Loop: Header=BB6_5473 Depth=4
	s_andn2_saveexec_b64 s[30:31], vcc
	s_cbranch_execz .LBB6_6236
; %bb.6235:                             ;   in Loop: Header=BB6_5473 Depth=4
	v_cmp_lt_i32_e32 vcc, -1, v0
	v_bfrev_b32_e32 v0, 0.5
	v_mov_b32_e32 v1, 0x7c
	v_cndmask_b32_e32 v0, v0, v1, vcc
	buffer_store_dword v0, off, s[0:3], s33 offset:328 ; 4-byte Folded Spill
.LBB6_6236:                             ;   in Loop: Header=BB6_5473 Depth=4
	s_or_b64 exec, exec, s[30:31]
.LBB6_6237:                             ;   in Loop: Header=BB6_5473 Depth=4
	s_or_b64 exec, exec, s[28:29]
	v_cmp_lt_u32_e32 vcc, s57, v10
	v_mov_b32_e32 v1, 0
	s_and_saveexec_b64 s[28:29], vcc
	s_cbranch_execz .LBB6_6245
; %bb.6238:                             ;   in Loop: Header=BB6_5473 Depth=4
	v_lshrrev_b32_e32 v0, 24, v10
	v_cmp_ne_u32_e32 vcc, s97, v0
	v_bfrev_b32_e32 v1, 1
	s_and_saveexec_b64 s[30:31], vcc
	s_cbranch_execz .LBB6_6244
; %bb.6239:                             ;   in Loop: Header=BB6_5473 Depth=4
	v_and_b32_e32 v1, 0x7c000000, v10
	v_bfe_u32 v2, v10, 24, 2
	v_cmp_ne_u32_e32 vcc, s68, v1
                                        ; implicit-def: $vgpr1
	s_and_saveexec_b64 s[62:63], vcc
	s_xor_b64 s[34:35], exec, s[62:63]
	s_cbranch_execz .LBB6_6241
; %bb.6240:                             ;   in Loop: Header=BB6_5473 Depth=4
	v_ffbh_u32_e32 v1, v2
	v_min_u32_e32 v7, 32, v1
	v_subrev_u32_e32 v1, 29, v7
	v_lshlrev_b64 v[0:1], v1, v[0:1]
	v_bfe_u32 v5, v10, 26, 5
	v_sub_u32_e32 v1, 30, v7
	v_and_b32_e32 v0, 3, v0
	v_cmp_eq_u32_e32 vcc, 0, v5
	v_cndmask_b32_e32 v1, v5, v1, vcc
	v_cndmask_b32_e32 v0, v2, v0, vcc
	v_and_b32_e32 v2, 0x80000000, v10
	v_lshl_add_u32 v1, v1, 23, v2
	v_lshl_or_b32 v0, v0, 21, v1
	v_add_u32_e32 v1, 0x38000000, v0
                                        ; implicit-def: $vgpr2
.LBB6_6241:                             ;   in Loop: Header=BB6_5473 Depth=4
	s_andn2_saveexec_b64 s[34:35], s[34:35]
; %bb.6242:                             ;   in Loop: Header=BB6_5473 Depth=4
	v_cmp_lt_i32_e32 vcc, -1, v10
	v_mov_b32_e32 v0, 0xff800000
	v_mov_b32_e32 v1, 0x7f800000
	v_cndmask_b32_e32 v0, v0, v1, vcc
	v_cmp_eq_u32_e32 vcc, 0, v2
	v_mov_b32_e32 v1, 0x7f800001
	v_cndmask_b32_e32 v1, v1, v0, vcc
; %bb.6243:                             ;   in Loop: Header=BB6_5473 Depth=4
	s_or_b64 exec, exec, s[34:35]
.LBB6_6244:                             ;   in Loop: Header=BB6_5473 Depth=4
	s_or_b64 exec, exec, s[30:31]
.LBB6_6245:                             ;   in Loop: Header=BB6_5473 Depth=4
	s_or_b64 exec, exec, s[28:29]
	v_mul_f32_e32 v0, v12, v1
	v_and_b32_e32 v1, 0x7f800000, v0
	v_mov_b32_e32 v2, v33
	v_cmp_ne_u64_e32 vcc, s[76:77], v[1:2]
	v_and_b32_e32 v32, 0x7fffff, v0
                                        ; implicit-def: $vgpr1
                                        ; kill: killed $vgpr1
	s_and_saveexec_b64 s[28:29], vcc
	s_xor_b64 s[30:31], exec, s[28:29]
	s_cbranch_execz .LBB6_6259
; %bb.6246:                             ;   in Loop: Header=BB6_5473 Depth=4
	v_and_b32_e32 v1, 0x7fffffff, v0
	v_mov_b32_e32 v2, v33
	v_cmp_gt_u64_e32 vcc, s[78:79], v[1:2]
	v_and_b32_sdwa v5, v0, s97 dst_sel:DWORD dst_unused:UNUSED_PAD src0_sel:BYTE_3 src1_sel:DWORD
                                        ; implicit-def: $vgpr1
                                        ; kill: killed $vgpr1
	s_and_saveexec_b64 s[28:29], vcc
	s_xor_b64 s[34:35], exec, s[28:29]
	s_cbranch_execz .LBB6_6256
; %bb.6247:                             ;   in Loop: Header=BB6_5473 Depth=4
	v_mov_b32_e32 v1, 0
	v_cmp_ne_u32_e32 vcc, 0, v0
	buffer_store_dword v1, off, s[0:3], s33 offset:344 ; 4-byte Folded Spill
	s_and_saveexec_b64 s[36:37], vcc
	s_cbranch_execz .LBB6_6255
; %bb.6248:                             ;   in Loop: Header=BB6_5473 Depth=4
	v_bfe_u32 v7, v0, 23, 8
	v_cmp_gt_u32_e64 s[28:29], s47, v7
	v_sub_u32_e32 v0, 0x71, v7
	v_cmp_eq_u32_e32 vcc, 0, v7
	v_cndmask_b32_e64 v0, 0, v0, s[28:29]
	v_mov_b32_e32 v2, 0x70
	v_cndmask_b32_e32 v8, v0, v2, vcc
	v_add_u32_e32 v2, 21, v8
	v_or_b32_e32 v1, 0x800000, v32
	v_lshlrev_b64 v[13:14], v2, -1
	v_cndmask_b32_e32 v0, v1, v32, vcc
	v_mov_b32_e32 v1, v33
	v_add_u32_e32 v2, 20, v8
	v_bfi_b32 v13, v13, 0, v0
	v_lshlrev_b64 v[15:16], v2, 1
	v_lshrrev_b64 v[0:1], v8, v[0:1]
	v_bfi_b32 v14, v14, 0, 0
	v_cmp_eq_u64_e64 s[28:29], v[13:14], v[15:16]
	v_mov_b32_e32 v2, v1
	v_mov_b32_e32 v1, v0
	s_and_saveexec_b64 s[38:39], s[28:29]
; %bb.6249:                             ;   in Loop: Header=BB6_5473 Depth=4
	v_bfe_u32 v1, v0, 21, 1
	v_add_co_u32_e64 v1, s[28:29], v0, v1
	v_add_co_u32_e64 v1, s[28:29], -1, v1
; %bb.6250:                             ;   in Loop: Header=BB6_5473 Depth=4
	s_or_b64 exec, exec, s[38:39]
	v_add_u32_e32 v2, 0xffffff81, v7
	v_mov_b32_e32 v7, 0xffffff82
	v_cndmask_b32_e32 v2, v2, v7, vcc
	v_lshrrev_b32_e32 v7, 23, v0
	v_add3_u32 v8, v8, v2, v7
	v_add_u32_e32 v7, 14, v8
	v_and_b32_e32 v1, 0x1fffff, v1
	v_add_u32_e32 v32, v1, v0
	v_cmp_ne_u32_e32 vcc, 0, v7
                                        ; implicit-def: $vgpr0_vgpr1
                                        ; implicit-def: $vgpr2
	s_and_saveexec_b64 s[28:29], vcc
	s_xor_b64 s[28:29], exec, s[28:29]
; %bb.6251:                             ;   in Loop: Header=BB6_5473 Depth=4
	v_cmp_lt_u64_e32 vcc, s[88:89], v[32:33]
	v_add_u32_e32 v0, 15, v8
	v_cndmask_b32_e32 v2, v7, v0, vcc
	v_cndmask_b32_e64 v0, 0, 1, vcc
	v_lshrrev_b64 v[0:1], v0, v[32:33]
; %bb.6252:                             ;   in Loop: Header=BB6_5473 Depth=4
	s_andn2_saveexec_b64 s[28:29], s[28:29]
; %bb.6253:                             ;   in Loop: Header=BB6_5473 Depth=4
	v_mov_b32_e32 v0, v32
	v_mov_b32_e32 v1, v33
	v_bfe_u32 v2, v32, 23, 1
; %bb.6254:                             ;   in Loop: Header=BB6_5473 Depth=4
	s_or_b64 exec, exec, s[28:29]
	v_lshrrev_b64 v[0:1], 21, v[0:1]
	v_cmp_gt_i32_e32 vcc, 32, v2
	v_cndmask_b32_e32 v1, 0, v1, vcc
	v_cndmask_b32_e32 v0, 3, v0, vcc
	v_cmp_eq_u64_e64 s[28:29], 0, v[0:1]
	v_min_i32_e32 v1, 31, v2
	v_lshlrev_b32_e32 v1, 2, v1
	v_cmp_eq_u32_e32 vcc, 0, v2
	v_and_b32_e32 v1, 0xfc, v1
	v_and_or_b32 v0, v0, 3, v1
	s_and_b64 s[28:29], vcc, s[28:29]
	v_cndmask_b32_e64 v0, v0, 0, s[28:29]
	v_or_b32_e32 v0, v0, v5
	buffer_store_dword v0, off, s[0:3], s33 offset:344 ; 4-byte Folded Spill
.LBB6_6255:                             ;   in Loop: Header=BB6_5473 Depth=4
	s_or_b64 exec, exec, s[36:37]
                                        ; implicit-def: $vgpr5
.LBB6_6256:                             ;   in Loop: Header=BB6_5473 Depth=4
	s_andn2_saveexec_b64 s[28:29], s[34:35]
	s_cbranch_execz .LBB6_6258
; %bb.6257:                             ;   in Loop: Header=BB6_5473 Depth=4
	v_or_b32_e32 v0, 0x7b, v5
	buffer_store_dword v0, off, s[0:3], s33 offset:344 ; 4-byte Folded Spill
.LBB6_6258:                             ;   in Loop: Header=BB6_5473 Depth=4
	s_or_b64 exec, exec, s[28:29]
                                        ; implicit-def: $vgpr0
.LBB6_6259:                             ;   in Loop: Header=BB6_5473 Depth=4
	s_andn2_saveexec_b64 s[28:29], s[30:31]
	s_cbranch_execz .LBB6_6265
; %bb.6260:                             ;   in Loop: Header=BB6_5473 Depth=4
	v_cmp_ne_u64_e32 vcc, 0, v[32:33]
                                        ; implicit-def: $vgpr1
                                        ; kill: killed $vgpr1
	s_and_saveexec_b64 s[62:63], vcc
	s_xor_b64 vcc, exec, s[62:63]
	s_cbranch_execz .LBB6_6262
; %bb.6261:                             ;   in Loop: Header=BB6_5473 Depth=4
	v_or_b32_sdwa v0, v0, s44 dst_sel:DWORD dst_unused:UNUSED_PAD src0_sel:BYTE_3 src1_sel:DWORD
	buffer_store_dword v0, off, s[0:3], s33 offset:344 ; 4-byte Folded Spill
                                        ; implicit-def: $vgpr0
.LBB6_6262:                             ;   in Loop: Header=BB6_5473 Depth=4
	s_andn2_saveexec_b64 s[30:31], vcc
	s_cbranch_execz .LBB6_6264
; %bb.6263:                             ;   in Loop: Header=BB6_5473 Depth=4
	v_cmp_lt_i32_e32 vcc, -1, v0
	v_bfrev_b32_e32 v0, 0.5
	v_mov_b32_e32 v1, 0x7c
	v_cndmask_b32_e32 v0, v0, v1, vcc
	buffer_store_dword v0, off, s[0:3], s33 offset:344 ; 4-byte Folded Spill
.LBB6_6264:                             ;   in Loop: Header=BB6_5473 Depth=4
	s_or_b64 exec, exec, s[30:31]
.LBB6_6265:                             ;   in Loop: Header=BB6_5473 Depth=4
	s_or_b64 exec, exec, s[28:29]
	v_mov_b32_e32 v32, v11
	v_cmp_ne_u16_sdwa s[62:63], v11, v33 src0_sel:BYTE_0 src1_sel:DWORD
	v_mov_b32_e32 v0, 0
	s_and_saveexec_b64 s[28:29], s[62:63]
	s_cbranch_execz .LBB6_6273
; %bb.6266:                             ;   in Loop: Header=BB6_5473 Depth=4
	v_cmp_ne_u16_sdwa s[62:63], v11, s97 src0_sel:BYTE_0 src1_sel:DWORD
	v_bfrev_b32_e32 v0, 1
	s_and_saveexec_b64 s[30:31], s[62:63]
	s_cbranch_execz .LBB6_6272
; %bb.6267:                             ;   in Loop: Header=BB6_5473 Depth=4
	v_and_b32_e32 v0, 0x7c, v11
	v_and_b32_e32 v1, 3, v11
	v_cmp_ne_u32_e32 vcc, s86, v0
                                        ; implicit-def: $vgpr0
	s_and_saveexec_b64 s[62:63], vcc
	s_xor_b64 s[34:35], exec, s[62:63]
	s_cbranch_execz .LBB6_6269
; %bb.6268:                             ;   in Loop: Header=BB6_5473 Depth=4
	v_ffbh_u32_e32 v2, v1
	v_min_u32_e32 v2, 32, v2
	v_bfe_u32 v0, v11, 2, 5
	v_subrev_u32_e32 v5, 29, v2
	v_lshlrev_b64 v[7:8], v5, v[32:33]
	v_sub_u32_e32 v2, 30, v2
	v_cmp_eq_u32_e32 vcc, 0, v0
	v_cndmask_b32_e32 v0, v0, v2, vcc
	v_lshlrev_b32_e32 v2, 24, v11
	v_and_b32_e32 v5, 3, v7
	v_and_b32_e32 v2, 0x80000000, v2
	v_cndmask_b32_e32 v1, v1, v5, vcc
	v_lshl_add_u32 v0, v0, 23, v2
	v_lshl_or_b32 v0, v1, 21, v0
	v_add_u32_e32 v0, 0x38000000, v0
                                        ; implicit-def: $vgpr1
.LBB6_6269:                             ;   in Loop: Header=BB6_5473 Depth=4
	s_andn2_saveexec_b64 s[34:35], s[34:35]
; %bb.6270:                             ;   in Loop: Header=BB6_5473 Depth=4
	v_mov_b32_e32 v0, -1
	v_cmp_gt_i16_sdwa vcc, sext(v11), v0 src0_sel:BYTE_0 src1_sel:DWORD
	v_mov_b32_e32 v0, 0xff800000
	v_mov_b32_e32 v2, 0x7f800000
	v_cndmask_b32_e32 v0, v0, v2, vcc
	v_cmp_eq_u32_e32 vcc, 0, v1
	v_mov_b32_e32 v1, 0x7f800001
	v_cndmask_b32_e32 v0, v1, v0, vcc
; %bb.6271:                             ;   in Loop: Header=BB6_5473 Depth=4
	s_or_b64 exec, exec, s[34:35]
.LBB6_6272:                             ;   in Loop: Header=BB6_5473 Depth=4
	s_or_b64 exec, exec, s[30:31]
.LBB6_6273:                             ;   in Loop: Header=BB6_5473 Depth=4
	s_or_b64 exec, exec, s[28:29]
	v_mul_f32_e32 v2, v12, v0
	v_and_b32_e32 v7, 0x7f800000, v2
	v_mov_b32_e32 v8, v33
	v_cmp_ne_u64_e32 vcc, s[76:77], v[7:8]
	v_and_b32_e32 v0, 0x7fffff, v2
	v_mov_b32_e32 v1, v33
                                        ; implicit-def: $vgpr59
	s_and_saveexec_b64 s[28:29], vcc
	s_xor_b64 s[30:31], exec, s[28:29]
	s_cbranch_execz .LBB6_6287
; %bb.6274:                             ;   in Loop: Header=BB6_5473 Depth=4
	v_and_b32_e32 v7, 0x7fffffff, v2
	v_mov_b32_e32 v8, v33
	v_cmp_gt_u64_e32 vcc, s[78:79], v[7:8]
	v_and_b32_sdwa v5, v2, s97 dst_sel:DWORD dst_unused:UNUSED_PAD src0_sel:BYTE_3 src1_sel:DWORD
                                        ; implicit-def: $vgpr59
	s_and_saveexec_b64 s[28:29], vcc
	s_xor_b64 s[34:35], exec, s[28:29]
	s_cbranch_execz .LBB6_6284
; %bb.6275:                             ;   in Loop: Header=BB6_5473 Depth=4
	v_mov_b32_e32 v59, 0
	v_cmp_ne_u32_e32 vcc, 0, v2
	s_and_saveexec_b64 s[36:37], vcc
	s_cbranch_execz .LBB6_6283
; %bb.6276:                             ;   in Loop: Header=BB6_5473 Depth=4
	v_bfe_u32 v7, v2, 23, 8
	v_cmp_gt_u32_e64 s[28:29], s47, v7
	v_sub_u32_e32 v2, 0x71, v7
	v_cmp_eq_u32_e32 vcc, 0, v7
	v_cndmask_b32_e64 v2, 0, v2, s[28:29]
	v_mov_b32_e32 v8, 0x70
	v_cndmask_b32_e32 v8, v2, v8, vcc
	v_add_u32_e32 v2, 21, v8
	v_or_b32_e32 v9, 0x800000, v0
	v_lshlrev_b64 v[13:14], v2, -1
	v_cndmask_b32_e32 v0, v9, v0, vcc
	v_add_u32_e32 v2, 20, v8
	v_bfi_b32 v13, v13, 0, v0
	v_lshlrev_b64 v[15:16], v2, 1
	v_lshrrev_b64 v[0:1], v8, v[0:1]
	v_bfi_b32 v14, v14, 0, 0
	v_cmp_eq_u64_e64 s[28:29], v[13:14], v[15:16]
	v_mov_b32_e32 v2, v1
	v_mov_b32_e32 v1, v0
	s_and_saveexec_b64 s[38:39], s[28:29]
; %bb.6277:                             ;   in Loop: Header=BB6_5473 Depth=4
	v_bfe_u32 v1, v0, 21, 1
	v_add_co_u32_e64 v1, s[28:29], v0, v1
	v_add_co_u32_e64 v1, s[28:29], -1, v1
; %bb.6278:                             ;   in Loop: Header=BB6_5473 Depth=4
	s_or_b64 exec, exec, s[38:39]
	v_add_u32_e32 v2, 0xffffff81, v7
	v_mov_b32_e32 v7, 0xffffff82
	v_cndmask_b32_e32 v2, v2, v7, vcc
	v_lshrrev_b32_e32 v7, 23, v0
	v_add3_u32 v8, v8, v2, v7
	v_add_u32_e32 v7, 14, v8
	v_and_b32_e32 v1, 0x1fffff, v1
	v_add_u32_e32 v0, v1, v0
	v_mov_b32_e32 v1, v33
	v_cmp_ne_u32_e32 vcc, 0, v7
                                        ; implicit-def: $vgpr2
	s_and_saveexec_b64 s[28:29], vcc
	s_xor_b64 s[28:29], exec, s[28:29]
; %bb.6279:                             ;   in Loop: Header=BB6_5473 Depth=4
	v_cmp_lt_u64_e32 vcc, s[88:89], v[0:1]
	v_add_u32_e32 v2, 15, v8
	v_cndmask_b32_e32 v2, v7, v2, vcc
	v_cndmask_b32_e64 v7, 0, 1, vcc
	v_lshrrev_b64 v[0:1], v7, v[0:1]
; %bb.6280:                             ;   in Loop: Header=BB6_5473 Depth=4
	s_andn2_saveexec_b64 s[28:29], s[28:29]
; %bb.6281:                             ;   in Loop: Header=BB6_5473 Depth=4
	v_bfe_u32 v2, v0, 23, 1
; %bb.6282:                             ;   in Loop: Header=BB6_5473 Depth=4
	s_or_b64 exec, exec, s[28:29]
	v_lshrrev_b64 v[0:1], 21, v[0:1]
	v_cmp_gt_i32_e32 vcc, 32, v2
	v_cndmask_b32_e32 v1, 0, v1, vcc
	v_cndmask_b32_e32 v0, 3, v0, vcc
	v_cmp_eq_u64_e64 s[28:29], 0, v[0:1]
	v_min_i32_e32 v1, 31, v2
	v_lshlrev_b32_e32 v1, 2, v1
	v_cmp_eq_u32_e32 vcc, 0, v2
	v_and_b32_e32 v1, 0xfc, v1
	v_and_or_b32 v0, v0, 3, v1
	s_and_b64 s[28:29], vcc, s[28:29]
	v_cndmask_b32_e64 v0, v0, 0, s[28:29]
	v_or_b32_e32 v59, v0, v5
.LBB6_6283:                             ;   in Loop: Header=BB6_5473 Depth=4
	s_or_b64 exec, exec, s[36:37]
                                        ; implicit-def: $vgpr5
.LBB6_6284:                             ;   in Loop: Header=BB6_5473 Depth=4
	s_andn2_saveexec_b64 s[28:29], s[34:35]
; %bb.6285:                             ;   in Loop: Header=BB6_5473 Depth=4
	v_or_b32_e32 v59, 0x7b, v5
; %bb.6286:                             ;   in Loop: Header=BB6_5473 Depth=4
	s_or_b64 exec, exec, s[28:29]
                                        ; implicit-def: $vgpr2
                                        ; implicit-def: $vgpr0_vgpr1
.LBB6_6287:                             ;   in Loop: Header=BB6_5473 Depth=4
	s_andn2_saveexec_b64 s[28:29], s[30:31]
	s_cbranch_execz .LBB6_6293
; %bb.6288:                             ;   in Loop: Header=BB6_5473 Depth=4
	v_cmp_ne_u64_e32 vcc, 0, v[0:1]
                                        ; implicit-def: $vgpr59
	s_and_saveexec_b64 s[62:63], vcc
	s_xor_b64 vcc, exec, s[62:63]
; %bb.6289:                             ;   in Loop: Header=BB6_5473 Depth=4
	v_or_b32_sdwa v59, v2, s44 dst_sel:DWORD dst_unused:UNUSED_PAD src0_sel:BYTE_3 src1_sel:DWORD
                                        ; implicit-def: $vgpr2
; %bb.6290:                             ;   in Loop: Header=BB6_5473 Depth=4
	s_andn2_saveexec_b64 s[30:31], vcc
; %bb.6291:                             ;   in Loop: Header=BB6_5473 Depth=4
	v_cmp_lt_i32_e32 vcc, -1, v2
	v_bfrev_b32_e32 v0, 0.5
	v_mov_b32_e32 v1, 0x7c
	v_cndmask_b32_e32 v59, v0, v1, vcc
; %bb.6292:                             ;   in Loop: Header=BB6_5473 Depth=4
	s_or_b64 exec, exec, s[30:31]
.LBB6_6293:                             ;   in Loop: Header=BB6_5473 Depth=4
	s_or_b64 exec, exec, s[28:29]
	v_lshrrev_b16_e32 v0, 8, v32
	v_cmp_ne_u16_e32 vcc, 0, v0
	v_mov_b32_e32 v1, 0
	s_and_saveexec_b64 s[28:29], vcc
	s_cbranch_execz .LBB6_6301
; %bb.6294:                             ;   in Loop: Header=BB6_5473 Depth=4
	v_cmp_ne_u16_e32 vcc, s97, v0
	v_bfrev_b32_e32 v1, 1
	s_and_saveexec_b64 s[30:31], vcc
	s_cbranch_execz .LBB6_6300
; %bb.6295:                             ;   in Loop: Header=BB6_5473 Depth=4
	v_and_b32_e32 v1, 0x7c, v0
	v_and_b32_e32 v2, 3, v0
	v_cmp_ne_u32_e32 vcc, s86, v1
                                        ; implicit-def: $vgpr1
	s_and_saveexec_b64 s[62:63], vcc
	s_xor_b64 s[34:35], exec, s[62:63]
	s_cbranch_execz .LBB6_6297
; %bb.6296:                             ;   in Loop: Header=BB6_5473 Depth=4
	v_ffbh_u32_e32 v7, v2
	v_min_u32_e32 v7, 32, v7
	v_mov_b32_e32 v1, v33
	v_subrev_u32_e32 v8, 29, v7
	v_bfe_u32 v5, v0, 2, 5
	v_lshlrev_b64 v[0:1], v8, v[0:1]
	v_cmp_eq_u32_e32 vcc, 0, v5
	v_and_b32_e32 v0, 3, v0
	v_sub_u32_e32 v1, 30, v7
	v_cndmask_b32_e32 v0, v2, v0, vcc
	v_lshlrev_b32_e32 v2, 16, v32
	v_cndmask_b32_e32 v1, v5, v1, vcc
	v_and_b32_e32 v2, 0x80000000, v2
	v_lshl_add_u32 v1, v1, 23, v2
	v_lshl_or_b32 v0, v0, 21, v1
	v_add_u32_e32 v1, 0x38000000, v0
                                        ; implicit-def: $vgpr2
.LBB6_6297:                             ;   in Loop: Header=BB6_5473 Depth=4
	s_andn2_saveexec_b64 s[34:35], s[34:35]
; %bb.6298:                             ;   in Loop: Header=BB6_5473 Depth=4
	v_cmp_lt_i16_e32 vcc, -1, v32
	v_mov_b32_e32 v0, 0xff800000
	v_mov_b32_e32 v1, 0x7f800000
	v_cndmask_b32_e32 v0, v0, v1, vcc
	v_cmp_eq_u32_e32 vcc, 0, v2
	v_mov_b32_e32 v1, 0x7f800001
	v_cndmask_b32_e32 v1, v1, v0, vcc
; %bb.6299:                             ;   in Loop: Header=BB6_5473 Depth=4
	s_or_b64 exec, exec, s[34:35]
.LBB6_6300:                             ;   in Loop: Header=BB6_5473 Depth=4
	s_or_b64 exec, exec, s[30:31]
.LBB6_6301:                             ;   in Loop: Header=BB6_5473 Depth=4
	s_or_b64 exec, exec, s[28:29]
	v_mul_f32_e32 v0, v12, v1
	v_and_b32_e32 v1, 0x7f800000, v0
	v_mov_b32_e32 v2, v33
	v_cmp_ne_u64_e32 vcc, s[76:77], v[1:2]
	v_and_b32_e32 v32, 0x7fffff, v0
                                        ; implicit-def: $vgpr46
	s_and_saveexec_b64 s[28:29], vcc
	s_xor_b64 s[30:31], exec, s[28:29]
	s_cbranch_execz .LBB6_6315
; %bb.6302:                             ;   in Loop: Header=BB6_5473 Depth=4
	v_and_b32_e32 v1, 0x7fffffff, v0
	v_mov_b32_e32 v2, v33
	v_cmp_gt_u64_e32 vcc, s[78:79], v[1:2]
	v_and_b32_sdwa v5, v0, s97 dst_sel:DWORD dst_unused:UNUSED_PAD src0_sel:BYTE_3 src1_sel:DWORD
                                        ; implicit-def: $vgpr46
	s_and_saveexec_b64 s[28:29], vcc
	s_xor_b64 s[34:35], exec, s[28:29]
	s_cbranch_execz .LBB6_6312
; %bb.6303:                             ;   in Loop: Header=BB6_5473 Depth=4
	v_mov_b32_e32 v46, 0
	v_cmp_ne_u32_e32 vcc, 0, v0
	s_and_saveexec_b64 s[36:37], vcc
	s_cbranch_execz .LBB6_6311
; %bb.6304:                             ;   in Loop: Header=BB6_5473 Depth=4
	v_bfe_u32 v7, v0, 23, 8
	v_cmp_gt_u32_e64 s[28:29], s47, v7
	v_sub_u32_e32 v0, 0x71, v7
	v_cmp_eq_u32_e32 vcc, 0, v7
	v_cndmask_b32_e64 v0, 0, v0, s[28:29]
	v_mov_b32_e32 v2, 0x70
	v_cndmask_b32_e32 v8, v0, v2, vcc
	v_add_u32_e32 v2, 21, v8
	v_or_b32_e32 v1, 0x800000, v32
	v_lshlrev_b64 v[13:14], v2, -1
	v_cndmask_b32_e32 v0, v1, v32, vcc
	v_mov_b32_e32 v1, v33
	v_add_u32_e32 v2, 20, v8
	v_bfi_b32 v13, v13, 0, v0
	v_lshlrev_b64 v[15:16], v2, 1
	v_lshrrev_b64 v[0:1], v8, v[0:1]
	v_bfi_b32 v14, v14, 0, 0
	v_cmp_eq_u64_e64 s[28:29], v[13:14], v[15:16]
	v_mov_b32_e32 v2, v1
	v_mov_b32_e32 v1, v0
	s_and_saveexec_b64 s[38:39], s[28:29]
; %bb.6305:                             ;   in Loop: Header=BB6_5473 Depth=4
	v_bfe_u32 v1, v0, 21, 1
	v_add_co_u32_e64 v1, s[28:29], v0, v1
	v_add_co_u32_e64 v1, s[28:29], -1, v1
; %bb.6306:                             ;   in Loop: Header=BB6_5473 Depth=4
	s_or_b64 exec, exec, s[38:39]
	v_add_u32_e32 v2, 0xffffff81, v7
	v_mov_b32_e32 v7, 0xffffff82
	v_cndmask_b32_e32 v2, v2, v7, vcc
	v_lshrrev_b32_e32 v7, 23, v0
	v_add3_u32 v8, v8, v2, v7
	v_add_u32_e32 v7, 14, v8
	v_and_b32_e32 v1, 0x1fffff, v1
	v_add_u32_e32 v32, v1, v0
	v_cmp_ne_u32_e32 vcc, 0, v7
                                        ; implicit-def: $vgpr0_vgpr1
                                        ; implicit-def: $vgpr2
	s_and_saveexec_b64 s[28:29], vcc
	s_xor_b64 s[28:29], exec, s[28:29]
; %bb.6307:                             ;   in Loop: Header=BB6_5473 Depth=4
	v_cmp_lt_u64_e32 vcc, s[88:89], v[32:33]
	v_add_u32_e32 v0, 15, v8
	v_cndmask_b32_e32 v2, v7, v0, vcc
	v_cndmask_b32_e64 v0, 0, 1, vcc
	v_lshrrev_b64 v[0:1], v0, v[32:33]
; %bb.6308:                             ;   in Loop: Header=BB6_5473 Depth=4
	s_andn2_saveexec_b64 s[28:29], s[28:29]
; %bb.6309:                             ;   in Loop: Header=BB6_5473 Depth=4
	v_mov_b32_e32 v0, v32
	v_mov_b32_e32 v1, v33
	v_bfe_u32 v2, v32, 23, 1
; %bb.6310:                             ;   in Loop: Header=BB6_5473 Depth=4
	s_or_b64 exec, exec, s[28:29]
	v_lshrrev_b64 v[0:1], 21, v[0:1]
	v_cmp_gt_i32_e32 vcc, 32, v2
	v_cndmask_b32_e32 v1, 0, v1, vcc
	v_cndmask_b32_e32 v0, 3, v0, vcc
	v_cmp_eq_u64_e64 s[28:29], 0, v[0:1]
	v_min_i32_e32 v1, 31, v2
	v_lshlrev_b32_e32 v1, 2, v1
	v_cmp_eq_u32_e32 vcc, 0, v2
	v_and_b32_e32 v1, 0xfc, v1
	v_and_or_b32 v0, v0, 3, v1
	s_and_b64 s[28:29], vcc, s[28:29]
	v_cndmask_b32_e64 v0, v0, 0, s[28:29]
	v_or_b32_e32 v46, v0, v5
.LBB6_6311:                             ;   in Loop: Header=BB6_5473 Depth=4
	s_or_b64 exec, exec, s[36:37]
                                        ; implicit-def: $vgpr5
.LBB6_6312:                             ;   in Loop: Header=BB6_5473 Depth=4
	s_andn2_saveexec_b64 s[28:29], s[34:35]
; %bb.6313:                             ;   in Loop: Header=BB6_5473 Depth=4
	v_or_b32_e32 v46, 0x7b, v5
; %bb.6314:                             ;   in Loop: Header=BB6_5473 Depth=4
	s_or_b64 exec, exec, s[28:29]
                                        ; implicit-def: $vgpr0
.LBB6_6315:                             ;   in Loop: Header=BB6_5473 Depth=4
	s_andn2_saveexec_b64 s[28:29], s[30:31]
	s_cbranch_execz .LBB6_6321
; %bb.6316:                             ;   in Loop: Header=BB6_5473 Depth=4
	v_cmp_ne_u64_e32 vcc, 0, v[32:33]
                                        ; implicit-def: $vgpr46
	s_and_saveexec_b64 s[62:63], vcc
	s_xor_b64 vcc, exec, s[62:63]
; %bb.6317:                             ;   in Loop: Header=BB6_5473 Depth=4
	v_or_b32_sdwa v46, v0, s44 dst_sel:DWORD dst_unused:UNUSED_PAD src0_sel:BYTE_3 src1_sel:DWORD
                                        ; implicit-def: $vgpr0
; %bb.6318:                             ;   in Loop: Header=BB6_5473 Depth=4
	s_andn2_saveexec_b64 s[30:31], vcc
; %bb.6319:                             ;   in Loop: Header=BB6_5473 Depth=4
	v_cmp_lt_i32_e32 vcc, -1, v0
	v_bfrev_b32_e32 v0, 0.5
	v_mov_b32_e32 v1, 0x7c
	v_cndmask_b32_e32 v46, v0, v1, vcc
; %bb.6320:                             ;   in Loop: Header=BB6_5473 Depth=4
	s_or_b64 exec, exec, s[30:31]
.LBB6_6321:                             ;   in Loop: Header=BB6_5473 Depth=4
	s_or_b64 exec, exec, s[28:29]
	v_lshrrev_b32_e32 v0, 16, v11
	v_cmp_ne_u16_sdwa s[62:63], v0, v33 src0_sel:BYTE_0 src1_sel:DWORD
	v_mov_b32_e32 v1, 0
	s_and_saveexec_b64 s[28:29], s[62:63]
	s_cbranch_execz .LBB6_6329
; %bb.6322:                             ;   in Loop: Header=BB6_5473 Depth=4
	v_cmp_ne_u16_sdwa s[62:63], v0, s97 src0_sel:BYTE_0 src1_sel:DWORD
	v_bfrev_b32_e32 v1, 1
	s_and_saveexec_b64 s[30:31], s[62:63]
	s_cbranch_execz .LBB6_6328
; %bb.6323:                             ;   in Loop: Header=BB6_5473 Depth=4
	v_and_b32_e32 v1, 0x7c0000, v11
	v_bfe_u32 v2, v11, 16, 2
	v_cmp_ne_u32_e32 vcc, s45, v1
                                        ; implicit-def: $vgpr1
	s_and_saveexec_b64 s[62:63], vcc
	s_xor_b64 s[34:35], exec, s[62:63]
	s_cbranch_execz .LBB6_6325
; %bb.6324:                             ;   in Loop: Header=BB6_5473 Depth=4
	v_ffbh_u32_e32 v1, v2
	v_min_u32_e32 v7, 32, v1
	v_subrev_u32_e32 v1, 29, v7
	v_lshlrev_b64 v[0:1], v1, v[0:1]
	v_bfe_u32 v5, v11, 18, 5
	v_and_b32_e32 v0, 3, v0
	v_cmp_eq_u32_e32 vcc, 0, v5
	v_sub_u32_e32 v1, 30, v7
	v_cndmask_b32_e32 v0, v2, v0, vcc
	v_lshlrev_b32_e32 v2, 8, v11
	v_cndmask_b32_e32 v1, v5, v1, vcc
	v_and_b32_e32 v2, 0x80000000, v2
	v_lshl_add_u32 v1, v1, 23, v2
	v_lshl_or_b32 v0, v0, 21, v1
	v_add_u32_e32 v1, 0x38000000, v0
                                        ; implicit-def: $vgpr2
                                        ; implicit-def: $vgpr0
.LBB6_6325:                             ;   in Loop: Header=BB6_5473 Depth=4
	s_andn2_saveexec_b64 s[34:35], s[34:35]
; %bb.6326:                             ;   in Loop: Header=BB6_5473 Depth=4
	v_mov_b32_e32 v1, -1
	v_cmp_gt_i16_sdwa vcc, sext(v0), v1 src0_sel:BYTE_0 src1_sel:DWORD
	v_mov_b32_e32 v0, 0xff800000
	v_mov_b32_e32 v1, 0x7f800000
	v_cndmask_b32_e32 v0, v0, v1, vcc
	v_cmp_eq_u32_e32 vcc, 0, v2
	v_mov_b32_e32 v1, 0x7f800001
	v_cndmask_b32_e32 v1, v1, v0, vcc
; %bb.6327:                             ;   in Loop: Header=BB6_5473 Depth=4
	s_or_b64 exec, exec, s[34:35]
.LBB6_6328:                             ;   in Loop: Header=BB6_5473 Depth=4
	s_or_b64 exec, exec, s[30:31]
.LBB6_6329:                             ;   in Loop: Header=BB6_5473 Depth=4
	s_or_b64 exec, exec, s[28:29]
	v_mul_f32_e32 v0, v12, v1
	v_and_b32_e32 v1, 0x7f800000, v0
	v_mov_b32_e32 v2, v33
	v_cmp_ne_u64_e32 vcc, s[76:77], v[1:2]
	v_and_b32_e32 v32, 0x7fffff, v0
                                        ; implicit-def: $vgpr1
                                        ; kill: killed $vgpr1
	s_and_saveexec_b64 s[28:29], vcc
	s_xor_b64 s[30:31], exec, s[28:29]
	s_cbranch_execz .LBB6_6343
; %bb.6330:                             ;   in Loop: Header=BB6_5473 Depth=4
	v_and_b32_e32 v1, 0x7fffffff, v0
	v_mov_b32_e32 v2, v33
	v_cmp_gt_u64_e32 vcc, s[78:79], v[1:2]
	v_and_b32_sdwa v5, v0, s97 dst_sel:DWORD dst_unused:UNUSED_PAD src0_sel:BYTE_3 src1_sel:DWORD
                                        ; implicit-def: $vgpr1
                                        ; kill: killed $vgpr1
	s_and_saveexec_b64 s[28:29], vcc
	s_xor_b64 s[34:35], exec, s[28:29]
	s_cbranch_execz .LBB6_6340
; %bb.6331:                             ;   in Loop: Header=BB6_5473 Depth=4
	v_mov_b32_e32 v1, 0
	v_cmp_ne_u32_e32 vcc, 0, v0
	buffer_store_dword v1, off, s[0:3], s33 offset:316 ; 4-byte Folded Spill
	s_and_saveexec_b64 s[36:37], vcc
	s_cbranch_execz .LBB6_6339
; %bb.6332:                             ;   in Loop: Header=BB6_5473 Depth=4
	v_bfe_u32 v7, v0, 23, 8
	v_cmp_gt_u32_e64 s[28:29], s47, v7
	v_sub_u32_e32 v0, 0x71, v7
	v_cmp_eq_u32_e32 vcc, 0, v7
	v_cndmask_b32_e64 v0, 0, v0, s[28:29]
	v_mov_b32_e32 v2, 0x70
	v_cndmask_b32_e32 v8, v0, v2, vcc
	v_add_u32_e32 v2, 21, v8
	v_or_b32_e32 v1, 0x800000, v32
	v_lshlrev_b64 v[13:14], v2, -1
	v_cndmask_b32_e32 v0, v1, v32, vcc
	v_mov_b32_e32 v1, v33
	v_add_u32_e32 v2, 20, v8
	v_bfi_b32 v13, v13, 0, v0
	v_lshlrev_b64 v[15:16], v2, 1
	v_lshrrev_b64 v[0:1], v8, v[0:1]
	v_bfi_b32 v14, v14, 0, 0
	v_cmp_eq_u64_e64 s[28:29], v[13:14], v[15:16]
	v_mov_b32_e32 v2, v1
	v_mov_b32_e32 v1, v0
	s_and_saveexec_b64 s[38:39], s[28:29]
; %bb.6333:                             ;   in Loop: Header=BB6_5473 Depth=4
	v_bfe_u32 v1, v0, 21, 1
	v_add_co_u32_e64 v1, s[28:29], v0, v1
	v_add_co_u32_e64 v1, s[28:29], -1, v1
; %bb.6334:                             ;   in Loop: Header=BB6_5473 Depth=4
	s_or_b64 exec, exec, s[38:39]
	v_add_u32_e32 v2, 0xffffff81, v7
	v_mov_b32_e32 v7, 0xffffff82
	v_cndmask_b32_e32 v2, v2, v7, vcc
	v_lshrrev_b32_e32 v7, 23, v0
	v_add3_u32 v8, v8, v2, v7
	v_add_u32_e32 v7, 14, v8
	v_and_b32_e32 v1, 0x1fffff, v1
	v_add_u32_e32 v32, v1, v0
	v_cmp_ne_u32_e32 vcc, 0, v7
                                        ; implicit-def: $vgpr0_vgpr1
                                        ; implicit-def: $vgpr2
	s_and_saveexec_b64 s[28:29], vcc
	s_xor_b64 s[28:29], exec, s[28:29]
; %bb.6335:                             ;   in Loop: Header=BB6_5473 Depth=4
	v_cmp_lt_u64_e32 vcc, s[88:89], v[32:33]
	v_add_u32_e32 v0, 15, v8
	v_cndmask_b32_e32 v2, v7, v0, vcc
	v_cndmask_b32_e64 v0, 0, 1, vcc
	v_lshrrev_b64 v[0:1], v0, v[32:33]
; %bb.6336:                             ;   in Loop: Header=BB6_5473 Depth=4
	s_andn2_saveexec_b64 s[28:29], s[28:29]
; %bb.6337:                             ;   in Loop: Header=BB6_5473 Depth=4
	v_mov_b32_e32 v0, v32
	v_mov_b32_e32 v1, v33
	v_bfe_u32 v2, v32, 23, 1
; %bb.6338:                             ;   in Loop: Header=BB6_5473 Depth=4
	s_or_b64 exec, exec, s[28:29]
	v_lshrrev_b64 v[0:1], 21, v[0:1]
	v_cmp_gt_i32_e32 vcc, 32, v2
	v_cndmask_b32_e32 v1, 0, v1, vcc
	v_cndmask_b32_e32 v0, 3, v0, vcc
	v_cmp_eq_u64_e64 s[28:29], 0, v[0:1]
	v_min_i32_e32 v1, 31, v2
	v_lshlrev_b32_e32 v1, 2, v1
	v_cmp_eq_u32_e32 vcc, 0, v2
	v_and_b32_e32 v1, 0xfc, v1
	v_and_or_b32 v0, v0, 3, v1
	s_and_b64 s[28:29], vcc, s[28:29]
	v_cndmask_b32_e64 v0, v0, 0, s[28:29]
	v_or_b32_e32 v0, v0, v5
	buffer_store_dword v0, off, s[0:3], s33 offset:316 ; 4-byte Folded Spill
.LBB6_6339:                             ;   in Loop: Header=BB6_5473 Depth=4
	s_or_b64 exec, exec, s[36:37]
                                        ; implicit-def: $vgpr5
.LBB6_6340:                             ;   in Loop: Header=BB6_5473 Depth=4
	s_andn2_saveexec_b64 s[28:29], s[34:35]
	s_cbranch_execz .LBB6_6342
; %bb.6341:                             ;   in Loop: Header=BB6_5473 Depth=4
	v_or_b32_e32 v0, 0x7b, v5
	buffer_store_dword v0, off, s[0:3], s33 offset:316 ; 4-byte Folded Spill
.LBB6_6342:                             ;   in Loop: Header=BB6_5473 Depth=4
	s_or_b64 exec, exec, s[28:29]
                                        ; implicit-def: $vgpr0
.LBB6_6343:                             ;   in Loop: Header=BB6_5473 Depth=4
	s_andn2_saveexec_b64 s[28:29], s[30:31]
	s_cbranch_execz .LBB6_6349
; %bb.6344:                             ;   in Loop: Header=BB6_5473 Depth=4
	v_cmp_ne_u64_e32 vcc, 0, v[32:33]
                                        ; implicit-def: $vgpr1
                                        ; kill: killed $vgpr1
	s_and_saveexec_b64 s[62:63], vcc
	s_xor_b64 vcc, exec, s[62:63]
	s_cbranch_execz .LBB6_6346
; %bb.6345:                             ;   in Loop: Header=BB6_5473 Depth=4
	v_or_b32_sdwa v0, v0, s44 dst_sel:DWORD dst_unused:UNUSED_PAD src0_sel:BYTE_3 src1_sel:DWORD
	buffer_store_dword v0, off, s[0:3], s33 offset:316 ; 4-byte Folded Spill
                                        ; implicit-def: $vgpr0
.LBB6_6346:                             ;   in Loop: Header=BB6_5473 Depth=4
	s_andn2_saveexec_b64 s[30:31], vcc
	s_cbranch_execz .LBB6_6348
; %bb.6347:                             ;   in Loop: Header=BB6_5473 Depth=4
	v_cmp_lt_i32_e32 vcc, -1, v0
	v_bfrev_b32_e32 v0, 0.5
	v_mov_b32_e32 v1, 0x7c
	v_cndmask_b32_e32 v0, v0, v1, vcc
	buffer_store_dword v0, off, s[0:3], s33 offset:316 ; 4-byte Folded Spill
.LBB6_6348:                             ;   in Loop: Header=BB6_5473 Depth=4
	s_or_b64 exec, exec, s[30:31]
.LBB6_6349:                             ;   in Loop: Header=BB6_5473 Depth=4
	s_or_b64 exec, exec, s[28:29]
	v_cmp_lt_u64_e32 vcc, s[56:57], v[10:11]
	v_mov_b32_e32 v1, 0
	s_and_saveexec_b64 s[28:29], vcc
	s_cbranch_execz .LBB6_6357
; %bb.6350:                             ;   in Loop: Header=BB6_5473 Depth=4
	v_lshrrev_b32_e32 v0, 24, v11
	v_cmp_ne_u32_e32 vcc, s97, v0
	v_bfrev_b32_e32 v1, 1
	s_and_saveexec_b64 s[30:31], vcc
	s_cbranch_execz .LBB6_6356
; %bb.6351:                             ;   in Loop: Header=BB6_5473 Depth=4
	v_and_b32_e32 v1, 0x7c000000, v11
	v_bfe_u32 v2, v11, 24, 2
	v_cmp_ne_u32_e32 vcc, s68, v1
                                        ; implicit-def: $vgpr1
	s_and_saveexec_b64 s[62:63], vcc
	s_xor_b64 s[34:35], exec, s[62:63]
	s_cbranch_execz .LBB6_6353
; %bb.6352:                             ;   in Loop: Header=BB6_5473 Depth=4
	v_ffbh_u32_e32 v1, v2
	v_min_u32_e32 v7, 32, v1
	v_subrev_u32_e32 v1, 29, v7
	v_lshlrev_b64 v[0:1], v1, v[0:1]
	v_bfe_u32 v5, v11, 26, 5
	v_sub_u32_e32 v1, 30, v7
	v_and_b32_e32 v0, 3, v0
	v_cmp_eq_u32_e32 vcc, 0, v5
	v_cndmask_b32_e32 v1, v5, v1, vcc
	v_cndmask_b32_e32 v0, v2, v0, vcc
	v_and_b32_e32 v2, 0x80000000, v11
	v_lshl_add_u32 v1, v1, 23, v2
	v_lshl_or_b32 v0, v0, 21, v1
	v_add_u32_e32 v1, 0x38000000, v0
                                        ; implicit-def: $vgpr2
                                        ; implicit-def: $vgpr10_vgpr11
.LBB6_6353:                             ;   in Loop: Header=BB6_5473 Depth=4
	s_andn2_saveexec_b64 s[34:35], s[34:35]
; %bb.6354:                             ;   in Loop: Header=BB6_5473 Depth=4
	v_cmp_lt_i64_e32 vcc, -1, v[10:11]
	v_mov_b32_e32 v0, 0xff800000
	v_mov_b32_e32 v1, 0x7f800000
	v_cndmask_b32_e32 v0, v0, v1, vcc
	v_cmp_eq_u32_e32 vcc, 0, v2
	v_mov_b32_e32 v1, 0x7f800001
	v_cndmask_b32_e32 v1, v1, v0, vcc
; %bb.6355:                             ;   in Loop: Header=BB6_5473 Depth=4
	s_or_b64 exec, exec, s[34:35]
.LBB6_6356:                             ;   in Loop: Header=BB6_5473 Depth=4
	s_or_b64 exec, exec, s[30:31]
.LBB6_6357:                             ;   in Loop: Header=BB6_5473 Depth=4
	s_or_b64 exec, exec, s[28:29]
	v_mul_f32_e32 v0, v12, v1
	v_and_b32_e32 v1, 0x7f800000, v0
	v_mov_b32_e32 v2, v33
	v_cmp_ne_u64_e32 vcc, s[76:77], v[1:2]
	v_and_b32_e32 v32, 0x7fffff, v0
                                        ; implicit-def: $vgpr1
                                        ; kill: killed $vgpr1
	s_and_saveexec_b64 s[28:29], vcc
	s_xor_b64 s[30:31], exec, s[28:29]
	s_cbranch_execz .LBB6_6371
; %bb.6358:                             ;   in Loop: Header=BB6_5473 Depth=4
	v_and_b32_e32 v1, 0x7fffffff, v0
	v_mov_b32_e32 v2, v33
	v_cmp_gt_u64_e32 vcc, s[78:79], v[1:2]
	v_and_b32_sdwa v5, v0, s97 dst_sel:DWORD dst_unused:UNUSED_PAD src0_sel:BYTE_3 src1_sel:DWORD
                                        ; implicit-def: $vgpr1
                                        ; kill: killed $vgpr1
	s_and_saveexec_b64 s[28:29], vcc
	s_xor_b64 s[34:35], exec, s[28:29]
	s_cbranch_execz .LBB6_6368
; %bb.6359:                             ;   in Loop: Header=BB6_5473 Depth=4
	v_mov_b32_e32 v1, 0
	v_cmp_ne_u32_e32 vcc, 0, v0
	buffer_store_dword v1, off, s[0:3], s33 offset:332 ; 4-byte Folded Spill
	s_and_saveexec_b64 s[36:37], vcc
	s_cbranch_execz .LBB6_6367
; %bb.6360:                             ;   in Loop: Header=BB6_5473 Depth=4
	v_bfe_u32 v7, v0, 23, 8
	v_cmp_gt_u32_e64 s[28:29], s47, v7
	v_sub_u32_e32 v0, 0x71, v7
	v_cmp_eq_u32_e32 vcc, 0, v7
	v_cndmask_b32_e64 v0, 0, v0, s[28:29]
	v_mov_b32_e32 v2, 0x70
	v_cndmask_b32_e32 v8, v0, v2, vcc
	v_add_u32_e32 v2, 21, v8
	v_or_b32_e32 v1, 0x800000, v32
	v_lshlrev_b64 v[9:10], v2, -1
	v_cndmask_b32_e32 v0, v1, v32, vcc
	v_mov_b32_e32 v1, v33
	v_add_u32_e32 v2, 20, v8
	v_bfi_b32 v9, v9, 0, v0
	v_lshlrev_b64 v[13:14], v2, 1
	v_lshrrev_b64 v[0:1], v8, v[0:1]
	v_bfi_b32 v10, v10, 0, 0
	v_cmp_eq_u64_e64 s[28:29], v[9:10], v[13:14]
	v_mov_b32_e32 v2, v1
	v_mov_b32_e32 v1, v0
	s_and_saveexec_b64 s[38:39], s[28:29]
; %bb.6361:                             ;   in Loop: Header=BB6_5473 Depth=4
	v_bfe_u32 v1, v0, 21, 1
	v_add_co_u32_e64 v1, s[28:29], v0, v1
	v_add_co_u32_e64 v1, s[28:29], -1, v1
; %bb.6362:                             ;   in Loop: Header=BB6_5473 Depth=4
	s_or_b64 exec, exec, s[38:39]
	v_add_u32_e32 v2, 0xffffff81, v7
	v_mov_b32_e32 v7, 0xffffff82
	v_cndmask_b32_e32 v2, v2, v7, vcc
	v_lshrrev_b32_e32 v7, 23, v0
	v_add3_u32 v8, v8, v2, v7
	v_add_u32_e32 v7, 14, v8
	v_and_b32_e32 v1, 0x1fffff, v1
	v_add_u32_e32 v32, v1, v0
	v_cmp_ne_u32_e32 vcc, 0, v7
                                        ; implicit-def: $vgpr0_vgpr1
                                        ; implicit-def: $vgpr2
	s_and_saveexec_b64 s[28:29], vcc
	s_xor_b64 s[28:29], exec, s[28:29]
; %bb.6363:                             ;   in Loop: Header=BB6_5473 Depth=4
	v_cmp_lt_u64_e32 vcc, s[88:89], v[32:33]
	v_add_u32_e32 v0, 15, v8
	v_cndmask_b32_e32 v2, v7, v0, vcc
	v_cndmask_b32_e64 v0, 0, 1, vcc
	v_lshrrev_b64 v[0:1], v0, v[32:33]
; %bb.6364:                             ;   in Loop: Header=BB6_5473 Depth=4
	s_andn2_saveexec_b64 s[28:29], s[28:29]
; %bb.6365:                             ;   in Loop: Header=BB6_5473 Depth=4
	v_mov_b32_e32 v0, v32
	v_mov_b32_e32 v1, v33
	v_bfe_u32 v2, v32, 23, 1
; %bb.6366:                             ;   in Loop: Header=BB6_5473 Depth=4
	s_or_b64 exec, exec, s[28:29]
	v_lshrrev_b64 v[0:1], 21, v[0:1]
	v_cmp_gt_i32_e32 vcc, 32, v2
	v_cndmask_b32_e32 v1, 0, v1, vcc
	v_cndmask_b32_e32 v0, 3, v0, vcc
	v_cmp_eq_u64_e64 s[28:29], 0, v[0:1]
	v_min_i32_e32 v1, 31, v2
	v_lshlrev_b32_e32 v1, 2, v1
	v_cmp_eq_u32_e32 vcc, 0, v2
	v_and_b32_e32 v1, 0xfc, v1
	v_and_or_b32 v0, v0, 3, v1
	s_and_b64 s[28:29], vcc, s[28:29]
	v_cndmask_b32_e64 v0, v0, 0, s[28:29]
	v_or_b32_e32 v0, v0, v5
	buffer_store_dword v0, off, s[0:3], s33 offset:332 ; 4-byte Folded Spill
.LBB6_6367:                             ;   in Loop: Header=BB6_5473 Depth=4
	s_or_b64 exec, exec, s[36:37]
                                        ; implicit-def: $vgpr5
.LBB6_6368:                             ;   in Loop: Header=BB6_5473 Depth=4
	s_andn2_saveexec_b64 s[28:29], s[34:35]
	s_cbranch_execz .LBB6_6370
; %bb.6369:                             ;   in Loop: Header=BB6_5473 Depth=4
	v_or_b32_e32 v0, 0x7b, v5
	buffer_store_dword v0, off, s[0:3], s33 offset:332 ; 4-byte Folded Spill
.LBB6_6370:                             ;   in Loop: Header=BB6_5473 Depth=4
	s_or_b64 exec, exec, s[28:29]
                                        ; implicit-def: $vgpr0
.LBB6_6371:                             ;   in Loop: Header=BB6_5473 Depth=4
	s_andn2_saveexec_b64 s[28:29], s[30:31]
	s_cbranch_execz .LBB6_6377
; %bb.6372:                             ;   in Loop: Header=BB6_5473 Depth=4
	v_cmp_ne_u64_e32 vcc, 0, v[32:33]
                                        ; implicit-def: $vgpr1
                                        ; kill: killed $vgpr1
	s_and_saveexec_b64 s[62:63], vcc
	s_xor_b64 vcc, exec, s[62:63]
	s_cbranch_execz .LBB6_6374
; %bb.6373:                             ;   in Loop: Header=BB6_5473 Depth=4
	v_or_b32_sdwa v0, v0, s44 dst_sel:DWORD dst_unused:UNUSED_PAD src0_sel:BYTE_3 src1_sel:DWORD
	buffer_store_dword v0, off, s[0:3], s33 offset:332 ; 4-byte Folded Spill
                                        ; implicit-def: $vgpr0
.LBB6_6374:                             ;   in Loop: Header=BB6_5473 Depth=4
	s_andn2_saveexec_b64 s[30:31], vcc
	s_cbranch_execz .LBB6_6376
; %bb.6375:                             ;   in Loop: Header=BB6_5473 Depth=4
	v_cmp_lt_i32_e32 vcc, -1, v0
	v_bfrev_b32_e32 v0, 0.5
	v_mov_b32_e32 v1, 0x7c
	v_cndmask_b32_e32 v0, v0, v1, vcc
	buffer_store_dword v0, off, s[0:3], s33 offset:332 ; 4-byte Folded Spill
.LBB6_6376:                             ;   in Loop: Header=BB6_5473 Depth=4
	s_or_b64 exec, exec, s[30:31]
.LBB6_6377:                             ;   in Loop: Header=BB6_5473 Depth=4
	s_or_b64 exec, exec, s[28:29]
	global_load_dwordx4 v[8:11], v[26:27], off offset:2048 glc slc
	v_mov_b32_e32 v0, 0
	s_waitcnt vmcnt(0)
	v_cmp_ne_u16_sdwa s[62:63], v8, v33 src0_sel:BYTE_0 src1_sel:DWORD
	s_and_saveexec_b64 s[28:29], s[62:63]
	s_cbranch_execz .LBB6_6385
; %bb.6378:                             ;   in Loop: Header=BB6_5473 Depth=4
	v_cmp_ne_u16_sdwa s[62:63], sext(v8), s46 src0_sel:BYTE_0 src1_sel:DWORD
	v_bfrev_b32_e32 v0, 1
	s_and_saveexec_b64 s[30:31], s[62:63]
	s_cbranch_execz .LBB6_6384
; %bb.6379:                             ;   in Loop: Header=BB6_5473 Depth=4
	v_and_b32_e32 v0, 0x7c, v8
	v_and_b32_e32 v1, 3, v8
	v_cmp_ne_u32_e32 vcc, s86, v0
                                        ; implicit-def: $vgpr0
	s_and_saveexec_b64 s[62:63], vcc
	s_xor_b64 s[34:35], exec, s[62:63]
	s_cbranch_execz .LBB6_6381
; %bb.6380:                             ;   in Loop: Header=BB6_5473 Depth=4
	v_ffbh_u32_e32 v2, v1
	v_min_u32_e32 v2, 32, v2
	v_bfe_u32 v0, v8, 2, 5
	v_subrev_u32_e32 v5, 29, v2
	v_lshlrev_b64 v[13:14], v5, v[8:9]
	v_sub_u32_e32 v2, 30, v2
	v_cmp_eq_u32_e32 vcc, 0, v0
	v_cndmask_b32_e32 v0, v0, v2, vcc
	v_lshlrev_b32_e32 v2, 24, v8
	v_and_b32_e32 v5, 3, v13
	v_and_b32_e32 v2, 0x80000000, v2
	v_cndmask_b32_e32 v1, v1, v5, vcc
	v_lshl_add_u32 v0, v0, 23, v2
	v_lshl_or_b32 v0, v1, 21, v0
	v_add_u32_e32 v0, 0x38000000, v0
                                        ; implicit-def: $vgpr1
.LBB6_6381:                             ;   in Loop: Header=BB6_5473 Depth=4
	s_andn2_saveexec_b64 s[34:35], s[34:35]
; %bb.6382:                             ;   in Loop: Header=BB6_5473 Depth=4
	v_mov_b32_e32 v0, -1
	v_cmp_gt_i16_sdwa vcc, sext(v8), v0 src0_sel:BYTE_0 src1_sel:DWORD
	v_mov_b32_e32 v0, 0xff800000
	v_mov_b32_e32 v2, 0x7f800000
	v_cndmask_b32_e32 v0, v0, v2, vcc
	v_cmp_eq_u32_e32 vcc, 0, v1
	v_mov_b32_e32 v1, 0x7f800001
	v_cndmask_b32_e32 v0, v1, v0, vcc
; %bb.6383:                             ;   in Loop: Header=BB6_5473 Depth=4
	s_or_b64 exec, exec, s[34:35]
.LBB6_6384:                             ;   in Loop: Header=BB6_5473 Depth=4
	s_or_b64 exec, exec, s[30:31]
.LBB6_6385:                             ;   in Loop: Header=BB6_5473 Depth=4
	s_or_b64 exec, exec, s[28:29]
	v_mul_f32_e32 v0, v12, v0
	v_and_b32_e32 v1, 0x7f800000, v0
	v_mov_b32_e32 v2, v33
	v_cmp_ne_u64_e32 vcc, s[76:77], v[1:2]
	v_and_b32_e32 v32, 0x7fffff, v0
                                        ; implicit-def: $vgpr5
	s_and_saveexec_b64 s[28:29], vcc
	s_xor_b64 s[30:31], exec, s[28:29]
	s_cbranch_execz .LBB6_6399
; %bb.6386:                             ;   in Loop: Header=BB6_5473 Depth=4
	v_and_b32_e32 v1, 0x7fffffff, v0
	v_mov_b32_e32 v2, v33
	v_cmp_gt_u64_e32 vcc, s[78:79], v[1:2]
	v_and_b32_sdwa v7, v0, s97 dst_sel:DWORD dst_unused:UNUSED_PAD src0_sel:BYTE_3 src1_sel:DWORD
                                        ; implicit-def: $vgpr5
	s_and_saveexec_b64 s[28:29], vcc
	s_xor_b64 s[34:35], exec, s[28:29]
	s_cbranch_execz .LBB6_6396
; %bb.6387:                             ;   in Loop: Header=BB6_5473 Depth=4
	v_mov_b32_e32 v5, 0
	v_cmp_ne_u32_e32 vcc, 0, v0
	s_and_saveexec_b64 s[36:37], vcc
	s_cbranch_execz .LBB6_6395
; %bb.6388:                             ;   in Loop: Header=BB6_5473 Depth=4
	v_bfe_u32 v5, v0, 23, 8
	v_cmp_gt_u32_e64 s[28:29], s47, v5
	v_sub_u32_e32 v0, 0x71, v5
	v_cmp_eq_u32_e32 vcc, 0, v5
	v_cndmask_b32_e64 v0, 0, v0, s[28:29]
	v_mov_b32_e32 v2, 0x70
	v_cndmask_b32_e32 v13, v0, v2, vcc
	v_add_u32_e32 v2, 21, v13
	v_or_b32_e32 v1, 0x800000, v32
	v_lshlrev_b64 v[14:15], v2, -1
	v_cndmask_b32_e32 v0, v1, v32, vcc
	v_mov_b32_e32 v1, v33
	v_add_u32_e32 v2, 20, v13
	v_bfi_b32 v14, v14, 0, v0
	v_lshlrev_b64 v[16:17], v2, 1
	v_lshrrev_b64 v[0:1], v13, v[0:1]
	v_bfi_b32 v15, v15, 0, 0
	v_cmp_eq_u64_e64 s[28:29], v[14:15], v[16:17]
	v_mov_b32_e32 v2, v1
	v_mov_b32_e32 v1, v0
	s_and_saveexec_b64 s[38:39], s[28:29]
; %bb.6389:                             ;   in Loop: Header=BB6_5473 Depth=4
	v_bfe_u32 v1, v0, 21, 1
	v_add_co_u32_e64 v1, s[28:29], v0, v1
	v_add_co_u32_e64 v1, s[28:29], -1, v1
; %bb.6390:                             ;   in Loop: Header=BB6_5473 Depth=4
	s_or_b64 exec, exec, s[38:39]
	v_add_u32_e32 v2, 0xffffff81, v5
	v_mov_b32_e32 v5, 0xffffff82
	v_cndmask_b32_e32 v2, v2, v5, vcc
	v_lshrrev_b32_e32 v5, 23, v0
	v_add3_u32 v13, v13, v2, v5
	v_add_u32_e32 v5, 14, v13
	v_and_b32_e32 v1, 0x1fffff, v1
	v_add_u32_e32 v32, v1, v0
	v_cmp_ne_u32_e32 vcc, 0, v5
                                        ; implicit-def: $vgpr0_vgpr1
                                        ; implicit-def: $vgpr2
	s_and_saveexec_b64 s[28:29], vcc
	s_xor_b64 s[28:29], exec, s[28:29]
; %bb.6391:                             ;   in Loop: Header=BB6_5473 Depth=4
	v_cmp_lt_u64_e32 vcc, s[88:89], v[32:33]
	v_add_u32_e32 v0, 15, v13
	v_cndmask_b32_e32 v2, v5, v0, vcc
	v_cndmask_b32_e64 v0, 0, 1, vcc
	v_lshrrev_b64 v[0:1], v0, v[32:33]
; %bb.6392:                             ;   in Loop: Header=BB6_5473 Depth=4
	s_andn2_saveexec_b64 s[28:29], s[28:29]
; %bb.6393:                             ;   in Loop: Header=BB6_5473 Depth=4
	v_mov_b32_e32 v0, v32
	v_mov_b32_e32 v1, v33
	v_bfe_u32 v2, v32, 23, 1
; %bb.6394:                             ;   in Loop: Header=BB6_5473 Depth=4
	s_or_b64 exec, exec, s[28:29]
	v_lshrrev_b64 v[0:1], 21, v[0:1]
	v_cmp_gt_i32_e32 vcc, 32, v2
	v_cndmask_b32_e32 v1, 0, v1, vcc
	v_cndmask_b32_e32 v0, 3, v0, vcc
	v_cmp_eq_u64_e64 s[28:29], 0, v[0:1]
	v_min_i32_e32 v1, 31, v2
	v_lshlrev_b32_e32 v1, 2, v1
	v_cmp_eq_u32_e32 vcc, 0, v2
	v_and_b32_e32 v1, 0xfc, v1
	v_and_or_b32 v0, v0, 3, v1
	s_and_b64 s[28:29], vcc, s[28:29]
	v_cndmask_b32_e64 v0, v0, 0, s[28:29]
	v_or_b32_e32 v5, v0, v7
.LBB6_6395:                             ;   in Loop: Header=BB6_5473 Depth=4
	s_or_b64 exec, exec, s[36:37]
                                        ; implicit-def: $vgpr7
.LBB6_6396:                             ;   in Loop: Header=BB6_5473 Depth=4
	s_andn2_saveexec_b64 s[28:29], s[34:35]
; %bb.6397:                             ;   in Loop: Header=BB6_5473 Depth=4
	v_or_b32_e32 v5, 0x7b, v7
; %bb.6398:                             ;   in Loop: Header=BB6_5473 Depth=4
	s_or_b64 exec, exec, s[28:29]
                                        ; implicit-def: $vgpr0
.LBB6_6399:                             ;   in Loop: Header=BB6_5473 Depth=4
	s_andn2_saveexec_b64 s[28:29], s[30:31]
	s_cbranch_execz .LBB6_6405
; %bb.6400:                             ;   in Loop: Header=BB6_5473 Depth=4
	v_cmp_ne_u64_e32 vcc, 0, v[32:33]
                                        ; implicit-def: $vgpr5
	s_and_saveexec_b64 s[62:63], vcc
	s_xor_b64 vcc, exec, s[62:63]
; %bb.6401:                             ;   in Loop: Header=BB6_5473 Depth=4
	v_or_b32_sdwa v5, v0, s44 dst_sel:DWORD dst_unused:UNUSED_PAD src0_sel:BYTE_3 src1_sel:DWORD
                                        ; implicit-def: $vgpr0
; %bb.6402:                             ;   in Loop: Header=BB6_5473 Depth=4
	s_andn2_saveexec_b64 s[30:31], vcc
; %bb.6403:                             ;   in Loop: Header=BB6_5473 Depth=4
	v_cmp_lt_i32_e32 vcc, -1, v0
	v_bfrev_b32_e32 v0, 0.5
	v_mov_b32_e32 v1, 0x7c
	v_cndmask_b32_e32 v5, v0, v1, vcc
; %bb.6404:                             ;   in Loop: Header=BB6_5473 Depth=4
	s_or_b64 exec, exec, s[30:31]
.LBB6_6405:                             ;   in Loop: Header=BB6_5473 Depth=4
	s_or_b64 exec, exec, s[28:29]
	v_lshrrev_b16_e32 v0, 8, v8
	v_cmp_ne_u16_e32 vcc, 0, v0
	v_mov_b32_e32 v1, 0
	s_and_saveexec_b64 s[28:29], vcc
	s_cbranch_execz .LBB6_6413
; %bb.6406:                             ;   in Loop: Header=BB6_5473 Depth=4
	v_cmp_ne_u16_e32 vcc, s97, v0
	v_bfrev_b32_e32 v1, 1
	s_and_saveexec_b64 s[30:31], vcc
	s_cbranch_execz .LBB6_6412
; %bb.6407:                             ;   in Loop: Header=BB6_5473 Depth=4
	v_and_b32_e32 v1, 0x7c, v0
	v_and_b32_e32 v2, 3, v0
	v_cmp_ne_u32_e32 vcc, s86, v1
                                        ; implicit-def: $vgpr1
	s_and_saveexec_b64 s[62:63], vcc
	s_xor_b64 s[34:35], exec, s[62:63]
	s_cbranch_execz .LBB6_6409
; %bb.6408:                             ;   in Loop: Header=BB6_5473 Depth=4
	v_ffbh_u32_e32 v13, v2
	v_min_u32_e32 v13, 32, v13
	v_mov_b32_e32 v1, v33
	v_subrev_u32_e32 v14, 29, v13
	v_bfe_u32 v7, v0, 2, 5
	v_lshlrev_b64 v[0:1], v14, v[0:1]
	v_cmp_eq_u32_e32 vcc, 0, v7
	v_and_b32_e32 v0, 3, v0
	v_sub_u32_e32 v1, 30, v13
	v_cndmask_b32_e32 v0, v2, v0, vcc
	v_lshlrev_b32_e32 v2, 16, v8
	v_cndmask_b32_e32 v1, v7, v1, vcc
	v_and_b32_e32 v2, 0x80000000, v2
	v_lshl_add_u32 v1, v1, 23, v2
	v_lshl_or_b32 v0, v0, 21, v1
	v_add_u32_e32 v1, 0x38000000, v0
                                        ; implicit-def: $vgpr2
.LBB6_6409:                             ;   in Loop: Header=BB6_5473 Depth=4
	s_andn2_saveexec_b64 s[34:35], s[34:35]
; %bb.6410:                             ;   in Loop: Header=BB6_5473 Depth=4
	v_cmp_lt_i16_e32 vcc, -1, v8
	v_mov_b32_e32 v0, 0xff800000
	v_mov_b32_e32 v1, 0x7f800000
	v_cndmask_b32_e32 v0, v0, v1, vcc
	v_cmp_eq_u32_e32 vcc, 0, v2
	v_mov_b32_e32 v1, 0x7f800001
	v_cndmask_b32_e32 v1, v1, v0, vcc
; %bb.6411:                             ;   in Loop: Header=BB6_5473 Depth=4
	s_or_b64 exec, exec, s[34:35]
.LBB6_6412:                             ;   in Loop: Header=BB6_5473 Depth=4
	s_or_b64 exec, exec, s[30:31]
.LBB6_6413:                             ;   in Loop: Header=BB6_5473 Depth=4
	s_or_b64 exec, exec, s[28:29]
	v_mul_f32_e32 v0, v12, v1
	v_and_b32_e32 v1, 0x7f800000, v0
	v_mov_b32_e32 v2, v33
	v_cmp_ne_u64_e32 vcc, s[76:77], v[1:2]
	v_and_b32_e32 v32, 0x7fffff, v0
                                        ; implicit-def: $vgpr57
	s_and_saveexec_b64 s[28:29], vcc
	s_xor_b64 s[30:31], exec, s[28:29]
	s_cbranch_execz .LBB6_6427
; %bb.6414:                             ;   in Loop: Header=BB6_5473 Depth=4
	v_and_b32_e32 v1, 0x7fffffff, v0
	v_mov_b32_e32 v2, v33
	v_cmp_gt_u64_e32 vcc, s[78:79], v[1:2]
	v_and_b32_sdwa v7, v0, s97 dst_sel:DWORD dst_unused:UNUSED_PAD src0_sel:BYTE_3 src1_sel:DWORD
                                        ; implicit-def: $vgpr57
	s_and_saveexec_b64 s[28:29], vcc
	s_xor_b64 s[34:35], exec, s[28:29]
	s_cbranch_execz .LBB6_6424
; %bb.6415:                             ;   in Loop: Header=BB6_5473 Depth=4
	v_mov_b32_e32 v57, 0
	v_cmp_ne_u32_e32 vcc, 0, v0
	s_and_saveexec_b64 s[36:37], vcc
	s_cbranch_execz .LBB6_6423
; %bb.6416:                             ;   in Loop: Header=BB6_5473 Depth=4
	v_bfe_u32 v13, v0, 23, 8
	v_cmp_gt_u32_e64 s[28:29], s47, v13
	v_sub_u32_e32 v0, 0x71, v13
	v_cmp_eq_u32_e32 vcc, 0, v13
	v_cndmask_b32_e64 v0, 0, v0, s[28:29]
	v_mov_b32_e32 v2, 0x70
	v_cndmask_b32_e32 v14, v0, v2, vcc
	v_add_u32_e32 v2, 21, v14
	v_or_b32_e32 v1, 0x800000, v32
	v_lshlrev_b64 v[15:16], v2, -1
	v_cndmask_b32_e32 v0, v1, v32, vcc
	v_mov_b32_e32 v1, v33
	v_add_u32_e32 v2, 20, v14
	v_bfi_b32 v15, v15, 0, v0
	v_lshlrev_b64 v[17:18], v2, 1
	v_lshrrev_b64 v[0:1], v14, v[0:1]
	v_bfi_b32 v16, v16, 0, 0
	v_cmp_eq_u64_e64 s[28:29], v[15:16], v[17:18]
	v_mov_b32_e32 v2, v1
	v_mov_b32_e32 v1, v0
	s_and_saveexec_b64 s[38:39], s[28:29]
; %bb.6417:                             ;   in Loop: Header=BB6_5473 Depth=4
	v_bfe_u32 v1, v0, 21, 1
	v_add_co_u32_e64 v1, s[28:29], v0, v1
	v_add_co_u32_e64 v1, s[28:29], -1, v1
; %bb.6418:                             ;   in Loop: Header=BB6_5473 Depth=4
	s_or_b64 exec, exec, s[38:39]
	v_add_u32_e32 v2, 0xffffff81, v13
	v_mov_b32_e32 v13, 0xffffff82
	v_cndmask_b32_e32 v2, v2, v13, vcc
	v_lshrrev_b32_e32 v13, 23, v0
	v_add3_u32 v14, v14, v2, v13
	v_add_u32_e32 v13, 14, v14
	v_and_b32_e32 v1, 0x1fffff, v1
	v_add_u32_e32 v32, v1, v0
	v_cmp_ne_u32_e32 vcc, 0, v13
                                        ; implicit-def: $vgpr0_vgpr1
                                        ; implicit-def: $vgpr2
	s_and_saveexec_b64 s[28:29], vcc
	s_xor_b64 s[28:29], exec, s[28:29]
; %bb.6419:                             ;   in Loop: Header=BB6_5473 Depth=4
	v_cmp_lt_u64_e32 vcc, s[88:89], v[32:33]
	v_add_u32_e32 v0, 15, v14
	v_cndmask_b32_e32 v2, v13, v0, vcc
	v_cndmask_b32_e64 v0, 0, 1, vcc
	v_lshrrev_b64 v[0:1], v0, v[32:33]
; %bb.6420:                             ;   in Loop: Header=BB6_5473 Depth=4
	s_andn2_saveexec_b64 s[28:29], s[28:29]
; %bb.6421:                             ;   in Loop: Header=BB6_5473 Depth=4
	v_mov_b32_e32 v0, v32
	v_mov_b32_e32 v1, v33
	v_bfe_u32 v2, v32, 23, 1
; %bb.6422:                             ;   in Loop: Header=BB6_5473 Depth=4
	s_or_b64 exec, exec, s[28:29]
	v_lshrrev_b64 v[0:1], 21, v[0:1]
	v_cmp_gt_i32_e32 vcc, 32, v2
	v_cndmask_b32_e32 v1, 0, v1, vcc
	v_cndmask_b32_e32 v0, 3, v0, vcc
	v_cmp_eq_u64_e64 s[28:29], 0, v[0:1]
	v_min_i32_e32 v1, 31, v2
	v_lshlrev_b32_e32 v1, 2, v1
	v_cmp_eq_u32_e32 vcc, 0, v2
	v_and_b32_e32 v1, 0xfc, v1
	v_and_or_b32 v0, v0, 3, v1
	s_and_b64 s[28:29], vcc, s[28:29]
	v_cndmask_b32_e64 v0, v0, 0, s[28:29]
	v_or_b32_e32 v57, v0, v7
.LBB6_6423:                             ;   in Loop: Header=BB6_5473 Depth=4
	s_or_b64 exec, exec, s[36:37]
                                        ; implicit-def: $vgpr7
.LBB6_6424:                             ;   in Loop: Header=BB6_5473 Depth=4
	s_andn2_saveexec_b64 s[28:29], s[34:35]
; %bb.6425:                             ;   in Loop: Header=BB6_5473 Depth=4
	v_or_b32_e32 v57, 0x7b, v7
; %bb.6426:                             ;   in Loop: Header=BB6_5473 Depth=4
	s_or_b64 exec, exec, s[28:29]
                                        ; implicit-def: $vgpr0
.LBB6_6427:                             ;   in Loop: Header=BB6_5473 Depth=4
	s_andn2_saveexec_b64 s[28:29], s[30:31]
	s_cbranch_execz .LBB6_6433
; %bb.6428:                             ;   in Loop: Header=BB6_5473 Depth=4
	v_cmp_ne_u64_e32 vcc, 0, v[32:33]
                                        ; implicit-def: $vgpr57
	s_and_saveexec_b64 s[62:63], vcc
	s_xor_b64 vcc, exec, s[62:63]
; %bb.6429:                             ;   in Loop: Header=BB6_5473 Depth=4
	v_or_b32_sdwa v57, v0, s44 dst_sel:DWORD dst_unused:UNUSED_PAD src0_sel:BYTE_3 src1_sel:DWORD
                                        ; implicit-def: $vgpr0
; %bb.6430:                             ;   in Loop: Header=BB6_5473 Depth=4
	s_andn2_saveexec_b64 s[30:31], vcc
; %bb.6431:                             ;   in Loop: Header=BB6_5473 Depth=4
	v_cmp_lt_i32_e32 vcc, -1, v0
	v_bfrev_b32_e32 v0, 0.5
	v_mov_b32_e32 v1, 0x7c
	v_cndmask_b32_e32 v57, v0, v1, vcc
; %bb.6432:                             ;   in Loop: Header=BB6_5473 Depth=4
	s_or_b64 exec, exec, s[30:31]
.LBB6_6433:                             ;   in Loop: Header=BB6_5473 Depth=4
	s_or_b64 exec, exec, s[28:29]
	v_lshrrev_b32_e32 v0, 16, v8
	v_cmp_ne_u16_sdwa s[62:63], v0, v33 src0_sel:BYTE_0 src1_sel:DWORD
	v_mov_b32_e32 v1, 0
	s_and_saveexec_b64 s[28:29], s[62:63]
	s_cbranch_execz .LBB6_6441
; %bb.6434:                             ;   in Loop: Header=BB6_5473 Depth=4
	v_cmp_ne_u16_sdwa s[62:63], v0, s97 src0_sel:BYTE_0 src1_sel:DWORD
	v_bfrev_b32_e32 v1, 1
	s_and_saveexec_b64 s[30:31], s[62:63]
	s_cbranch_execz .LBB6_6440
; %bb.6435:                             ;   in Loop: Header=BB6_5473 Depth=4
	v_and_b32_e32 v1, 0x7c0000, v8
	v_bfe_u32 v2, v8, 16, 2
	v_cmp_ne_u32_e32 vcc, s45, v1
                                        ; implicit-def: $vgpr1
	s_and_saveexec_b64 s[62:63], vcc
	s_xor_b64 s[34:35], exec, s[62:63]
	s_cbranch_execz .LBB6_6437
; %bb.6436:                             ;   in Loop: Header=BB6_5473 Depth=4
	v_ffbh_u32_e32 v1, v2
	v_min_u32_e32 v13, 32, v1
	v_subrev_u32_e32 v1, 29, v13
	v_lshlrev_b64 v[0:1], v1, v[0:1]
	v_bfe_u32 v7, v8, 18, 5
	v_and_b32_e32 v0, 3, v0
	v_cmp_eq_u32_e32 vcc, 0, v7
	v_sub_u32_e32 v1, 30, v13
	v_cndmask_b32_e32 v0, v2, v0, vcc
	v_lshlrev_b32_e32 v2, 8, v8
	v_cndmask_b32_e32 v1, v7, v1, vcc
	v_and_b32_e32 v2, 0x80000000, v2
	v_lshl_add_u32 v1, v1, 23, v2
	v_lshl_or_b32 v0, v0, 21, v1
	v_add_u32_e32 v1, 0x38000000, v0
                                        ; implicit-def: $vgpr2
                                        ; implicit-def: $vgpr0
.LBB6_6437:                             ;   in Loop: Header=BB6_5473 Depth=4
	s_andn2_saveexec_b64 s[34:35], s[34:35]
; %bb.6438:                             ;   in Loop: Header=BB6_5473 Depth=4
	v_mov_b32_e32 v1, -1
	v_cmp_gt_i16_sdwa vcc, sext(v0), v1 src0_sel:BYTE_0 src1_sel:DWORD
	v_mov_b32_e32 v0, 0xff800000
	v_mov_b32_e32 v1, 0x7f800000
	v_cndmask_b32_e32 v0, v0, v1, vcc
	v_cmp_eq_u32_e32 vcc, 0, v2
	v_mov_b32_e32 v1, 0x7f800001
	v_cndmask_b32_e32 v1, v1, v0, vcc
; %bb.6439:                             ;   in Loop: Header=BB6_5473 Depth=4
	s_or_b64 exec, exec, s[34:35]
.LBB6_6440:                             ;   in Loop: Header=BB6_5473 Depth=4
	s_or_b64 exec, exec, s[30:31]
.LBB6_6441:                             ;   in Loop: Header=BB6_5473 Depth=4
	s_or_b64 exec, exec, s[28:29]
	v_mul_f32_e32 v0, v12, v1
	v_and_b32_e32 v1, 0x7f800000, v0
	v_mov_b32_e32 v2, v33
	v_cmp_ne_u64_e32 vcc, s[76:77], v[1:2]
	v_and_b32_e32 v32, 0x7fffff, v0
                                        ; implicit-def: $vgpr1
                                        ; kill: killed $vgpr1
	s_and_saveexec_b64 s[28:29], vcc
	s_xor_b64 s[30:31], exec, s[28:29]
	s_cbranch_execz .LBB6_6455
; %bb.6442:                             ;   in Loop: Header=BB6_5473 Depth=4
	v_and_b32_e32 v1, 0x7fffffff, v0
	v_mov_b32_e32 v2, v33
	v_cmp_gt_u64_e32 vcc, s[78:79], v[1:2]
	v_and_b32_sdwa v7, v0, s97 dst_sel:DWORD dst_unused:UNUSED_PAD src0_sel:BYTE_3 src1_sel:DWORD
                                        ; implicit-def: $vgpr1
                                        ; kill: killed $vgpr1
	s_and_saveexec_b64 s[28:29], vcc
	s_xor_b64 s[34:35], exec, s[28:29]
	s_cbranch_execz .LBB6_6452
; %bb.6443:                             ;   in Loop: Header=BB6_5473 Depth=4
	v_mov_b32_e32 v1, 0
	v_cmp_ne_u32_e32 vcc, 0, v0
	buffer_store_dword v1, off, s[0:3], s33 offset:304 ; 4-byte Folded Spill
	s_and_saveexec_b64 s[36:37], vcc
	s_cbranch_execz .LBB6_6451
; %bb.6444:                             ;   in Loop: Header=BB6_5473 Depth=4
	v_bfe_u32 v13, v0, 23, 8
	v_cmp_gt_u32_e64 s[28:29], s47, v13
	v_sub_u32_e32 v0, 0x71, v13
	v_cmp_eq_u32_e32 vcc, 0, v13
	v_cndmask_b32_e64 v0, 0, v0, s[28:29]
	v_mov_b32_e32 v2, 0x70
	v_cndmask_b32_e32 v14, v0, v2, vcc
	v_add_u32_e32 v2, 21, v14
	v_or_b32_e32 v1, 0x800000, v32
	v_lshlrev_b64 v[15:16], v2, -1
	v_cndmask_b32_e32 v0, v1, v32, vcc
	v_mov_b32_e32 v1, v33
	v_add_u32_e32 v2, 20, v14
	v_bfi_b32 v15, v15, 0, v0
	v_lshlrev_b64 v[17:18], v2, 1
	v_lshrrev_b64 v[0:1], v14, v[0:1]
	v_bfi_b32 v16, v16, 0, 0
	v_cmp_eq_u64_e64 s[28:29], v[15:16], v[17:18]
	v_mov_b32_e32 v2, v1
	v_mov_b32_e32 v1, v0
	s_and_saveexec_b64 s[38:39], s[28:29]
; %bb.6445:                             ;   in Loop: Header=BB6_5473 Depth=4
	v_bfe_u32 v1, v0, 21, 1
	v_add_co_u32_e64 v1, s[28:29], v0, v1
	v_add_co_u32_e64 v1, s[28:29], -1, v1
; %bb.6446:                             ;   in Loop: Header=BB6_5473 Depth=4
	s_or_b64 exec, exec, s[38:39]
	v_add_u32_e32 v2, 0xffffff81, v13
	v_mov_b32_e32 v13, 0xffffff82
	v_cndmask_b32_e32 v2, v2, v13, vcc
	v_lshrrev_b32_e32 v13, 23, v0
	v_add3_u32 v14, v14, v2, v13
	v_add_u32_e32 v13, 14, v14
	v_and_b32_e32 v1, 0x1fffff, v1
	v_add_u32_e32 v32, v1, v0
	v_cmp_ne_u32_e32 vcc, 0, v13
                                        ; implicit-def: $vgpr0_vgpr1
                                        ; implicit-def: $vgpr2
	s_and_saveexec_b64 s[28:29], vcc
	s_xor_b64 s[28:29], exec, s[28:29]
; %bb.6447:                             ;   in Loop: Header=BB6_5473 Depth=4
	v_cmp_lt_u64_e32 vcc, s[88:89], v[32:33]
	v_add_u32_e32 v0, 15, v14
	v_cndmask_b32_e32 v2, v13, v0, vcc
	v_cndmask_b32_e64 v0, 0, 1, vcc
	v_lshrrev_b64 v[0:1], v0, v[32:33]
; %bb.6448:                             ;   in Loop: Header=BB6_5473 Depth=4
	s_andn2_saveexec_b64 s[28:29], s[28:29]
; %bb.6449:                             ;   in Loop: Header=BB6_5473 Depth=4
	v_mov_b32_e32 v0, v32
	v_mov_b32_e32 v1, v33
	v_bfe_u32 v2, v32, 23, 1
; %bb.6450:                             ;   in Loop: Header=BB6_5473 Depth=4
	s_or_b64 exec, exec, s[28:29]
	v_lshrrev_b64 v[0:1], 21, v[0:1]
	v_cmp_gt_i32_e32 vcc, 32, v2
	v_cndmask_b32_e32 v1, 0, v1, vcc
	v_cndmask_b32_e32 v0, 3, v0, vcc
	v_cmp_eq_u64_e64 s[28:29], 0, v[0:1]
	v_min_i32_e32 v1, 31, v2
	v_lshlrev_b32_e32 v1, 2, v1
	v_cmp_eq_u32_e32 vcc, 0, v2
	v_and_b32_e32 v1, 0xfc, v1
	v_and_or_b32 v0, v0, 3, v1
	s_and_b64 s[28:29], vcc, s[28:29]
	v_cndmask_b32_e64 v0, v0, 0, s[28:29]
	v_or_b32_e32 v0, v0, v7
	buffer_store_dword v0, off, s[0:3], s33 offset:304 ; 4-byte Folded Spill
.LBB6_6451:                             ;   in Loop: Header=BB6_5473 Depth=4
	s_or_b64 exec, exec, s[36:37]
                                        ; implicit-def: $vgpr7
.LBB6_6452:                             ;   in Loop: Header=BB6_5473 Depth=4
	s_andn2_saveexec_b64 s[28:29], s[34:35]
	s_cbranch_execz .LBB6_6454
; %bb.6453:                             ;   in Loop: Header=BB6_5473 Depth=4
	v_or_b32_e32 v0, 0x7b, v7
	buffer_store_dword v0, off, s[0:3], s33 offset:304 ; 4-byte Folded Spill
.LBB6_6454:                             ;   in Loop: Header=BB6_5473 Depth=4
	s_or_b64 exec, exec, s[28:29]
                                        ; implicit-def: $vgpr0
.LBB6_6455:                             ;   in Loop: Header=BB6_5473 Depth=4
	s_andn2_saveexec_b64 s[28:29], s[30:31]
	s_cbranch_execz .LBB6_6461
; %bb.6456:                             ;   in Loop: Header=BB6_5473 Depth=4
	v_cmp_ne_u64_e32 vcc, 0, v[32:33]
                                        ; implicit-def: $vgpr1
                                        ; kill: killed $vgpr1
	s_and_saveexec_b64 s[62:63], vcc
	s_xor_b64 vcc, exec, s[62:63]
	s_cbranch_execz .LBB6_6458
; %bb.6457:                             ;   in Loop: Header=BB6_5473 Depth=4
	v_or_b32_sdwa v0, v0, s44 dst_sel:DWORD dst_unused:UNUSED_PAD src0_sel:BYTE_3 src1_sel:DWORD
	buffer_store_dword v0, off, s[0:3], s33 offset:304 ; 4-byte Folded Spill
                                        ; implicit-def: $vgpr0
.LBB6_6458:                             ;   in Loop: Header=BB6_5473 Depth=4
	s_andn2_saveexec_b64 s[30:31], vcc
	s_cbranch_execz .LBB6_6460
; %bb.6459:                             ;   in Loop: Header=BB6_5473 Depth=4
	v_cmp_lt_i32_e32 vcc, -1, v0
	v_bfrev_b32_e32 v0, 0.5
	v_mov_b32_e32 v1, 0x7c
	v_cndmask_b32_e32 v0, v0, v1, vcc
	buffer_store_dword v0, off, s[0:3], s33 offset:304 ; 4-byte Folded Spill
.LBB6_6460:                             ;   in Loop: Header=BB6_5473 Depth=4
	s_or_b64 exec, exec, s[30:31]
.LBB6_6461:                             ;   in Loop: Header=BB6_5473 Depth=4
	s_or_b64 exec, exec, s[28:29]
	v_cmp_lt_u32_e32 vcc, s57, v8
	v_mov_b32_e32 v1, 0
	s_and_saveexec_b64 s[28:29], vcc
	s_cbranch_execz .LBB6_6469
; %bb.6462:                             ;   in Loop: Header=BB6_5473 Depth=4
	v_lshrrev_b32_e32 v0, 24, v8
	v_cmp_ne_u32_e32 vcc, s97, v0
	v_bfrev_b32_e32 v1, 1
	s_and_saveexec_b64 s[30:31], vcc
	s_cbranch_execz .LBB6_6468
; %bb.6463:                             ;   in Loop: Header=BB6_5473 Depth=4
	v_and_b32_e32 v1, 0x7c000000, v8
	v_bfe_u32 v2, v8, 24, 2
	v_cmp_ne_u32_e32 vcc, s68, v1
                                        ; implicit-def: $vgpr1
	s_and_saveexec_b64 s[62:63], vcc
	s_xor_b64 s[34:35], exec, s[62:63]
	s_cbranch_execz .LBB6_6465
; %bb.6464:                             ;   in Loop: Header=BB6_5473 Depth=4
	v_ffbh_u32_e32 v1, v2
	v_min_u32_e32 v13, 32, v1
	v_subrev_u32_e32 v1, 29, v13
	v_lshlrev_b64 v[0:1], v1, v[0:1]
	v_bfe_u32 v7, v8, 26, 5
	v_sub_u32_e32 v1, 30, v13
	v_and_b32_e32 v0, 3, v0
	v_cmp_eq_u32_e32 vcc, 0, v7
	v_cndmask_b32_e32 v1, v7, v1, vcc
	v_cndmask_b32_e32 v0, v2, v0, vcc
	v_and_b32_e32 v2, 0x80000000, v8
	v_lshl_add_u32 v1, v1, 23, v2
	v_lshl_or_b32 v0, v0, 21, v1
	v_add_u32_e32 v1, 0x38000000, v0
                                        ; implicit-def: $vgpr2
.LBB6_6465:                             ;   in Loop: Header=BB6_5473 Depth=4
	s_andn2_saveexec_b64 s[34:35], s[34:35]
; %bb.6466:                             ;   in Loop: Header=BB6_5473 Depth=4
	v_cmp_lt_i32_e32 vcc, -1, v8
	v_mov_b32_e32 v0, 0xff800000
	v_mov_b32_e32 v1, 0x7f800000
	v_cndmask_b32_e32 v0, v0, v1, vcc
	v_cmp_eq_u32_e32 vcc, 0, v2
	v_mov_b32_e32 v1, 0x7f800001
	v_cndmask_b32_e32 v1, v1, v0, vcc
; %bb.6467:                             ;   in Loop: Header=BB6_5473 Depth=4
	s_or_b64 exec, exec, s[34:35]
.LBB6_6468:                             ;   in Loop: Header=BB6_5473 Depth=4
	s_or_b64 exec, exec, s[30:31]
.LBB6_6469:                             ;   in Loop: Header=BB6_5473 Depth=4
	s_or_b64 exec, exec, s[28:29]
	v_mul_f32_e32 v0, v12, v1
	v_and_b32_e32 v1, 0x7f800000, v0
	v_mov_b32_e32 v2, v33
	v_cmp_ne_u64_e32 vcc, s[76:77], v[1:2]
	v_and_b32_e32 v32, 0x7fffff, v0
                                        ; implicit-def: $vgpr1
                                        ; kill: killed $vgpr1
	s_and_saveexec_b64 s[28:29], vcc
	s_xor_b64 s[30:31], exec, s[28:29]
	s_cbranch_execz .LBB6_6483
; %bb.6470:                             ;   in Loop: Header=BB6_5473 Depth=4
	v_and_b32_e32 v1, 0x7fffffff, v0
	v_mov_b32_e32 v2, v33
	v_cmp_gt_u64_e32 vcc, s[78:79], v[1:2]
	v_and_b32_sdwa v7, v0, s97 dst_sel:DWORD dst_unused:UNUSED_PAD src0_sel:BYTE_3 src1_sel:DWORD
                                        ; implicit-def: $vgpr1
                                        ; kill: killed $vgpr1
	s_and_saveexec_b64 s[28:29], vcc
	s_xor_b64 s[34:35], exec, s[28:29]
	s_cbranch_execz .LBB6_6480
; %bb.6471:                             ;   in Loop: Header=BB6_5473 Depth=4
	v_mov_b32_e32 v1, 0
	v_cmp_ne_u32_e32 vcc, 0, v0
	buffer_store_dword v1, off, s[0:3], s33 offset:312 ; 4-byte Folded Spill
	s_and_saveexec_b64 s[36:37], vcc
	s_cbranch_execz .LBB6_6479
; %bb.6472:                             ;   in Loop: Header=BB6_5473 Depth=4
	v_bfe_u32 v13, v0, 23, 8
	v_cmp_gt_u32_e64 s[28:29], s47, v13
	v_sub_u32_e32 v0, 0x71, v13
	v_cmp_eq_u32_e32 vcc, 0, v13
	v_cndmask_b32_e64 v0, 0, v0, s[28:29]
	v_mov_b32_e32 v2, 0x70
	v_cndmask_b32_e32 v14, v0, v2, vcc
	v_add_u32_e32 v2, 21, v14
	v_or_b32_e32 v1, 0x800000, v32
	v_lshlrev_b64 v[15:16], v2, -1
	v_cndmask_b32_e32 v0, v1, v32, vcc
	v_mov_b32_e32 v1, v33
	v_add_u32_e32 v2, 20, v14
	v_bfi_b32 v15, v15, 0, v0
	v_lshlrev_b64 v[17:18], v2, 1
	v_lshrrev_b64 v[0:1], v14, v[0:1]
	v_bfi_b32 v16, v16, 0, 0
	v_cmp_eq_u64_e64 s[28:29], v[15:16], v[17:18]
	v_mov_b32_e32 v2, v1
	v_mov_b32_e32 v1, v0
	s_and_saveexec_b64 s[38:39], s[28:29]
; %bb.6473:                             ;   in Loop: Header=BB6_5473 Depth=4
	v_bfe_u32 v1, v0, 21, 1
	v_add_co_u32_e64 v1, s[28:29], v0, v1
	v_add_co_u32_e64 v1, s[28:29], -1, v1
; %bb.6474:                             ;   in Loop: Header=BB6_5473 Depth=4
	s_or_b64 exec, exec, s[38:39]
	v_add_u32_e32 v2, 0xffffff81, v13
	v_mov_b32_e32 v13, 0xffffff82
	v_cndmask_b32_e32 v2, v2, v13, vcc
	v_lshrrev_b32_e32 v13, 23, v0
	v_add3_u32 v14, v14, v2, v13
	v_add_u32_e32 v13, 14, v14
	v_and_b32_e32 v1, 0x1fffff, v1
	v_add_u32_e32 v32, v1, v0
	v_cmp_ne_u32_e32 vcc, 0, v13
                                        ; implicit-def: $vgpr0_vgpr1
                                        ; implicit-def: $vgpr2
	s_and_saveexec_b64 s[28:29], vcc
	s_xor_b64 s[28:29], exec, s[28:29]
; %bb.6475:                             ;   in Loop: Header=BB6_5473 Depth=4
	v_cmp_lt_u64_e32 vcc, s[88:89], v[32:33]
	v_add_u32_e32 v0, 15, v14
	v_cndmask_b32_e32 v2, v13, v0, vcc
	v_cndmask_b32_e64 v0, 0, 1, vcc
	v_lshrrev_b64 v[0:1], v0, v[32:33]
; %bb.6476:                             ;   in Loop: Header=BB6_5473 Depth=4
	s_andn2_saveexec_b64 s[28:29], s[28:29]
; %bb.6477:                             ;   in Loop: Header=BB6_5473 Depth=4
	v_mov_b32_e32 v0, v32
	v_mov_b32_e32 v1, v33
	v_bfe_u32 v2, v32, 23, 1
; %bb.6478:                             ;   in Loop: Header=BB6_5473 Depth=4
	s_or_b64 exec, exec, s[28:29]
	v_lshrrev_b64 v[0:1], 21, v[0:1]
	v_cmp_gt_i32_e32 vcc, 32, v2
	v_cndmask_b32_e32 v1, 0, v1, vcc
	v_cndmask_b32_e32 v0, 3, v0, vcc
	v_cmp_eq_u64_e64 s[28:29], 0, v[0:1]
	v_min_i32_e32 v1, 31, v2
	v_lshlrev_b32_e32 v1, 2, v1
	v_cmp_eq_u32_e32 vcc, 0, v2
	v_and_b32_e32 v1, 0xfc, v1
	v_and_or_b32 v0, v0, 3, v1
	s_and_b64 s[28:29], vcc, s[28:29]
	v_cndmask_b32_e64 v0, v0, 0, s[28:29]
	v_or_b32_e32 v0, v0, v7
	buffer_store_dword v0, off, s[0:3], s33 offset:312 ; 4-byte Folded Spill
.LBB6_6479:                             ;   in Loop: Header=BB6_5473 Depth=4
	s_or_b64 exec, exec, s[36:37]
                                        ; implicit-def: $vgpr7
.LBB6_6480:                             ;   in Loop: Header=BB6_5473 Depth=4
	s_andn2_saveexec_b64 s[28:29], s[34:35]
	s_cbranch_execz .LBB6_6482
; %bb.6481:                             ;   in Loop: Header=BB6_5473 Depth=4
	v_or_b32_e32 v0, 0x7b, v7
	buffer_store_dword v0, off, s[0:3], s33 offset:312 ; 4-byte Folded Spill
.LBB6_6482:                             ;   in Loop: Header=BB6_5473 Depth=4
	s_or_b64 exec, exec, s[28:29]
                                        ; implicit-def: $vgpr0
.LBB6_6483:                             ;   in Loop: Header=BB6_5473 Depth=4
	s_andn2_saveexec_b64 s[28:29], s[30:31]
	s_cbranch_execz .LBB6_6489
; %bb.6484:                             ;   in Loop: Header=BB6_5473 Depth=4
	v_cmp_ne_u64_e32 vcc, 0, v[32:33]
                                        ; implicit-def: $vgpr1
                                        ; kill: killed $vgpr1
	s_and_saveexec_b64 s[62:63], vcc
	s_xor_b64 vcc, exec, s[62:63]
	s_cbranch_execz .LBB6_6486
; %bb.6485:                             ;   in Loop: Header=BB6_5473 Depth=4
	v_or_b32_sdwa v0, v0, s44 dst_sel:DWORD dst_unused:UNUSED_PAD src0_sel:BYTE_3 src1_sel:DWORD
	buffer_store_dword v0, off, s[0:3], s33 offset:312 ; 4-byte Folded Spill
                                        ; implicit-def: $vgpr0
.LBB6_6486:                             ;   in Loop: Header=BB6_5473 Depth=4
	s_andn2_saveexec_b64 s[30:31], vcc
	s_cbranch_execz .LBB6_6488
; %bb.6487:                             ;   in Loop: Header=BB6_5473 Depth=4
	v_cmp_lt_i32_e32 vcc, -1, v0
	v_bfrev_b32_e32 v0, 0.5
	v_mov_b32_e32 v1, 0x7c
	v_cndmask_b32_e32 v0, v0, v1, vcc
	buffer_store_dword v0, off, s[0:3], s33 offset:312 ; 4-byte Folded Spill
.LBB6_6488:                             ;   in Loop: Header=BB6_5473 Depth=4
	s_or_b64 exec, exec, s[30:31]
.LBB6_6489:                             ;   in Loop: Header=BB6_5473 Depth=4
	s_or_b64 exec, exec, s[28:29]
	v_mov_b32_e32 v32, v9
	v_cmp_ne_u16_sdwa s[62:63], v9, v33 src0_sel:BYTE_0 src1_sel:DWORD
	v_mov_b32_e32 v0, 0
	s_and_saveexec_b64 s[28:29], s[62:63]
	s_cbranch_execz .LBB6_6497
; %bb.6490:                             ;   in Loop: Header=BB6_5473 Depth=4
	v_cmp_ne_u16_sdwa s[62:63], v9, s97 src0_sel:BYTE_0 src1_sel:DWORD
	v_bfrev_b32_e32 v0, 1
	s_and_saveexec_b64 s[30:31], s[62:63]
	s_cbranch_execz .LBB6_6496
; %bb.6491:                             ;   in Loop: Header=BB6_5473 Depth=4
	v_and_b32_e32 v0, 0x7c, v9
	v_and_b32_e32 v1, 3, v9
	v_cmp_ne_u32_e32 vcc, s86, v0
                                        ; implicit-def: $vgpr0
	s_and_saveexec_b64 s[62:63], vcc
	s_xor_b64 s[34:35], exec, s[62:63]
	s_cbranch_execz .LBB6_6493
; %bb.6492:                             ;   in Loop: Header=BB6_5473 Depth=4
	v_ffbh_u32_e32 v2, v1
	v_min_u32_e32 v2, 32, v2
	v_bfe_u32 v0, v9, 2, 5
	v_subrev_u32_e32 v7, 29, v2
	v_lshlrev_b64 v[13:14], v7, v[32:33]
	v_sub_u32_e32 v2, 30, v2
	v_cmp_eq_u32_e32 vcc, 0, v0
	v_cndmask_b32_e32 v0, v0, v2, vcc
	v_lshlrev_b32_e32 v2, 24, v9
	v_and_b32_e32 v7, 3, v13
	v_and_b32_e32 v2, 0x80000000, v2
	v_cndmask_b32_e32 v1, v1, v7, vcc
	v_lshl_add_u32 v0, v0, 23, v2
	v_lshl_or_b32 v0, v1, 21, v0
	v_add_u32_e32 v0, 0x38000000, v0
                                        ; implicit-def: $vgpr1
.LBB6_6493:                             ;   in Loop: Header=BB6_5473 Depth=4
	s_andn2_saveexec_b64 s[34:35], s[34:35]
; %bb.6494:                             ;   in Loop: Header=BB6_5473 Depth=4
	v_mov_b32_e32 v0, -1
	v_cmp_gt_i16_sdwa vcc, sext(v9), v0 src0_sel:BYTE_0 src1_sel:DWORD
	v_mov_b32_e32 v0, 0xff800000
	v_mov_b32_e32 v2, 0x7f800000
	v_cndmask_b32_e32 v0, v0, v2, vcc
	v_cmp_eq_u32_e32 vcc, 0, v1
	v_mov_b32_e32 v1, 0x7f800001
	v_cndmask_b32_e32 v0, v1, v0, vcc
; %bb.6495:                             ;   in Loop: Header=BB6_5473 Depth=4
	s_or_b64 exec, exec, s[34:35]
.LBB6_6496:                             ;   in Loop: Header=BB6_5473 Depth=4
	s_or_b64 exec, exec, s[30:31]
.LBB6_6497:                             ;   in Loop: Header=BB6_5473 Depth=4
	s_or_b64 exec, exec, s[28:29]
	v_mul_f32_e32 v2, v12, v0
	v_and_b32_e32 v13, 0x7f800000, v2
	v_mov_b32_e32 v14, v33
	v_cmp_ne_u64_e32 vcc, s[76:77], v[13:14]
	v_and_b32_e32 v0, 0x7fffff, v2
	v_mov_b32_e32 v1, v33
                                        ; implicit-def: $vgpr44
	s_and_saveexec_b64 s[28:29], vcc
	s_xor_b64 s[30:31], exec, s[28:29]
	s_cbranch_execz .LBB6_6511
; %bb.6498:                             ;   in Loop: Header=BB6_5473 Depth=4
	v_and_b32_e32 v13, 0x7fffffff, v2
	v_mov_b32_e32 v14, v33
	v_cmp_gt_u64_e32 vcc, s[78:79], v[13:14]
	v_and_b32_sdwa v7, v2, s97 dst_sel:DWORD dst_unused:UNUSED_PAD src0_sel:BYTE_3 src1_sel:DWORD
                                        ; implicit-def: $vgpr44
	s_and_saveexec_b64 s[28:29], vcc
	s_xor_b64 s[34:35], exec, s[28:29]
	s_cbranch_execz .LBB6_6508
; %bb.6499:                             ;   in Loop: Header=BB6_5473 Depth=4
	v_mov_b32_e32 v44, 0
	v_cmp_ne_u32_e32 vcc, 0, v2
	s_and_saveexec_b64 s[36:37], vcc
	s_cbranch_execz .LBB6_6507
; %bb.6500:                             ;   in Loop: Header=BB6_5473 Depth=4
	v_bfe_u32 v13, v2, 23, 8
	v_cmp_gt_u32_e64 s[28:29], s47, v13
	v_sub_u32_e32 v2, 0x71, v13
	v_cmp_eq_u32_e32 vcc, 0, v13
	v_cndmask_b32_e64 v2, 0, v2, s[28:29]
	v_mov_b32_e32 v14, 0x70
	v_cndmask_b32_e32 v14, v2, v14, vcc
	v_or_b32_e32 v15, 0x800000, v0
	v_add_u32_e32 v2, 21, v14
	v_cndmask_b32_e32 v0, v15, v0, vcc
	v_lshlrev_b64 v[15:16], v2, -1
	v_add_u32_e32 v2, 20, v14
	v_bfi_b32 v15, v15, 0, v0
	v_lshlrev_b64 v[17:18], v2, 1
	v_lshrrev_b64 v[0:1], v14, v[0:1]
	v_bfi_b32 v16, v16, 0, 0
	v_cmp_eq_u64_e64 s[28:29], v[15:16], v[17:18]
	v_mov_b32_e32 v2, v1
	v_mov_b32_e32 v1, v0
	s_and_saveexec_b64 s[38:39], s[28:29]
; %bb.6501:                             ;   in Loop: Header=BB6_5473 Depth=4
	v_bfe_u32 v1, v0, 21, 1
	v_add_co_u32_e64 v1, s[28:29], v0, v1
	v_add_co_u32_e64 v1, s[28:29], -1, v1
; %bb.6502:                             ;   in Loop: Header=BB6_5473 Depth=4
	s_or_b64 exec, exec, s[38:39]
	v_add_u32_e32 v2, 0xffffff81, v13
	v_mov_b32_e32 v13, 0xffffff82
	v_cndmask_b32_e32 v2, v2, v13, vcc
	v_lshrrev_b32_e32 v13, 23, v0
	v_add3_u32 v14, v14, v2, v13
	v_add_u32_e32 v13, 14, v14
	v_and_b32_e32 v1, 0x1fffff, v1
	v_add_u32_e32 v0, v1, v0
	v_mov_b32_e32 v1, v33
	v_cmp_ne_u32_e32 vcc, 0, v13
                                        ; implicit-def: $vgpr2
	s_and_saveexec_b64 s[28:29], vcc
	s_xor_b64 s[28:29], exec, s[28:29]
; %bb.6503:                             ;   in Loop: Header=BB6_5473 Depth=4
	v_cmp_lt_u64_e32 vcc, s[88:89], v[0:1]
	v_add_u32_e32 v2, 15, v14
	v_cndmask_b32_e32 v2, v13, v2, vcc
	v_cndmask_b32_e64 v13, 0, 1, vcc
	v_lshrrev_b64 v[0:1], v13, v[0:1]
; %bb.6504:                             ;   in Loop: Header=BB6_5473 Depth=4
	s_andn2_saveexec_b64 s[28:29], s[28:29]
; %bb.6505:                             ;   in Loop: Header=BB6_5473 Depth=4
	v_bfe_u32 v2, v0, 23, 1
; %bb.6506:                             ;   in Loop: Header=BB6_5473 Depth=4
	s_or_b64 exec, exec, s[28:29]
	v_lshrrev_b64 v[0:1], 21, v[0:1]
	v_cmp_gt_i32_e32 vcc, 32, v2
	v_cndmask_b32_e32 v1, 0, v1, vcc
	v_cndmask_b32_e32 v0, 3, v0, vcc
	v_cmp_eq_u64_e64 s[28:29], 0, v[0:1]
	v_min_i32_e32 v1, 31, v2
	v_lshlrev_b32_e32 v1, 2, v1
	v_cmp_eq_u32_e32 vcc, 0, v2
	v_and_b32_e32 v1, 0xfc, v1
	v_and_or_b32 v0, v0, 3, v1
	s_and_b64 s[28:29], vcc, s[28:29]
	v_cndmask_b32_e64 v0, v0, 0, s[28:29]
	v_or_b32_e32 v44, v0, v7
.LBB6_6507:                             ;   in Loop: Header=BB6_5473 Depth=4
	s_or_b64 exec, exec, s[36:37]
                                        ; implicit-def: $vgpr7
.LBB6_6508:                             ;   in Loop: Header=BB6_5473 Depth=4
	s_andn2_saveexec_b64 s[28:29], s[34:35]
; %bb.6509:                             ;   in Loop: Header=BB6_5473 Depth=4
	v_or_b32_e32 v44, 0x7b, v7
; %bb.6510:                             ;   in Loop: Header=BB6_5473 Depth=4
	s_or_b64 exec, exec, s[28:29]
                                        ; implicit-def: $vgpr2
                                        ; implicit-def: $vgpr0_vgpr1
.LBB6_6511:                             ;   in Loop: Header=BB6_5473 Depth=4
	s_andn2_saveexec_b64 s[28:29], s[30:31]
	s_cbranch_execz .LBB6_6517
; %bb.6512:                             ;   in Loop: Header=BB6_5473 Depth=4
	v_cmp_ne_u64_e32 vcc, 0, v[0:1]
                                        ; implicit-def: $vgpr44
	s_and_saveexec_b64 s[62:63], vcc
	s_xor_b64 vcc, exec, s[62:63]
; %bb.6513:                             ;   in Loop: Header=BB6_5473 Depth=4
	v_or_b32_sdwa v44, v2, s44 dst_sel:DWORD dst_unused:UNUSED_PAD src0_sel:BYTE_3 src1_sel:DWORD
                                        ; implicit-def: $vgpr2
; %bb.6514:                             ;   in Loop: Header=BB6_5473 Depth=4
	s_andn2_saveexec_b64 s[30:31], vcc
; %bb.6515:                             ;   in Loop: Header=BB6_5473 Depth=4
	v_cmp_lt_i32_e32 vcc, -1, v2
	v_bfrev_b32_e32 v0, 0.5
	v_mov_b32_e32 v1, 0x7c
	v_cndmask_b32_e32 v44, v0, v1, vcc
; %bb.6516:                             ;   in Loop: Header=BB6_5473 Depth=4
	s_or_b64 exec, exec, s[30:31]
.LBB6_6517:                             ;   in Loop: Header=BB6_5473 Depth=4
	s_or_b64 exec, exec, s[28:29]
	v_lshrrev_b16_e32 v0, 8, v32
	v_cmp_ne_u16_e32 vcc, 0, v0
	v_mov_b32_e32 v1, 0
	s_and_saveexec_b64 s[28:29], vcc
	s_cbranch_execz .LBB6_6525
; %bb.6518:                             ;   in Loop: Header=BB6_5473 Depth=4
	v_cmp_ne_u16_e32 vcc, s97, v0
	v_bfrev_b32_e32 v1, 1
	s_and_saveexec_b64 s[30:31], vcc
	s_cbranch_execz .LBB6_6524
; %bb.6519:                             ;   in Loop: Header=BB6_5473 Depth=4
	v_and_b32_e32 v1, 0x7c, v0
	v_and_b32_e32 v2, 3, v0
	v_cmp_ne_u32_e32 vcc, s86, v1
                                        ; implicit-def: $vgpr1
	s_and_saveexec_b64 s[62:63], vcc
	s_xor_b64 s[34:35], exec, s[62:63]
	s_cbranch_execz .LBB6_6521
; %bb.6520:                             ;   in Loop: Header=BB6_5473 Depth=4
	v_ffbh_u32_e32 v13, v2
	v_min_u32_e32 v13, 32, v13
	v_mov_b32_e32 v1, v33
	v_subrev_u32_e32 v14, 29, v13
	v_bfe_u32 v7, v0, 2, 5
	v_lshlrev_b64 v[0:1], v14, v[0:1]
	v_cmp_eq_u32_e32 vcc, 0, v7
	v_and_b32_e32 v0, 3, v0
	v_sub_u32_e32 v1, 30, v13
	v_cndmask_b32_e32 v0, v2, v0, vcc
	v_lshlrev_b32_e32 v2, 16, v32
	v_cndmask_b32_e32 v1, v7, v1, vcc
	v_and_b32_e32 v2, 0x80000000, v2
	v_lshl_add_u32 v1, v1, 23, v2
	v_lshl_or_b32 v0, v0, 21, v1
	v_add_u32_e32 v1, 0x38000000, v0
                                        ; implicit-def: $vgpr2
.LBB6_6521:                             ;   in Loop: Header=BB6_5473 Depth=4
	s_andn2_saveexec_b64 s[34:35], s[34:35]
; %bb.6522:                             ;   in Loop: Header=BB6_5473 Depth=4
	v_cmp_lt_i16_e32 vcc, -1, v32
	v_mov_b32_e32 v0, 0xff800000
	v_mov_b32_e32 v1, 0x7f800000
	v_cndmask_b32_e32 v0, v0, v1, vcc
	v_cmp_eq_u32_e32 vcc, 0, v2
	v_mov_b32_e32 v1, 0x7f800001
	v_cndmask_b32_e32 v1, v1, v0, vcc
; %bb.6523:                             ;   in Loop: Header=BB6_5473 Depth=4
	s_or_b64 exec, exec, s[34:35]
.LBB6_6524:                             ;   in Loop: Header=BB6_5473 Depth=4
	s_or_b64 exec, exec, s[30:31]
.LBB6_6525:                             ;   in Loop: Header=BB6_5473 Depth=4
	s_or_b64 exec, exec, s[28:29]
	v_mul_f32_e32 v0, v12, v1
	v_and_b32_e32 v1, 0x7f800000, v0
	v_mov_b32_e32 v2, v33
	v_cmp_ne_u64_e32 vcc, s[76:77], v[1:2]
	v_and_b32_e32 v32, 0x7fffff, v0
                                        ; implicit-def: $vgpr56
	s_and_saveexec_b64 s[28:29], vcc
	s_xor_b64 s[30:31], exec, s[28:29]
	s_cbranch_execz .LBB6_6539
; %bb.6526:                             ;   in Loop: Header=BB6_5473 Depth=4
	v_and_b32_e32 v1, 0x7fffffff, v0
	v_mov_b32_e32 v2, v33
	v_cmp_gt_u64_e32 vcc, s[78:79], v[1:2]
	v_and_b32_sdwa v7, v0, s97 dst_sel:DWORD dst_unused:UNUSED_PAD src0_sel:BYTE_3 src1_sel:DWORD
                                        ; implicit-def: $vgpr56
	s_and_saveexec_b64 s[28:29], vcc
	s_xor_b64 s[34:35], exec, s[28:29]
	s_cbranch_execz .LBB6_6536
; %bb.6527:                             ;   in Loop: Header=BB6_5473 Depth=4
	v_mov_b32_e32 v56, 0
	v_cmp_ne_u32_e32 vcc, 0, v0
	s_and_saveexec_b64 s[36:37], vcc
	s_cbranch_execz .LBB6_6535
; %bb.6528:                             ;   in Loop: Header=BB6_5473 Depth=4
	v_bfe_u32 v13, v0, 23, 8
	v_cmp_gt_u32_e64 s[28:29], s47, v13
	v_sub_u32_e32 v0, 0x71, v13
	v_cmp_eq_u32_e32 vcc, 0, v13
	v_cndmask_b32_e64 v0, 0, v0, s[28:29]
	v_mov_b32_e32 v2, 0x70
	v_cndmask_b32_e32 v14, v0, v2, vcc
	v_add_u32_e32 v2, 21, v14
	v_or_b32_e32 v1, 0x800000, v32
	v_lshlrev_b64 v[15:16], v2, -1
	v_cndmask_b32_e32 v0, v1, v32, vcc
	v_mov_b32_e32 v1, v33
	v_add_u32_e32 v2, 20, v14
	v_bfi_b32 v15, v15, 0, v0
	v_lshlrev_b64 v[17:18], v2, 1
	v_lshrrev_b64 v[0:1], v14, v[0:1]
	v_bfi_b32 v16, v16, 0, 0
	v_cmp_eq_u64_e64 s[28:29], v[15:16], v[17:18]
	v_mov_b32_e32 v2, v1
	v_mov_b32_e32 v1, v0
	s_and_saveexec_b64 s[38:39], s[28:29]
; %bb.6529:                             ;   in Loop: Header=BB6_5473 Depth=4
	v_bfe_u32 v1, v0, 21, 1
	v_add_co_u32_e64 v1, s[28:29], v0, v1
	v_add_co_u32_e64 v1, s[28:29], -1, v1
; %bb.6530:                             ;   in Loop: Header=BB6_5473 Depth=4
	s_or_b64 exec, exec, s[38:39]
	v_add_u32_e32 v2, 0xffffff81, v13
	v_mov_b32_e32 v13, 0xffffff82
	v_cndmask_b32_e32 v2, v2, v13, vcc
	v_lshrrev_b32_e32 v13, 23, v0
	v_add3_u32 v14, v14, v2, v13
	v_add_u32_e32 v13, 14, v14
	v_and_b32_e32 v1, 0x1fffff, v1
	v_add_u32_e32 v32, v1, v0
	v_cmp_ne_u32_e32 vcc, 0, v13
                                        ; implicit-def: $vgpr0_vgpr1
                                        ; implicit-def: $vgpr2
	s_and_saveexec_b64 s[28:29], vcc
	s_xor_b64 s[28:29], exec, s[28:29]
; %bb.6531:                             ;   in Loop: Header=BB6_5473 Depth=4
	v_cmp_lt_u64_e32 vcc, s[88:89], v[32:33]
	v_add_u32_e32 v0, 15, v14
	v_cndmask_b32_e32 v2, v13, v0, vcc
	v_cndmask_b32_e64 v0, 0, 1, vcc
	v_lshrrev_b64 v[0:1], v0, v[32:33]
; %bb.6532:                             ;   in Loop: Header=BB6_5473 Depth=4
	s_andn2_saveexec_b64 s[28:29], s[28:29]
; %bb.6533:                             ;   in Loop: Header=BB6_5473 Depth=4
	v_mov_b32_e32 v0, v32
	v_mov_b32_e32 v1, v33
	v_bfe_u32 v2, v32, 23, 1
; %bb.6534:                             ;   in Loop: Header=BB6_5473 Depth=4
	s_or_b64 exec, exec, s[28:29]
	v_lshrrev_b64 v[0:1], 21, v[0:1]
	v_cmp_gt_i32_e32 vcc, 32, v2
	v_cndmask_b32_e32 v1, 0, v1, vcc
	v_cndmask_b32_e32 v0, 3, v0, vcc
	v_cmp_eq_u64_e64 s[28:29], 0, v[0:1]
	v_min_i32_e32 v1, 31, v2
	v_lshlrev_b32_e32 v1, 2, v1
	v_cmp_eq_u32_e32 vcc, 0, v2
	v_and_b32_e32 v1, 0xfc, v1
	v_and_or_b32 v0, v0, 3, v1
	s_and_b64 s[28:29], vcc, s[28:29]
	v_cndmask_b32_e64 v0, v0, 0, s[28:29]
	v_or_b32_e32 v56, v0, v7
.LBB6_6535:                             ;   in Loop: Header=BB6_5473 Depth=4
	s_or_b64 exec, exec, s[36:37]
                                        ; implicit-def: $vgpr7
.LBB6_6536:                             ;   in Loop: Header=BB6_5473 Depth=4
	s_andn2_saveexec_b64 s[28:29], s[34:35]
; %bb.6537:                             ;   in Loop: Header=BB6_5473 Depth=4
	v_or_b32_e32 v56, 0x7b, v7
; %bb.6538:                             ;   in Loop: Header=BB6_5473 Depth=4
	s_or_b64 exec, exec, s[28:29]
                                        ; implicit-def: $vgpr0
.LBB6_6539:                             ;   in Loop: Header=BB6_5473 Depth=4
	s_andn2_saveexec_b64 s[28:29], s[30:31]
	s_cbranch_execz .LBB6_6545
; %bb.6540:                             ;   in Loop: Header=BB6_5473 Depth=4
	v_cmp_ne_u64_e32 vcc, 0, v[32:33]
                                        ; implicit-def: $vgpr56
	s_and_saveexec_b64 s[62:63], vcc
	s_xor_b64 vcc, exec, s[62:63]
; %bb.6541:                             ;   in Loop: Header=BB6_5473 Depth=4
	v_or_b32_sdwa v56, v0, s44 dst_sel:DWORD dst_unused:UNUSED_PAD src0_sel:BYTE_3 src1_sel:DWORD
                                        ; implicit-def: $vgpr0
; %bb.6542:                             ;   in Loop: Header=BB6_5473 Depth=4
	s_andn2_saveexec_b64 s[30:31], vcc
; %bb.6543:                             ;   in Loop: Header=BB6_5473 Depth=4
	v_cmp_lt_i32_e32 vcc, -1, v0
	v_bfrev_b32_e32 v0, 0.5
	v_mov_b32_e32 v1, 0x7c
	v_cndmask_b32_e32 v56, v0, v1, vcc
; %bb.6544:                             ;   in Loop: Header=BB6_5473 Depth=4
	s_or_b64 exec, exec, s[30:31]
.LBB6_6545:                             ;   in Loop: Header=BB6_5473 Depth=4
	s_or_b64 exec, exec, s[28:29]
	v_lshrrev_b32_e32 v0, 16, v9
	v_cmp_ne_u16_sdwa s[62:63], v0, v33 src0_sel:BYTE_0 src1_sel:DWORD
	v_mov_b32_e32 v1, 0
	s_and_saveexec_b64 s[28:29], s[62:63]
	s_cbranch_execz .LBB6_6553
; %bb.6546:                             ;   in Loop: Header=BB6_5473 Depth=4
	v_cmp_ne_u16_sdwa s[62:63], v0, s97 src0_sel:BYTE_0 src1_sel:DWORD
	v_bfrev_b32_e32 v1, 1
	s_and_saveexec_b64 s[30:31], s[62:63]
	s_cbranch_execz .LBB6_6552
; %bb.6547:                             ;   in Loop: Header=BB6_5473 Depth=4
	v_and_b32_e32 v1, 0x7c0000, v9
	v_bfe_u32 v2, v9, 16, 2
	v_cmp_ne_u32_e32 vcc, s45, v1
                                        ; implicit-def: $vgpr1
	s_and_saveexec_b64 s[62:63], vcc
	s_xor_b64 s[34:35], exec, s[62:63]
	s_cbranch_execz .LBB6_6549
; %bb.6548:                             ;   in Loop: Header=BB6_5473 Depth=4
	v_ffbh_u32_e32 v1, v2
	v_min_u32_e32 v13, 32, v1
	v_subrev_u32_e32 v1, 29, v13
	v_lshlrev_b64 v[0:1], v1, v[0:1]
	v_bfe_u32 v7, v9, 18, 5
	v_and_b32_e32 v0, 3, v0
	v_cmp_eq_u32_e32 vcc, 0, v7
	v_sub_u32_e32 v1, 30, v13
	v_cndmask_b32_e32 v0, v2, v0, vcc
	v_lshlrev_b32_e32 v2, 8, v9
	v_cndmask_b32_e32 v1, v7, v1, vcc
	v_and_b32_e32 v2, 0x80000000, v2
	v_lshl_add_u32 v1, v1, 23, v2
	v_lshl_or_b32 v0, v0, 21, v1
	v_add_u32_e32 v1, 0x38000000, v0
                                        ; implicit-def: $vgpr2
                                        ; implicit-def: $vgpr0
.LBB6_6549:                             ;   in Loop: Header=BB6_5473 Depth=4
	s_andn2_saveexec_b64 s[34:35], s[34:35]
; %bb.6550:                             ;   in Loop: Header=BB6_5473 Depth=4
	v_mov_b32_e32 v1, -1
	v_cmp_gt_i16_sdwa vcc, sext(v0), v1 src0_sel:BYTE_0 src1_sel:DWORD
	v_mov_b32_e32 v0, 0xff800000
	v_mov_b32_e32 v1, 0x7f800000
	v_cndmask_b32_e32 v0, v0, v1, vcc
	v_cmp_eq_u32_e32 vcc, 0, v2
	v_mov_b32_e32 v1, 0x7f800001
	v_cndmask_b32_e32 v1, v1, v0, vcc
; %bb.6551:                             ;   in Loop: Header=BB6_5473 Depth=4
	s_or_b64 exec, exec, s[34:35]
.LBB6_6552:                             ;   in Loop: Header=BB6_5473 Depth=4
	s_or_b64 exec, exec, s[30:31]
.LBB6_6553:                             ;   in Loop: Header=BB6_5473 Depth=4
	s_or_b64 exec, exec, s[28:29]
	v_mul_f32_e32 v0, v12, v1
	v_and_b32_e32 v1, 0x7f800000, v0
	v_mov_b32_e32 v2, v33
	v_cmp_ne_u64_e32 vcc, s[76:77], v[1:2]
	v_and_b32_e32 v32, 0x7fffff, v0
                                        ; implicit-def: $vgpr58
	s_and_saveexec_b64 s[28:29], vcc
	s_xor_b64 s[30:31], exec, s[28:29]
	s_cbranch_execz .LBB6_6567
; %bb.6554:                             ;   in Loop: Header=BB6_5473 Depth=4
	v_and_b32_e32 v1, 0x7fffffff, v0
	v_mov_b32_e32 v2, v33
	v_cmp_gt_u64_e32 vcc, s[78:79], v[1:2]
	v_and_b32_sdwa v7, v0, s97 dst_sel:DWORD dst_unused:UNUSED_PAD src0_sel:BYTE_3 src1_sel:DWORD
                                        ; implicit-def: $vgpr58
	s_and_saveexec_b64 s[28:29], vcc
	s_xor_b64 s[34:35], exec, s[28:29]
	s_cbranch_execz .LBB6_6564
; %bb.6555:                             ;   in Loop: Header=BB6_5473 Depth=4
	v_mov_b32_e32 v58, 0
	v_cmp_ne_u32_e32 vcc, 0, v0
	s_and_saveexec_b64 s[36:37], vcc
	s_cbranch_execz .LBB6_6563
; %bb.6556:                             ;   in Loop: Header=BB6_5473 Depth=4
	v_bfe_u32 v13, v0, 23, 8
	v_cmp_gt_u32_e64 s[28:29], s47, v13
	v_sub_u32_e32 v0, 0x71, v13
	v_cmp_eq_u32_e32 vcc, 0, v13
	v_cndmask_b32_e64 v0, 0, v0, s[28:29]
	v_mov_b32_e32 v2, 0x70
	v_cndmask_b32_e32 v14, v0, v2, vcc
	v_add_u32_e32 v2, 21, v14
	v_or_b32_e32 v1, 0x800000, v32
	v_lshlrev_b64 v[15:16], v2, -1
	v_cndmask_b32_e32 v0, v1, v32, vcc
	v_mov_b32_e32 v1, v33
	v_add_u32_e32 v2, 20, v14
	v_bfi_b32 v15, v15, 0, v0
	v_lshlrev_b64 v[17:18], v2, 1
	v_lshrrev_b64 v[0:1], v14, v[0:1]
	v_bfi_b32 v16, v16, 0, 0
	v_cmp_eq_u64_e64 s[28:29], v[15:16], v[17:18]
	v_mov_b32_e32 v2, v1
	v_mov_b32_e32 v1, v0
	s_and_saveexec_b64 s[38:39], s[28:29]
; %bb.6557:                             ;   in Loop: Header=BB6_5473 Depth=4
	v_bfe_u32 v1, v0, 21, 1
	v_add_co_u32_e64 v1, s[28:29], v0, v1
	v_add_co_u32_e64 v1, s[28:29], -1, v1
; %bb.6558:                             ;   in Loop: Header=BB6_5473 Depth=4
	s_or_b64 exec, exec, s[38:39]
	v_add_u32_e32 v2, 0xffffff81, v13
	v_mov_b32_e32 v13, 0xffffff82
	v_cndmask_b32_e32 v2, v2, v13, vcc
	v_lshrrev_b32_e32 v13, 23, v0
	v_add3_u32 v14, v14, v2, v13
	v_add_u32_e32 v13, 14, v14
	v_and_b32_e32 v1, 0x1fffff, v1
	v_add_u32_e32 v32, v1, v0
	v_cmp_ne_u32_e32 vcc, 0, v13
                                        ; implicit-def: $vgpr0_vgpr1
                                        ; implicit-def: $vgpr2
	s_and_saveexec_b64 s[28:29], vcc
	s_xor_b64 s[28:29], exec, s[28:29]
; %bb.6559:                             ;   in Loop: Header=BB6_5473 Depth=4
	v_cmp_lt_u64_e32 vcc, s[88:89], v[32:33]
	v_add_u32_e32 v0, 15, v14
	v_cndmask_b32_e32 v2, v13, v0, vcc
	v_cndmask_b32_e64 v0, 0, 1, vcc
	v_lshrrev_b64 v[0:1], v0, v[32:33]
; %bb.6560:                             ;   in Loop: Header=BB6_5473 Depth=4
	s_andn2_saveexec_b64 s[28:29], s[28:29]
; %bb.6561:                             ;   in Loop: Header=BB6_5473 Depth=4
	v_mov_b32_e32 v0, v32
	v_mov_b32_e32 v1, v33
	v_bfe_u32 v2, v32, 23, 1
; %bb.6562:                             ;   in Loop: Header=BB6_5473 Depth=4
	s_or_b64 exec, exec, s[28:29]
	v_lshrrev_b64 v[0:1], 21, v[0:1]
	v_cmp_gt_i32_e32 vcc, 32, v2
	v_cndmask_b32_e32 v1, 0, v1, vcc
	v_cndmask_b32_e32 v0, 3, v0, vcc
	v_cmp_eq_u64_e64 s[28:29], 0, v[0:1]
	v_min_i32_e32 v1, 31, v2
	v_lshlrev_b32_e32 v1, 2, v1
	v_cmp_eq_u32_e32 vcc, 0, v2
	v_and_b32_e32 v1, 0xfc, v1
	v_and_or_b32 v0, v0, 3, v1
	s_and_b64 s[28:29], vcc, s[28:29]
	v_cndmask_b32_e64 v0, v0, 0, s[28:29]
	v_or_b32_e32 v58, v0, v7
.LBB6_6563:                             ;   in Loop: Header=BB6_5473 Depth=4
	s_or_b64 exec, exec, s[36:37]
                                        ; implicit-def: $vgpr7
.LBB6_6564:                             ;   in Loop: Header=BB6_5473 Depth=4
	s_andn2_saveexec_b64 s[28:29], s[34:35]
; %bb.6565:                             ;   in Loop: Header=BB6_5473 Depth=4
	v_or_b32_e32 v58, 0x7b, v7
; %bb.6566:                             ;   in Loop: Header=BB6_5473 Depth=4
	s_or_b64 exec, exec, s[28:29]
                                        ; implicit-def: $vgpr0
.LBB6_6567:                             ;   in Loop: Header=BB6_5473 Depth=4
	s_andn2_saveexec_b64 s[28:29], s[30:31]
	s_cbranch_execz .LBB6_6573
; %bb.6568:                             ;   in Loop: Header=BB6_5473 Depth=4
	v_cmp_ne_u64_e32 vcc, 0, v[32:33]
                                        ; implicit-def: $vgpr58
	s_and_saveexec_b64 s[62:63], vcc
	s_xor_b64 vcc, exec, s[62:63]
; %bb.6569:                             ;   in Loop: Header=BB6_5473 Depth=4
	v_or_b32_sdwa v58, v0, s44 dst_sel:DWORD dst_unused:UNUSED_PAD src0_sel:BYTE_3 src1_sel:DWORD
                                        ; implicit-def: $vgpr0
; %bb.6570:                             ;   in Loop: Header=BB6_5473 Depth=4
	s_andn2_saveexec_b64 s[30:31], vcc
; %bb.6571:                             ;   in Loop: Header=BB6_5473 Depth=4
	v_cmp_lt_i32_e32 vcc, -1, v0
	v_bfrev_b32_e32 v0, 0.5
	v_mov_b32_e32 v1, 0x7c
	v_cndmask_b32_e32 v58, v0, v1, vcc
; %bb.6572:                             ;   in Loop: Header=BB6_5473 Depth=4
	s_or_b64 exec, exec, s[30:31]
.LBB6_6573:                             ;   in Loop: Header=BB6_5473 Depth=4
	s_or_b64 exec, exec, s[28:29]
	v_cmp_lt_u64_e32 vcc, s[56:57], v[8:9]
	v_mov_b32_e32 v1, 0
	s_and_saveexec_b64 s[28:29], vcc
	s_cbranch_execz .LBB6_6581
; %bb.6574:                             ;   in Loop: Header=BB6_5473 Depth=4
	v_lshrrev_b32_e32 v0, 24, v9
	v_cmp_ne_u32_e32 vcc, s97, v0
	v_bfrev_b32_e32 v1, 1
	s_and_saveexec_b64 s[30:31], vcc
	s_cbranch_execz .LBB6_6580
; %bb.6575:                             ;   in Loop: Header=BB6_5473 Depth=4
	v_and_b32_e32 v1, 0x7c000000, v9
	v_bfe_u32 v2, v9, 24, 2
	v_cmp_ne_u32_e32 vcc, s68, v1
                                        ; implicit-def: $vgpr1
	s_and_saveexec_b64 s[62:63], vcc
	s_xor_b64 s[34:35], exec, s[62:63]
	s_cbranch_execz .LBB6_6577
; %bb.6576:                             ;   in Loop: Header=BB6_5473 Depth=4
	v_ffbh_u32_e32 v1, v2
	v_min_u32_e32 v13, 32, v1
	v_subrev_u32_e32 v1, 29, v13
	v_lshlrev_b64 v[0:1], v1, v[0:1]
	v_bfe_u32 v7, v9, 26, 5
	v_sub_u32_e32 v1, 30, v13
	v_and_b32_e32 v0, 3, v0
	v_cmp_eq_u32_e32 vcc, 0, v7
	v_cndmask_b32_e32 v1, v7, v1, vcc
	v_cndmask_b32_e32 v0, v2, v0, vcc
	v_and_b32_e32 v2, 0x80000000, v9
	v_lshl_add_u32 v1, v1, 23, v2
	v_lshl_or_b32 v0, v0, 21, v1
	v_add_u32_e32 v1, 0x38000000, v0
                                        ; implicit-def: $vgpr2
.LBB6_6577:                             ;   in Loop: Header=BB6_5473 Depth=4
	s_andn2_saveexec_b64 s[34:35], s[34:35]
; %bb.6578:                             ;   in Loop: Header=BB6_5473 Depth=4
	v_cmp_lt_i64_e32 vcc, -1, v[8:9]
	v_mov_b32_e32 v0, 0xff800000
	v_mov_b32_e32 v1, 0x7f800000
	v_cndmask_b32_e32 v0, v0, v1, vcc
	v_cmp_eq_u32_e32 vcc, 0, v2
	v_mov_b32_e32 v1, 0x7f800001
	v_cndmask_b32_e32 v1, v1, v0, vcc
; %bb.6579:                             ;   in Loop: Header=BB6_5473 Depth=4
	s_or_b64 exec, exec, s[34:35]
.LBB6_6580:                             ;   in Loop: Header=BB6_5473 Depth=4
	s_or_b64 exec, exec, s[30:31]
.LBB6_6581:                             ;   in Loop: Header=BB6_5473 Depth=4
	s_or_b64 exec, exec, s[28:29]
	v_mul_f32_e32 v0, v12, v1
	v_and_b32_e32 v1, 0x7f800000, v0
	v_mov_b32_e32 v2, v33
	v_cmp_ne_u64_e32 vcc, s[76:77], v[1:2]
	v_and_b32_e32 v32, 0x7fffff, v0
                                        ; implicit-def: $vgpr1
                                        ; kill: killed $vgpr1
	s_and_saveexec_b64 s[28:29], vcc
	s_xor_b64 s[30:31], exec, s[28:29]
	s_cbranch_execz .LBB6_6595
; %bb.6582:                             ;   in Loop: Header=BB6_5473 Depth=4
	v_and_b32_e32 v1, 0x7fffffff, v0
	v_mov_b32_e32 v2, v33
	v_cmp_gt_u64_e32 vcc, s[78:79], v[1:2]
	v_and_b32_sdwa v7, v0, s97 dst_sel:DWORD dst_unused:UNUSED_PAD src0_sel:BYTE_3 src1_sel:DWORD
                                        ; implicit-def: $vgpr1
                                        ; kill: killed $vgpr1
	s_and_saveexec_b64 s[28:29], vcc
	s_xor_b64 s[34:35], exec, s[28:29]
	s_cbranch_execz .LBB6_6592
; %bb.6583:                             ;   in Loop: Header=BB6_5473 Depth=4
	v_mov_b32_e32 v1, 0
	v_cmp_ne_u32_e32 vcc, 0, v0
	buffer_store_dword v1, off, s[0:3], s33 offset:300 ; 4-byte Folded Spill
	s_and_saveexec_b64 s[36:37], vcc
	s_cbranch_execz .LBB6_6591
; %bb.6584:                             ;   in Loop: Header=BB6_5473 Depth=4
	v_bfe_u32 v8, v0, 23, 8
	v_cmp_gt_u32_e64 s[28:29], s47, v8
	v_sub_u32_e32 v0, 0x71, v8
	v_cmp_eq_u32_e32 vcc, 0, v8
	v_cndmask_b32_e64 v0, 0, v0, s[28:29]
	v_mov_b32_e32 v2, 0x70
	v_cndmask_b32_e32 v9, v0, v2, vcc
	v_add_u32_e32 v2, 21, v9
	v_or_b32_e32 v1, 0x800000, v32
	v_lshlrev_b64 v[13:14], v2, -1
	v_cndmask_b32_e32 v0, v1, v32, vcc
	v_mov_b32_e32 v1, v33
	v_add_u32_e32 v2, 20, v9
	v_bfi_b32 v13, v13, 0, v0
	v_lshlrev_b64 v[15:16], v2, 1
	v_lshrrev_b64 v[0:1], v9, v[0:1]
	v_bfi_b32 v14, v14, 0, 0
	v_cmp_eq_u64_e64 s[28:29], v[13:14], v[15:16]
	v_mov_b32_e32 v2, v1
	v_mov_b32_e32 v1, v0
	s_and_saveexec_b64 s[38:39], s[28:29]
; %bb.6585:                             ;   in Loop: Header=BB6_5473 Depth=4
	v_bfe_u32 v1, v0, 21, 1
	v_add_co_u32_e64 v1, s[28:29], v0, v1
	v_add_co_u32_e64 v1, s[28:29], -1, v1
; %bb.6586:                             ;   in Loop: Header=BB6_5473 Depth=4
	s_or_b64 exec, exec, s[38:39]
	v_add_u32_e32 v2, 0xffffff81, v8
	v_mov_b32_e32 v8, 0xffffff82
	v_cndmask_b32_e32 v2, v2, v8, vcc
	v_lshrrev_b32_e32 v8, 23, v0
	v_add3_u32 v9, v9, v2, v8
	v_add_u32_e32 v8, 14, v9
	v_and_b32_e32 v1, 0x1fffff, v1
	v_add_u32_e32 v32, v1, v0
	v_cmp_ne_u32_e32 vcc, 0, v8
                                        ; implicit-def: $vgpr0_vgpr1
                                        ; implicit-def: $vgpr2
	s_and_saveexec_b64 s[28:29], vcc
	s_xor_b64 s[28:29], exec, s[28:29]
; %bb.6587:                             ;   in Loop: Header=BB6_5473 Depth=4
	v_cmp_lt_u64_e32 vcc, s[88:89], v[32:33]
	v_add_u32_e32 v0, 15, v9
	v_cndmask_b32_e32 v2, v8, v0, vcc
	v_cndmask_b32_e64 v0, 0, 1, vcc
	v_lshrrev_b64 v[0:1], v0, v[32:33]
; %bb.6588:                             ;   in Loop: Header=BB6_5473 Depth=4
	s_andn2_saveexec_b64 s[28:29], s[28:29]
; %bb.6589:                             ;   in Loop: Header=BB6_5473 Depth=4
	v_mov_b32_e32 v0, v32
	v_mov_b32_e32 v1, v33
	v_bfe_u32 v2, v32, 23, 1
; %bb.6590:                             ;   in Loop: Header=BB6_5473 Depth=4
	s_or_b64 exec, exec, s[28:29]
	v_lshrrev_b64 v[0:1], 21, v[0:1]
	v_cmp_gt_i32_e32 vcc, 32, v2
	v_cndmask_b32_e32 v1, 0, v1, vcc
	v_cndmask_b32_e32 v0, 3, v0, vcc
	v_cmp_eq_u64_e64 s[28:29], 0, v[0:1]
	v_min_i32_e32 v1, 31, v2
	v_lshlrev_b32_e32 v1, 2, v1
	v_cmp_eq_u32_e32 vcc, 0, v2
	v_and_b32_e32 v1, 0xfc, v1
	v_and_or_b32 v0, v0, 3, v1
	s_and_b64 s[28:29], vcc, s[28:29]
	v_cndmask_b32_e64 v0, v0, 0, s[28:29]
	v_or_b32_e32 v0, v0, v7
	buffer_store_dword v0, off, s[0:3], s33 offset:300 ; 4-byte Folded Spill
.LBB6_6591:                             ;   in Loop: Header=BB6_5473 Depth=4
	s_or_b64 exec, exec, s[36:37]
                                        ; implicit-def: $vgpr7
.LBB6_6592:                             ;   in Loop: Header=BB6_5473 Depth=4
	s_andn2_saveexec_b64 s[28:29], s[34:35]
	s_cbranch_execz .LBB6_6594
; %bb.6593:                             ;   in Loop: Header=BB6_5473 Depth=4
	v_or_b32_e32 v0, 0x7b, v7
	buffer_store_dword v0, off, s[0:3], s33 offset:300 ; 4-byte Folded Spill
.LBB6_6594:                             ;   in Loop: Header=BB6_5473 Depth=4
	s_or_b64 exec, exec, s[28:29]
                                        ; implicit-def: $vgpr0
.LBB6_6595:                             ;   in Loop: Header=BB6_5473 Depth=4
	s_andn2_saveexec_b64 s[28:29], s[30:31]
	s_cbranch_execz .LBB6_6601
; %bb.6596:                             ;   in Loop: Header=BB6_5473 Depth=4
	v_cmp_ne_u64_e32 vcc, 0, v[32:33]
                                        ; implicit-def: $vgpr1
                                        ; kill: killed $vgpr1
	s_and_saveexec_b64 s[62:63], vcc
	s_xor_b64 vcc, exec, s[62:63]
	s_cbranch_execz .LBB6_6598
; %bb.6597:                             ;   in Loop: Header=BB6_5473 Depth=4
	v_or_b32_sdwa v0, v0, s44 dst_sel:DWORD dst_unused:UNUSED_PAD src0_sel:BYTE_3 src1_sel:DWORD
	buffer_store_dword v0, off, s[0:3], s33 offset:300 ; 4-byte Folded Spill
                                        ; implicit-def: $vgpr0
.LBB6_6598:                             ;   in Loop: Header=BB6_5473 Depth=4
	s_andn2_saveexec_b64 s[30:31], vcc
	s_cbranch_execz .LBB6_6600
; %bb.6599:                             ;   in Loop: Header=BB6_5473 Depth=4
	v_cmp_lt_i32_e32 vcc, -1, v0
	v_bfrev_b32_e32 v0, 0.5
	v_mov_b32_e32 v1, 0x7c
	v_cndmask_b32_e32 v0, v0, v1, vcc
	buffer_store_dword v0, off, s[0:3], s33 offset:300 ; 4-byte Folded Spill
.LBB6_6600:                             ;   in Loop: Header=BB6_5473 Depth=4
	s_or_b64 exec, exec, s[30:31]
.LBB6_6601:                             ;   in Loop: Header=BB6_5473 Depth=4
	s_or_b64 exec, exec, s[28:29]
	v_cmp_ne_u16_sdwa s[62:63], v10, v33 src0_sel:BYTE_0 src1_sel:DWORD
	v_mov_b32_e32 v0, 0
	s_and_saveexec_b64 s[28:29], s[62:63]
	s_cbranch_execz .LBB6_6609
; %bb.6602:                             ;   in Loop: Header=BB6_5473 Depth=4
	v_cmp_ne_u16_sdwa s[62:63], sext(v10), s46 src0_sel:BYTE_0 src1_sel:DWORD
	v_bfrev_b32_e32 v0, 1
	s_and_saveexec_b64 s[30:31], s[62:63]
	s_cbranch_execz .LBB6_6608
; %bb.6603:                             ;   in Loop: Header=BB6_5473 Depth=4
	v_and_b32_e32 v0, 0x7c, v10
	v_and_b32_e32 v1, 3, v10
	v_cmp_ne_u32_e32 vcc, s86, v0
                                        ; implicit-def: $vgpr0
	s_and_saveexec_b64 s[62:63], vcc
	s_xor_b64 s[34:35], exec, s[62:63]
	s_cbranch_execz .LBB6_6605
; %bb.6604:                             ;   in Loop: Header=BB6_5473 Depth=4
	v_ffbh_u32_e32 v2, v1
	v_min_u32_e32 v2, 32, v2
	v_bfe_u32 v0, v10, 2, 5
	v_subrev_u32_e32 v7, 29, v2
	v_lshlrev_b64 v[7:8], v7, v[10:11]
	v_sub_u32_e32 v2, 30, v2
	v_cmp_eq_u32_e32 vcc, 0, v0
	v_cndmask_b32_e32 v0, v0, v2, vcc
	v_lshlrev_b32_e32 v2, 24, v10
	v_and_b32_e32 v7, 3, v7
	v_and_b32_e32 v2, 0x80000000, v2
	v_cndmask_b32_e32 v1, v1, v7, vcc
	v_lshl_add_u32 v0, v0, 23, v2
	v_lshl_or_b32 v0, v1, 21, v0
	v_add_u32_e32 v0, 0x38000000, v0
                                        ; implicit-def: $vgpr1
.LBB6_6605:                             ;   in Loop: Header=BB6_5473 Depth=4
	s_andn2_saveexec_b64 s[34:35], s[34:35]
; %bb.6606:                             ;   in Loop: Header=BB6_5473 Depth=4
	v_mov_b32_e32 v0, -1
	v_cmp_gt_i16_sdwa vcc, sext(v10), v0 src0_sel:BYTE_0 src1_sel:DWORD
	v_mov_b32_e32 v0, 0xff800000
	v_mov_b32_e32 v2, 0x7f800000
	v_cndmask_b32_e32 v0, v0, v2, vcc
	v_cmp_eq_u32_e32 vcc, 0, v1
	v_mov_b32_e32 v1, 0x7f800001
	v_cndmask_b32_e32 v0, v1, v0, vcc
; %bb.6607:                             ;   in Loop: Header=BB6_5473 Depth=4
	s_or_b64 exec, exec, s[34:35]
.LBB6_6608:                             ;   in Loop: Header=BB6_5473 Depth=4
	s_or_b64 exec, exec, s[30:31]
.LBB6_6609:                             ;   in Loop: Header=BB6_5473 Depth=4
	s_or_b64 exec, exec, s[28:29]
	v_mul_f32_e32 v0, v12, v0
	v_and_b32_e32 v1, 0x7f800000, v0
	v_mov_b32_e32 v2, v33
	v_cmp_ne_u64_e32 vcc, s[76:77], v[1:2]
	v_and_b32_e32 v32, 0x7fffff, v0
                                        ; implicit-def: $vgpr55
	s_and_saveexec_b64 s[28:29], vcc
	s_xor_b64 s[30:31], exec, s[28:29]
	s_cbranch_execz .LBB6_6623
; %bb.6610:                             ;   in Loop: Header=BB6_5473 Depth=4
	v_and_b32_e32 v1, 0x7fffffff, v0
	v_mov_b32_e32 v2, v33
	v_cmp_gt_u64_e32 vcc, s[78:79], v[1:2]
	v_and_b32_sdwa v7, v0, s97 dst_sel:DWORD dst_unused:UNUSED_PAD src0_sel:BYTE_3 src1_sel:DWORD
                                        ; implicit-def: $vgpr55
	s_and_saveexec_b64 s[28:29], vcc
	s_xor_b64 s[34:35], exec, s[28:29]
	s_cbranch_execz .LBB6_6620
; %bb.6611:                             ;   in Loop: Header=BB6_5473 Depth=4
	v_mov_b32_e32 v55, 0
	v_cmp_ne_u32_e32 vcc, 0, v0
	s_and_saveexec_b64 s[36:37], vcc
	s_cbranch_execz .LBB6_6619
; %bb.6612:                             ;   in Loop: Header=BB6_5473 Depth=4
	v_bfe_u32 v8, v0, 23, 8
	v_cmp_gt_u32_e64 s[28:29], s47, v8
	v_sub_u32_e32 v0, 0x71, v8
	v_cmp_eq_u32_e32 vcc, 0, v8
	v_cndmask_b32_e64 v0, 0, v0, s[28:29]
	v_mov_b32_e32 v2, 0x70
	v_cndmask_b32_e32 v9, v0, v2, vcc
	v_add_u32_e32 v2, 21, v9
	v_or_b32_e32 v1, 0x800000, v32
	v_lshlrev_b64 v[13:14], v2, -1
	v_cndmask_b32_e32 v0, v1, v32, vcc
	v_mov_b32_e32 v1, v33
	v_add_u32_e32 v2, 20, v9
	v_bfi_b32 v13, v13, 0, v0
	v_lshlrev_b64 v[15:16], v2, 1
	v_lshrrev_b64 v[0:1], v9, v[0:1]
	v_bfi_b32 v14, v14, 0, 0
	v_cmp_eq_u64_e64 s[28:29], v[13:14], v[15:16]
	v_mov_b32_e32 v2, v1
	v_mov_b32_e32 v1, v0
	s_and_saveexec_b64 s[38:39], s[28:29]
; %bb.6613:                             ;   in Loop: Header=BB6_5473 Depth=4
	v_bfe_u32 v1, v0, 21, 1
	v_add_co_u32_e64 v1, s[28:29], v0, v1
	v_add_co_u32_e64 v1, s[28:29], -1, v1
; %bb.6614:                             ;   in Loop: Header=BB6_5473 Depth=4
	s_or_b64 exec, exec, s[38:39]
	v_add_u32_e32 v2, 0xffffff81, v8
	v_mov_b32_e32 v8, 0xffffff82
	v_cndmask_b32_e32 v2, v2, v8, vcc
	v_lshrrev_b32_e32 v8, 23, v0
	v_add3_u32 v9, v9, v2, v8
	v_add_u32_e32 v8, 14, v9
	v_and_b32_e32 v1, 0x1fffff, v1
	v_add_u32_e32 v32, v1, v0
	v_cmp_ne_u32_e32 vcc, 0, v8
                                        ; implicit-def: $vgpr0_vgpr1
                                        ; implicit-def: $vgpr2
	s_and_saveexec_b64 s[28:29], vcc
	s_xor_b64 s[28:29], exec, s[28:29]
; %bb.6615:                             ;   in Loop: Header=BB6_5473 Depth=4
	v_cmp_lt_u64_e32 vcc, s[88:89], v[32:33]
	v_add_u32_e32 v0, 15, v9
	v_cndmask_b32_e32 v2, v8, v0, vcc
	v_cndmask_b32_e64 v0, 0, 1, vcc
	v_lshrrev_b64 v[0:1], v0, v[32:33]
; %bb.6616:                             ;   in Loop: Header=BB6_5473 Depth=4
	s_andn2_saveexec_b64 s[28:29], s[28:29]
; %bb.6617:                             ;   in Loop: Header=BB6_5473 Depth=4
	v_mov_b32_e32 v0, v32
	v_mov_b32_e32 v1, v33
	v_bfe_u32 v2, v32, 23, 1
; %bb.6618:                             ;   in Loop: Header=BB6_5473 Depth=4
	s_or_b64 exec, exec, s[28:29]
	v_lshrrev_b64 v[0:1], 21, v[0:1]
	v_cmp_gt_i32_e32 vcc, 32, v2
	v_cndmask_b32_e32 v1, 0, v1, vcc
	v_cndmask_b32_e32 v0, 3, v0, vcc
	v_cmp_eq_u64_e64 s[28:29], 0, v[0:1]
	v_min_i32_e32 v1, 31, v2
	v_lshlrev_b32_e32 v1, 2, v1
	v_cmp_eq_u32_e32 vcc, 0, v2
	v_and_b32_e32 v1, 0xfc, v1
	v_and_or_b32 v0, v0, 3, v1
	s_and_b64 s[28:29], vcc, s[28:29]
	v_cndmask_b32_e64 v0, v0, 0, s[28:29]
	v_or_b32_e32 v55, v0, v7
.LBB6_6619:                             ;   in Loop: Header=BB6_5473 Depth=4
	s_or_b64 exec, exec, s[36:37]
                                        ; implicit-def: $vgpr7
.LBB6_6620:                             ;   in Loop: Header=BB6_5473 Depth=4
	s_andn2_saveexec_b64 s[28:29], s[34:35]
; %bb.6621:                             ;   in Loop: Header=BB6_5473 Depth=4
	v_or_b32_e32 v55, 0x7b, v7
; %bb.6622:                             ;   in Loop: Header=BB6_5473 Depth=4
	s_or_b64 exec, exec, s[28:29]
                                        ; implicit-def: $vgpr0
.LBB6_6623:                             ;   in Loop: Header=BB6_5473 Depth=4
	s_andn2_saveexec_b64 s[28:29], s[30:31]
	s_cbranch_execz .LBB6_6629
; %bb.6624:                             ;   in Loop: Header=BB6_5473 Depth=4
	v_cmp_ne_u64_e32 vcc, 0, v[32:33]
                                        ; implicit-def: $vgpr55
	s_and_saveexec_b64 s[62:63], vcc
	s_xor_b64 vcc, exec, s[62:63]
; %bb.6625:                             ;   in Loop: Header=BB6_5473 Depth=4
	v_or_b32_sdwa v55, v0, s44 dst_sel:DWORD dst_unused:UNUSED_PAD src0_sel:BYTE_3 src1_sel:DWORD
                                        ; implicit-def: $vgpr0
; %bb.6626:                             ;   in Loop: Header=BB6_5473 Depth=4
	s_andn2_saveexec_b64 s[30:31], vcc
; %bb.6627:                             ;   in Loop: Header=BB6_5473 Depth=4
	v_cmp_lt_i32_e32 vcc, -1, v0
	v_bfrev_b32_e32 v0, 0.5
	v_mov_b32_e32 v1, 0x7c
	v_cndmask_b32_e32 v55, v0, v1, vcc
; %bb.6628:                             ;   in Loop: Header=BB6_5473 Depth=4
	s_or_b64 exec, exec, s[30:31]
.LBB6_6629:                             ;   in Loop: Header=BB6_5473 Depth=4
	s_or_b64 exec, exec, s[28:29]
	v_lshrrev_b16_e32 v0, 8, v10
	v_cmp_ne_u16_e32 vcc, 0, v0
	v_mov_b32_e32 v1, 0
	s_and_saveexec_b64 s[28:29], vcc
	s_cbranch_execz .LBB6_6637
; %bb.6630:                             ;   in Loop: Header=BB6_5473 Depth=4
	v_cmp_ne_u16_e32 vcc, s97, v0
	v_bfrev_b32_e32 v1, 1
	s_and_saveexec_b64 s[30:31], vcc
	s_cbranch_execz .LBB6_6636
; %bb.6631:                             ;   in Loop: Header=BB6_5473 Depth=4
	v_and_b32_e32 v1, 0x7c, v0
	v_and_b32_e32 v2, 3, v0
	v_cmp_ne_u32_e32 vcc, s86, v1
                                        ; implicit-def: $vgpr1
	s_and_saveexec_b64 s[62:63], vcc
	s_xor_b64 s[34:35], exec, s[62:63]
	s_cbranch_execz .LBB6_6633
; %bb.6632:                             ;   in Loop: Header=BB6_5473 Depth=4
	v_ffbh_u32_e32 v8, v2
	v_min_u32_e32 v8, 32, v8
	v_mov_b32_e32 v1, v33
	v_subrev_u32_e32 v9, 29, v8
	v_bfe_u32 v7, v0, 2, 5
	v_lshlrev_b64 v[0:1], v9, v[0:1]
	v_cmp_eq_u32_e32 vcc, 0, v7
	v_and_b32_e32 v0, 3, v0
	v_sub_u32_e32 v1, 30, v8
	v_cndmask_b32_e32 v0, v2, v0, vcc
	v_lshlrev_b32_e32 v2, 16, v10
	v_cndmask_b32_e32 v1, v7, v1, vcc
	v_and_b32_e32 v2, 0x80000000, v2
	v_lshl_add_u32 v1, v1, 23, v2
	v_lshl_or_b32 v0, v0, 21, v1
	v_add_u32_e32 v1, 0x38000000, v0
                                        ; implicit-def: $vgpr2
.LBB6_6633:                             ;   in Loop: Header=BB6_5473 Depth=4
	s_andn2_saveexec_b64 s[34:35], s[34:35]
; %bb.6634:                             ;   in Loop: Header=BB6_5473 Depth=4
	v_cmp_lt_i16_e32 vcc, -1, v10
	v_mov_b32_e32 v0, 0xff800000
	v_mov_b32_e32 v1, 0x7f800000
	v_cndmask_b32_e32 v0, v0, v1, vcc
	v_cmp_eq_u32_e32 vcc, 0, v2
	v_mov_b32_e32 v1, 0x7f800001
	v_cndmask_b32_e32 v1, v1, v0, vcc
; %bb.6635:                             ;   in Loop: Header=BB6_5473 Depth=4
	s_or_b64 exec, exec, s[34:35]
.LBB6_6636:                             ;   in Loop: Header=BB6_5473 Depth=4
	s_or_b64 exec, exec, s[30:31]
.LBB6_6637:                             ;   in Loop: Header=BB6_5473 Depth=4
	s_or_b64 exec, exec, s[28:29]
	v_mul_f32_e32 v0, v12, v1
	v_and_b32_e32 v1, 0x7f800000, v0
	v_mov_b32_e32 v2, v33
	v_cmp_ne_u64_e32 vcc, s[76:77], v[1:2]
	v_and_b32_e32 v32, 0x7fffff, v0
                                        ; implicit-def: $vgpr1
                                        ; kill: killed $vgpr1
	s_and_saveexec_b64 s[28:29], vcc
	s_xor_b64 s[30:31], exec, s[28:29]
	s_cbranch_execz .LBB6_6651
; %bb.6638:                             ;   in Loop: Header=BB6_5473 Depth=4
	v_and_b32_e32 v1, 0x7fffffff, v0
	v_mov_b32_e32 v2, v33
	v_cmp_gt_u64_e32 vcc, s[78:79], v[1:2]
	v_and_b32_sdwa v7, v0, s97 dst_sel:DWORD dst_unused:UNUSED_PAD src0_sel:BYTE_3 src1_sel:DWORD
                                        ; implicit-def: $vgpr1
                                        ; kill: killed $vgpr1
	s_and_saveexec_b64 s[28:29], vcc
	s_xor_b64 s[34:35], exec, s[28:29]
	s_cbranch_execz .LBB6_6648
; %bb.6639:                             ;   in Loop: Header=BB6_5473 Depth=4
	v_mov_b32_e32 v1, 0
	v_cmp_ne_u32_e32 vcc, 0, v0
	buffer_store_dword v1, off, s[0:3], s33 offset:244 ; 4-byte Folded Spill
	s_and_saveexec_b64 s[36:37], vcc
	s_cbranch_execz .LBB6_6647
; %bb.6640:                             ;   in Loop: Header=BB6_5473 Depth=4
	v_bfe_u32 v8, v0, 23, 8
	v_cmp_gt_u32_e64 s[28:29], s47, v8
	v_sub_u32_e32 v0, 0x71, v8
	v_cmp_eq_u32_e32 vcc, 0, v8
	v_cndmask_b32_e64 v0, 0, v0, s[28:29]
	v_mov_b32_e32 v2, 0x70
	v_cndmask_b32_e32 v9, v0, v2, vcc
	v_add_u32_e32 v2, 21, v9
	v_or_b32_e32 v1, 0x800000, v32
	v_lshlrev_b64 v[13:14], v2, -1
	v_cndmask_b32_e32 v0, v1, v32, vcc
	v_mov_b32_e32 v1, v33
	v_add_u32_e32 v2, 20, v9
	v_bfi_b32 v13, v13, 0, v0
	v_lshlrev_b64 v[15:16], v2, 1
	v_lshrrev_b64 v[0:1], v9, v[0:1]
	v_bfi_b32 v14, v14, 0, 0
	v_cmp_eq_u64_e64 s[28:29], v[13:14], v[15:16]
	v_mov_b32_e32 v2, v1
	v_mov_b32_e32 v1, v0
	s_and_saveexec_b64 s[38:39], s[28:29]
; %bb.6641:                             ;   in Loop: Header=BB6_5473 Depth=4
	v_bfe_u32 v1, v0, 21, 1
	v_add_co_u32_e64 v1, s[28:29], v0, v1
	v_add_co_u32_e64 v1, s[28:29], -1, v1
; %bb.6642:                             ;   in Loop: Header=BB6_5473 Depth=4
	s_or_b64 exec, exec, s[38:39]
	v_add_u32_e32 v2, 0xffffff81, v8
	v_mov_b32_e32 v8, 0xffffff82
	v_cndmask_b32_e32 v2, v2, v8, vcc
	v_lshrrev_b32_e32 v8, 23, v0
	v_add3_u32 v9, v9, v2, v8
	v_add_u32_e32 v8, 14, v9
	v_and_b32_e32 v1, 0x1fffff, v1
	v_add_u32_e32 v32, v1, v0
	v_cmp_ne_u32_e32 vcc, 0, v8
                                        ; implicit-def: $vgpr0_vgpr1
                                        ; implicit-def: $vgpr2
	s_and_saveexec_b64 s[28:29], vcc
	s_xor_b64 s[28:29], exec, s[28:29]
; %bb.6643:                             ;   in Loop: Header=BB6_5473 Depth=4
	v_cmp_lt_u64_e32 vcc, s[88:89], v[32:33]
	v_add_u32_e32 v0, 15, v9
	v_cndmask_b32_e32 v2, v8, v0, vcc
	v_cndmask_b32_e64 v0, 0, 1, vcc
	v_lshrrev_b64 v[0:1], v0, v[32:33]
; %bb.6644:                             ;   in Loop: Header=BB6_5473 Depth=4
	s_andn2_saveexec_b64 s[28:29], s[28:29]
; %bb.6645:                             ;   in Loop: Header=BB6_5473 Depth=4
	v_mov_b32_e32 v0, v32
	v_mov_b32_e32 v1, v33
	v_bfe_u32 v2, v32, 23, 1
; %bb.6646:                             ;   in Loop: Header=BB6_5473 Depth=4
	s_or_b64 exec, exec, s[28:29]
	v_lshrrev_b64 v[0:1], 21, v[0:1]
	v_cmp_gt_i32_e32 vcc, 32, v2
	v_cndmask_b32_e32 v1, 0, v1, vcc
	v_cndmask_b32_e32 v0, 3, v0, vcc
	v_cmp_eq_u64_e64 s[28:29], 0, v[0:1]
	v_min_i32_e32 v1, 31, v2
	v_lshlrev_b32_e32 v1, 2, v1
	v_cmp_eq_u32_e32 vcc, 0, v2
	v_and_b32_e32 v1, 0xfc, v1
	v_and_or_b32 v0, v0, 3, v1
	s_and_b64 s[28:29], vcc, s[28:29]
	v_cndmask_b32_e64 v0, v0, 0, s[28:29]
	v_or_b32_e32 v0, v0, v7
	buffer_store_dword v0, off, s[0:3], s33 offset:244 ; 4-byte Folded Spill
.LBB6_6647:                             ;   in Loop: Header=BB6_5473 Depth=4
	s_or_b64 exec, exec, s[36:37]
                                        ; implicit-def: $vgpr7
.LBB6_6648:                             ;   in Loop: Header=BB6_5473 Depth=4
	s_andn2_saveexec_b64 s[28:29], s[34:35]
	s_cbranch_execz .LBB6_6650
; %bb.6649:                             ;   in Loop: Header=BB6_5473 Depth=4
	v_or_b32_e32 v0, 0x7b, v7
	buffer_store_dword v0, off, s[0:3], s33 offset:244 ; 4-byte Folded Spill
.LBB6_6650:                             ;   in Loop: Header=BB6_5473 Depth=4
	s_or_b64 exec, exec, s[28:29]
                                        ; implicit-def: $vgpr0
.LBB6_6651:                             ;   in Loop: Header=BB6_5473 Depth=4
	s_andn2_saveexec_b64 s[28:29], s[30:31]
	s_cbranch_execz .LBB6_6657
; %bb.6652:                             ;   in Loop: Header=BB6_5473 Depth=4
	v_cmp_ne_u64_e32 vcc, 0, v[32:33]
                                        ; implicit-def: $vgpr1
                                        ; kill: killed $vgpr1
	s_and_saveexec_b64 s[62:63], vcc
	s_xor_b64 vcc, exec, s[62:63]
	s_cbranch_execz .LBB6_6654
; %bb.6653:                             ;   in Loop: Header=BB6_5473 Depth=4
	v_or_b32_sdwa v0, v0, s44 dst_sel:DWORD dst_unused:UNUSED_PAD src0_sel:BYTE_3 src1_sel:DWORD
	buffer_store_dword v0, off, s[0:3], s33 offset:244 ; 4-byte Folded Spill
                                        ; implicit-def: $vgpr0
.LBB6_6654:                             ;   in Loop: Header=BB6_5473 Depth=4
	s_andn2_saveexec_b64 s[30:31], vcc
	s_cbranch_execz .LBB6_6656
; %bb.6655:                             ;   in Loop: Header=BB6_5473 Depth=4
	v_cmp_lt_i32_e32 vcc, -1, v0
	v_bfrev_b32_e32 v0, 0.5
	v_mov_b32_e32 v1, 0x7c
	v_cndmask_b32_e32 v0, v0, v1, vcc
	buffer_store_dword v0, off, s[0:3], s33 offset:244 ; 4-byte Folded Spill
.LBB6_6656:                             ;   in Loop: Header=BB6_5473 Depth=4
	s_or_b64 exec, exec, s[30:31]
.LBB6_6657:                             ;   in Loop: Header=BB6_5473 Depth=4
	s_or_b64 exec, exec, s[28:29]
	v_lshrrev_b32_e32 v0, 16, v10
	v_cmp_ne_u16_sdwa s[62:63], v0, v33 src0_sel:BYTE_0 src1_sel:DWORD
	v_mov_b32_e32 v1, 0
	s_and_saveexec_b64 s[28:29], s[62:63]
	s_cbranch_execz .LBB6_6665
; %bb.6658:                             ;   in Loop: Header=BB6_5473 Depth=4
	v_cmp_ne_u16_sdwa s[62:63], v0, s97 src0_sel:BYTE_0 src1_sel:DWORD
	v_bfrev_b32_e32 v1, 1
	s_and_saveexec_b64 s[30:31], s[62:63]
	s_cbranch_execz .LBB6_6664
; %bb.6659:                             ;   in Loop: Header=BB6_5473 Depth=4
	v_and_b32_e32 v1, 0x7c0000, v10
	v_bfe_u32 v2, v10, 16, 2
	v_cmp_ne_u32_e32 vcc, s45, v1
                                        ; implicit-def: $vgpr1
	s_and_saveexec_b64 s[62:63], vcc
	s_xor_b64 s[34:35], exec, s[62:63]
	s_cbranch_execz .LBB6_6661
; %bb.6660:                             ;   in Loop: Header=BB6_5473 Depth=4
	v_ffbh_u32_e32 v1, v2
	v_min_u32_e32 v8, 32, v1
	v_subrev_u32_e32 v1, 29, v8
	v_lshlrev_b64 v[0:1], v1, v[0:1]
	v_bfe_u32 v7, v10, 18, 5
	v_and_b32_e32 v0, 3, v0
	v_cmp_eq_u32_e32 vcc, 0, v7
	v_sub_u32_e32 v1, 30, v8
	v_cndmask_b32_e32 v0, v2, v0, vcc
	v_lshlrev_b32_e32 v2, 8, v10
	v_cndmask_b32_e32 v1, v7, v1, vcc
	v_and_b32_e32 v2, 0x80000000, v2
	v_lshl_add_u32 v1, v1, 23, v2
	v_lshl_or_b32 v0, v0, 21, v1
	v_add_u32_e32 v1, 0x38000000, v0
                                        ; implicit-def: $vgpr2
                                        ; implicit-def: $vgpr0
.LBB6_6661:                             ;   in Loop: Header=BB6_5473 Depth=4
	s_andn2_saveexec_b64 s[34:35], s[34:35]
; %bb.6662:                             ;   in Loop: Header=BB6_5473 Depth=4
	v_mov_b32_e32 v1, -1
	v_cmp_gt_i16_sdwa vcc, sext(v0), v1 src0_sel:BYTE_0 src1_sel:DWORD
	v_mov_b32_e32 v0, 0xff800000
	v_mov_b32_e32 v1, 0x7f800000
	v_cndmask_b32_e32 v0, v0, v1, vcc
	v_cmp_eq_u32_e32 vcc, 0, v2
	v_mov_b32_e32 v1, 0x7f800001
	v_cndmask_b32_e32 v1, v1, v0, vcc
; %bb.6663:                             ;   in Loop: Header=BB6_5473 Depth=4
	s_or_b64 exec, exec, s[34:35]
.LBB6_6664:                             ;   in Loop: Header=BB6_5473 Depth=4
	s_or_b64 exec, exec, s[30:31]
.LBB6_6665:                             ;   in Loop: Header=BB6_5473 Depth=4
	s_or_b64 exec, exec, s[28:29]
	v_mul_f32_e32 v0, v12, v1
	v_and_b32_e32 v1, 0x7f800000, v0
	v_mov_b32_e32 v2, v33
	v_cmp_ne_u64_e32 vcc, s[76:77], v[1:2]
	v_and_b32_e32 v32, 0x7fffff, v0
                                        ; implicit-def: $vgpr1
                                        ; kill: killed $vgpr1
	s_and_saveexec_b64 s[28:29], vcc
	s_xor_b64 s[30:31], exec, s[28:29]
	s_cbranch_execz .LBB6_6679
; %bb.6666:                             ;   in Loop: Header=BB6_5473 Depth=4
	v_and_b32_e32 v1, 0x7fffffff, v0
	v_mov_b32_e32 v2, v33
	v_cmp_gt_u64_e32 vcc, s[78:79], v[1:2]
	v_and_b32_sdwa v7, v0, s97 dst_sel:DWORD dst_unused:UNUSED_PAD src0_sel:BYTE_3 src1_sel:DWORD
                                        ; implicit-def: $vgpr1
                                        ; kill: killed $vgpr1
	s_and_saveexec_b64 s[28:29], vcc
	s_xor_b64 s[34:35], exec, s[28:29]
	s_cbranch_execz .LBB6_6676
; %bb.6667:                             ;   in Loop: Header=BB6_5473 Depth=4
	v_mov_b32_e32 v1, 0
	v_cmp_ne_u32_e32 vcc, 0, v0
	buffer_store_dword v1, off, s[0:3], s33 offset:260 ; 4-byte Folded Spill
	s_and_saveexec_b64 s[36:37], vcc
	s_cbranch_execz .LBB6_6675
; %bb.6668:                             ;   in Loop: Header=BB6_5473 Depth=4
	v_bfe_u32 v8, v0, 23, 8
	v_cmp_gt_u32_e64 s[28:29], s47, v8
	v_sub_u32_e32 v0, 0x71, v8
	v_cmp_eq_u32_e32 vcc, 0, v8
	v_cndmask_b32_e64 v0, 0, v0, s[28:29]
	v_mov_b32_e32 v2, 0x70
	v_cndmask_b32_e32 v9, v0, v2, vcc
	v_add_u32_e32 v2, 21, v9
	v_or_b32_e32 v1, 0x800000, v32
	v_lshlrev_b64 v[13:14], v2, -1
	v_cndmask_b32_e32 v0, v1, v32, vcc
	v_mov_b32_e32 v1, v33
	v_add_u32_e32 v2, 20, v9
	v_bfi_b32 v13, v13, 0, v0
	v_lshlrev_b64 v[15:16], v2, 1
	v_lshrrev_b64 v[0:1], v9, v[0:1]
	v_bfi_b32 v14, v14, 0, 0
	v_cmp_eq_u64_e64 s[28:29], v[13:14], v[15:16]
	v_mov_b32_e32 v2, v1
	v_mov_b32_e32 v1, v0
	s_and_saveexec_b64 s[38:39], s[28:29]
; %bb.6669:                             ;   in Loop: Header=BB6_5473 Depth=4
	v_bfe_u32 v1, v0, 21, 1
	v_add_co_u32_e64 v1, s[28:29], v0, v1
	v_add_co_u32_e64 v1, s[28:29], -1, v1
; %bb.6670:                             ;   in Loop: Header=BB6_5473 Depth=4
	s_or_b64 exec, exec, s[38:39]
	v_add_u32_e32 v2, 0xffffff81, v8
	v_mov_b32_e32 v8, 0xffffff82
	v_cndmask_b32_e32 v2, v2, v8, vcc
	v_lshrrev_b32_e32 v8, 23, v0
	v_add3_u32 v9, v9, v2, v8
	v_add_u32_e32 v8, 14, v9
	v_and_b32_e32 v1, 0x1fffff, v1
	v_add_u32_e32 v32, v1, v0
	v_cmp_ne_u32_e32 vcc, 0, v8
                                        ; implicit-def: $vgpr0_vgpr1
                                        ; implicit-def: $vgpr2
	s_and_saveexec_b64 s[28:29], vcc
	s_xor_b64 s[28:29], exec, s[28:29]
; %bb.6671:                             ;   in Loop: Header=BB6_5473 Depth=4
	v_cmp_lt_u64_e32 vcc, s[88:89], v[32:33]
	v_add_u32_e32 v0, 15, v9
	v_cndmask_b32_e32 v2, v8, v0, vcc
	v_cndmask_b32_e64 v0, 0, 1, vcc
	v_lshrrev_b64 v[0:1], v0, v[32:33]
; %bb.6672:                             ;   in Loop: Header=BB6_5473 Depth=4
	s_andn2_saveexec_b64 s[28:29], s[28:29]
; %bb.6673:                             ;   in Loop: Header=BB6_5473 Depth=4
	v_mov_b32_e32 v0, v32
	v_mov_b32_e32 v1, v33
	v_bfe_u32 v2, v32, 23, 1
; %bb.6674:                             ;   in Loop: Header=BB6_5473 Depth=4
	s_or_b64 exec, exec, s[28:29]
	v_lshrrev_b64 v[0:1], 21, v[0:1]
	v_cmp_gt_i32_e32 vcc, 32, v2
	v_cndmask_b32_e32 v1, 0, v1, vcc
	v_cndmask_b32_e32 v0, 3, v0, vcc
	v_cmp_eq_u64_e64 s[28:29], 0, v[0:1]
	v_min_i32_e32 v1, 31, v2
	v_lshlrev_b32_e32 v1, 2, v1
	v_cmp_eq_u32_e32 vcc, 0, v2
	v_and_b32_e32 v1, 0xfc, v1
	v_and_or_b32 v0, v0, 3, v1
	s_and_b64 s[28:29], vcc, s[28:29]
	v_cndmask_b32_e64 v0, v0, 0, s[28:29]
	v_or_b32_e32 v0, v0, v7
	buffer_store_dword v0, off, s[0:3], s33 offset:260 ; 4-byte Folded Spill
.LBB6_6675:                             ;   in Loop: Header=BB6_5473 Depth=4
	s_or_b64 exec, exec, s[36:37]
                                        ; implicit-def: $vgpr7
.LBB6_6676:                             ;   in Loop: Header=BB6_5473 Depth=4
	s_andn2_saveexec_b64 s[28:29], s[34:35]
	s_cbranch_execz .LBB6_6678
; %bb.6677:                             ;   in Loop: Header=BB6_5473 Depth=4
	v_or_b32_e32 v0, 0x7b, v7
	buffer_store_dword v0, off, s[0:3], s33 offset:260 ; 4-byte Folded Spill
.LBB6_6678:                             ;   in Loop: Header=BB6_5473 Depth=4
	s_or_b64 exec, exec, s[28:29]
                                        ; implicit-def: $vgpr0
.LBB6_6679:                             ;   in Loop: Header=BB6_5473 Depth=4
	s_andn2_saveexec_b64 s[28:29], s[30:31]
	s_cbranch_execz .LBB6_6685
; %bb.6680:                             ;   in Loop: Header=BB6_5473 Depth=4
	v_cmp_ne_u64_e32 vcc, 0, v[32:33]
                                        ; implicit-def: $vgpr1
                                        ; kill: killed $vgpr1
	s_and_saveexec_b64 s[62:63], vcc
	s_xor_b64 vcc, exec, s[62:63]
	s_cbranch_execz .LBB6_6682
; %bb.6681:                             ;   in Loop: Header=BB6_5473 Depth=4
	v_or_b32_sdwa v0, v0, s44 dst_sel:DWORD dst_unused:UNUSED_PAD src0_sel:BYTE_3 src1_sel:DWORD
	buffer_store_dword v0, off, s[0:3], s33 offset:260 ; 4-byte Folded Spill
                                        ; implicit-def: $vgpr0
.LBB6_6682:                             ;   in Loop: Header=BB6_5473 Depth=4
	s_andn2_saveexec_b64 s[30:31], vcc
	s_cbranch_execz .LBB6_6684
; %bb.6683:                             ;   in Loop: Header=BB6_5473 Depth=4
	v_cmp_lt_i32_e32 vcc, -1, v0
	v_bfrev_b32_e32 v0, 0.5
	v_mov_b32_e32 v1, 0x7c
	v_cndmask_b32_e32 v0, v0, v1, vcc
	buffer_store_dword v0, off, s[0:3], s33 offset:260 ; 4-byte Folded Spill
.LBB6_6684:                             ;   in Loop: Header=BB6_5473 Depth=4
	s_or_b64 exec, exec, s[30:31]
.LBB6_6685:                             ;   in Loop: Header=BB6_5473 Depth=4
	s_or_b64 exec, exec, s[28:29]
	v_cmp_lt_u32_e32 vcc, s57, v10
	v_mov_b32_e32 v1, 0
	s_and_saveexec_b64 s[28:29], vcc
	s_cbranch_execz .LBB6_6693
; %bb.6686:                             ;   in Loop: Header=BB6_5473 Depth=4
	v_lshrrev_b32_e32 v0, 24, v10
	v_cmp_ne_u32_e32 vcc, s97, v0
	v_bfrev_b32_e32 v1, 1
	s_and_saveexec_b64 s[30:31], vcc
	s_cbranch_execz .LBB6_6692
; %bb.6687:                             ;   in Loop: Header=BB6_5473 Depth=4
	v_and_b32_e32 v1, 0x7c000000, v10
	v_bfe_u32 v2, v10, 24, 2
	v_cmp_ne_u32_e32 vcc, s68, v1
                                        ; implicit-def: $vgpr1
	s_and_saveexec_b64 s[62:63], vcc
	s_xor_b64 s[34:35], exec, s[62:63]
	s_cbranch_execz .LBB6_6689
; %bb.6688:                             ;   in Loop: Header=BB6_5473 Depth=4
	v_ffbh_u32_e32 v1, v2
	v_min_u32_e32 v8, 32, v1
	v_subrev_u32_e32 v1, 29, v8
	v_lshlrev_b64 v[0:1], v1, v[0:1]
	v_bfe_u32 v7, v10, 26, 5
	v_sub_u32_e32 v1, 30, v8
	v_and_b32_e32 v0, 3, v0
	v_cmp_eq_u32_e32 vcc, 0, v7
	v_cndmask_b32_e32 v1, v7, v1, vcc
	v_cndmask_b32_e32 v0, v2, v0, vcc
	v_and_b32_e32 v2, 0x80000000, v10
	v_lshl_add_u32 v1, v1, 23, v2
	v_lshl_or_b32 v0, v0, 21, v1
	v_add_u32_e32 v1, 0x38000000, v0
                                        ; implicit-def: $vgpr2
.LBB6_6689:                             ;   in Loop: Header=BB6_5473 Depth=4
	s_andn2_saveexec_b64 s[34:35], s[34:35]
; %bb.6690:                             ;   in Loop: Header=BB6_5473 Depth=4
	v_cmp_lt_i32_e32 vcc, -1, v10
	v_mov_b32_e32 v0, 0xff800000
	v_mov_b32_e32 v1, 0x7f800000
	v_cndmask_b32_e32 v0, v0, v1, vcc
	v_cmp_eq_u32_e32 vcc, 0, v2
	v_mov_b32_e32 v1, 0x7f800001
	v_cndmask_b32_e32 v1, v1, v0, vcc
; %bb.6691:                             ;   in Loop: Header=BB6_5473 Depth=4
	s_or_b64 exec, exec, s[34:35]
.LBB6_6692:                             ;   in Loop: Header=BB6_5473 Depth=4
	s_or_b64 exec, exec, s[30:31]
.LBB6_6693:                             ;   in Loop: Header=BB6_5473 Depth=4
	s_or_b64 exec, exec, s[28:29]
	v_mul_f32_e32 v0, v12, v1
	v_and_b32_e32 v1, 0x7f800000, v0
	v_mov_b32_e32 v2, v33
	v_cmp_ne_u64_e32 vcc, s[76:77], v[1:2]
	v_and_b32_e32 v32, 0x7fffff, v0
                                        ; implicit-def: $vgpr1
                                        ; kill: killed $vgpr1
	s_and_saveexec_b64 s[28:29], vcc
	s_xor_b64 s[30:31], exec, s[28:29]
	s_cbranch_execz .LBB6_6707
; %bb.6694:                             ;   in Loop: Header=BB6_5473 Depth=4
	v_and_b32_e32 v1, 0x7fffffff, v0
	v_mov_b32_e32 v2, v33
	v_cmp_gt_u64_e32 vcc, s[78:79], v[1:2]
	v_and_b32_sdwa v7, v0, s97 dst_sel:DWORD dst_unused:UNUSED_PAD src0_sel:BYTE_3 src1_sel:DWORD
                                        ; implicit-def: $vgpr1
                                        ; kill: killed $vgpr1
	s_and_saveexec_b64 s[28:29], vcc
	s_xor_b64 s[34:35], exec, s[28:29]
	s_cbranch_execz .LBB6_6704
; %bb.6695:                             ;   in Loop: Header=BB6_5473 Depth=4
	v_mov_b32_e32 v1, 0
	v_cmp_ne_u32_e32 vcc, 0, v0
	buffer_store_dword v1, off, s[0:3], s33 offset:296 ; 4-byte Folded Spill
	s_and_saveexec_b64 s[36:37], vcc
	s_cbranch_execz .LBB6_6703
; %bb.6696:                             ;   in Loop: Header=BB6_5473 Depth=4
	v_bfe_u32 v8, v0, 23, 8
	v_cmp_gt_u32_e64 s[28:29], s47, v8
	v_sub_u32_e32 v0, 0x71, v8
	v_cmp_eq_u32_e32 vcc, 0, v8
	v_cndmask_b32_e64 v0, 0, v0, s[28:29]
	v_mov_b32_e32 v2, 0x70
	v_cndmask_b32_e32 v9, v0, v2, vcc
	v_add_u32_e32 v2, 21, v9
	v_or_b32_e32 v1, 0x800000, v32
	v_lshlrev_b64 v[13:14], v2, -1
	v_cndmask_b32_e32 v0, v1, v32, vcc
	v_mov_b32_e32 v1, v33
	v_add_u32_e32 v2, 20, v9
	v_bfi_b32 v13, v13, 0, v0
	v_lshlrev_b64 v[15:16], v2, 1
	v_lshrrev_b64 v[0:1], v9, v[0:1]
	v_bfi_b32 v14, v14, 0, 0
	v_cmp_eq_u64_e64 s[28:29], v[13:14], v[15:16]
	v_mov_b32_e32 v2, v1
	v_mov_b32_e32 v1, v0
	s_and_saveexec_b64 s[38:39], s[28:29]
; %bb.6697:                             ;   in Loop: Header=BB6_5473 Depth=4
	v_bfe_u32 v1, v0, 21, 1
	v_add_co_u32_e64 v1, s[28:29], v0, v1
	v_add_co_u32_e64 v1, s[28:29], -1, v1
; %bb.6698:                             ;   in Loop: Header=BB6_5473 Depth=4
	s_or_b64 exec, exec, s[38:39]
	v_add_u32_e32 v2, 0xffffff81, v8
	v_mov_b32_e32 v8, 0xffffff82
	v_cndmask_b32_e32 v2, v2, v8, vcc
	v_lshrrev_b32_e32 v8, 23, v0
	v_add3_u32 v9, v9, v2, v8
	v_add_u32_e32 v8, 14, v9
	v_and_b32_e32 v1, 0x1fffff, v1
	v_add_u32_e32 v32, v1, v0
	v_cmp_ne_u32_e32 vcc, 0, v8
                                        ; implicit-def: $vgpr0_vgpr1
                                        ; implicit-def: $vgpr2
	s_and_saveexec_b64 s[28:29], vcc
	s_xor_b64 s[28:29], exec, s[28:29]
; %bb.6699:                             ;   in Loop: Header=BB6_5473 Depth=4
	v_cmp_lt_u64_e32 vcc, s[88:89], v[32:33]
	v_add_u32_e32 v0, 15, v9
	v_cndmask_b32_e32 v2, v8, v0, vcc
	v_cndmask_b32_e64 v0, 0, 1, vcc
	v_lshrrev_b64 v[0:1], v0, v[32:33]
; %bb.6700:                             ;   in Loop: Header=BB6_5473 Depth=4
	s_andn2_saveexec_b64 s[28:29], s[28:29]
; %bb.6701:                             ;   in Loop: Header=BB6_5473 Depth=4
	v_mov_b32_e32 v0, v32
	v_mov_b32_e32 v1, v33
	v_bfe_u32 v2, v32, 23, 1
; %bb.6702:                             ;   in Loop: Header=BB6_5473 Depth=4
	s_or_b64 exec, exec, s[28:29]
	v_lshrrev_b64 v[0:1], 21, v[0:1]
	v_cmp_gt_i32_e32 vcc, 32, v2
	v_cndmask_b32_e32 v1, 0, v1, vcc
	v_cndmask_b32_e32 v0, 3, v0, vcc
	v_cmp_eq_u64_e64 s[28:29], 0, v[0:1]
	v_min_i32_e32 v1, 31, v2
	v_lshlrev_b32_e32 v1, 2, v1
	v_cmp_eq_u32_e32 vcc, 0, v2
	v_and_b32_e32 v1, 0xfc, v1
	v_and_or_b32 v0, v0, 3, v1
	s_and_b64 s[28:29], vcc, s[28:29]
	v_cndmask_b32_e64 v0, v0, 0, s[28:29]
	v_or_b32_e32 v0, v0, v7
	buffer_store_dword v0, off, s[0:3], s33 offset:296 ; 4-byte Folded Spill
.LBB6_6703:                             ;   in Loop: Header=BB6_5473 Depth=4
	s_or_b64 exec, exec, s[36:37]
                                        ; implicit-def: $vgpr7
.LBB6_6704:                             ;   in Loop: Header=BB6_5473 Depth=4
	s_andn2_saveexec_b64 s[28:29], s[34:35]
	s_cbranch_execz .LBB6_6706
; %bb.6705:                             ;   in Loop: Header=BB6_5473 Depth=4
	v_or_b32_e32 v0, 0x7b, v7
	buffer_store_dword v0, off, s[0:3], s33 offset:296 ; 4-byte Folded Spill
.LBB6_6706:                             ;   in Loop: Header=BB6_5473 Depth=4
	s_or_b64 exec, exec, s[28:29]
                                        ; implicit-def: $vgpr0
.LBB6_6707:                             ;   in Loop: Header=BB6_5473 Depth=4
	s_andn2_saveexec_b64 s[28:29], s[30:31]
	s_cbranch_execz .LBB6_6713
; %bb.6708:                             ;   in Loop: Header=BB6_5473 Depth=4
	v_cmp_ne_u64_e32 vcc, 0, v[32:33]
                                        ; implicit-def: $vgpr1
                                        ; kill: killed $vgpr1
	s_and_saveexec_b64 s[62:63], vcc
	s_xor_b64 vcc, exec, s[62:63]
	s_cbranch_execz .LBB6_6710
; %bb.6709:                             ;   in Loop: Header=BB6_5473 Depth=4
	v_or_b32_sdwa v0, v0, s44 dst_sel:DWORD dst_unused:UNUSED_PAD src0_sel:BYTE_3 src1_sel:DWORD
	buffer_store_dword v0, off, s[0:3], s33 offset:296 ; 4-byte Folded Spill
                                        ; implicit-def: $vgpr0
.LBB6_6710:                             ;   in Loop: Header=BB6_5473 Depth=4
	s_andn2_saveexec_b64 s[30:31], vcc
	s_cbranch_execz .LBB6_6712
; %bb.6711:                             ;   in Loop: Header=BB6_5473 Depth=4
	v_cmp_lt_i32_e32 vcc, -1, v0
	v_bfrev_b32_e32 v0, 0.5
	v_mov_b32_e32 v1, 0x7c
	v_cndmask_b32_e32 v0, v0, v1, vcc
	buffer_store_dword v0, off, s[0:3], s33 offset:296 ; 4-byte Folded Spill
.LBB6_6712:                             ;   in Loop: Header=BB6_5473 Depth=4
	s_or_b64 exec, exec, s[30:31]
.LBB6_6713:                             ;   in Loop: Header=BB6_5473 Depth=4
	s_or_b64 exec, exec, s[28:29]
	v_mov_b32_e32 v32, v11
	v_cmp_ne_u16_sdwa s[62:63], v11, v33 src0_sel:BYTE_0 src1_sel:DWORD
	v_mov_b32_e32 v0, 0
	s_and_saveexec_b64 s[28:29], s[62:63]
	s_cbranch_execz .LBB6_6721
; %bb.6714:                             ;   in Loop: Header=BB6_5473 Depth=4
	v_cmp_ne_u16_sdwa s[62:63], v11, s97 src0_sel:BYTE_0 src1_sel:DWORD
	v_bfrev_b32_e32 v0, 1
	s_and_saveexec_b64 s[30:31], s[62:63]
	s_cbranch_execz .LBB6_6720
; %bb.6715:                             ;   in Loop: Header=BB6_5473 Depth=4
	v_and_b32_e32 v0, 0x7c, v11
	v_and_b32_e32 v1, 3, v11
	v_cmp_ne_u32_e32 vcc, s86, v0
                                        ; implicit-def: $vgpr0
	s_and_saveexec_b64 s[62:63], vcc
	s_xor_b64 s[34:35], exec, s[62:63]
	s_cbranch_execz .LBB6_6717
; %bb.6716:                             ;   in Loop: Header=BB6_5473 Depth=4
	v_ffbh_u32_e32 v2, v1
	v_min_u32_e32 v2, 32, v2
	v_bfe_u32 v0, v11, 2, 5
	v_subrev_u32_e32 v7, 29, v2
	v_lshlrev_b64 v[7:8], v7, v[32:33]
	v_sub_u32_e32 v2, 30, v2
	v_cmp_eq_u32_e32 vcc, 0, v0
	v_cndmask_b32_e32 v0, v0, v2, vcc
	v_lshlrev_b32_e32 v2, 24, v11
	v_and_b32_e32 v7, 3, v7
	v_and_b32_e32 v2, 0x80000000, v2
	v_cndmask_b32_e32 v1, v1, v7, vcc
	v_lshl_add_u32 v0, v0, 23, v2
	v_lshl_or_b32 v0, v1, 21, v0
	v_add_u32_e32 v0, 0x38000000, v0
                                        ; implicit-def: $vgpr1
.LBB6_6717:                             ;   in Loop: Header=BB6_5473 Depth=4
	s_andn2_saveexec_b64 s[34:35], s[34:35]
; %bb.6718:                             ;   in Loop: Header=BB6_5473 Depth=4
	v_mov_b32_e32 v0, -1
	v_cmp_gt_i16_sdwa vcc, sext(v11), v0 src0_sel:BYTE_0 src1_sel:DWORD
	v_mov_b32_e32 v0, 0xff800000
	v_mov_b32_e32 v2, 0x7f800000
	v_cndmask_b32_e32 v0, v0, v2, vcc
	v_cmp_eq_u32_e32 vcc, 0, v1
	v_mov_b32_e32 v1, 0x7f800001
	v_cndmask_b32_e32 v0, v1, v0, vcc
; %bb.6719:                             ;   in Loop: Header=BB6_5473 Depth=4
	s_or_b64 exec, exec, s[34:35]
.LBB6_6720:                             ;   in Loop: Header=BB6_5473 Depth=4
	s_or_b64 exec, exec, s[30:31]
.LBB6_6721:                             ;   in Loop: Header=BB6_5473 Depth=4
	s_or_b64 exec, exec, s[28:29]
	v_mul_f32_e32 v2, v12, v0
	v_and_b32_e32 v7, 0x7f800000, v2
	v_mov_b32_e32 v8, v33
	v_cmp_ne_u64_e32 vcc, s[76:77], v[7:8]
	v_and_b32_e32 v0, 0x7fffff, v2
	v_mov_b32_e32 v1, v33
                                        ; implicit-def: $vgpr50
	s_and_saveexec_b64 s[28:29], vcc
	s_xor_b64 s[30:31], exec, s[28:29]
	s_cbranch_execz .LBB6_6735
; %bb.6722:                             ;   in Loop: Header=BB6_5473 Depth=4
	v_and_b32_e32 v7, 0x7fffffff, v2
	v_mov_b32_e32 v8, v33
	v_cmp_gt_u64_e32 vcc, s[78:79], v[7:8]
	v_and_b32_sdwa v7, v2, s97 dst_sel:DWORD dst_unused:UNUSED_PAD src0_sel:BYTE_3 src1_sel:DWORD
                                        ; implicit-def: $vgpr50
	s_and_saveexec_b64 s[28:29], vcc
	s_xor_b64 s[34:35], exec, s[28:29]
	s_cbranch_execz .LBB6_6732
; %bb.6723:                             ;   in Loop: Header=BB6_5473 Depth=4
	v_mov_b32_e32 v50, 0
	v_cmp_ne_u32_e32 vcc, 0, v2
	s_and_saveexec_b64 s[36:37], vcc
	s_cbranch_execz .LBB6_6731
; %bb.6724:                             ;   in Loop: Header=BB6_5473 Depth=4
	v_bfe_u32 v8, v2, 23, 8
	v_cmp_gt_u32_e64 s[28:29], s47, v8
	v_sub_u32_e32 v2, 0x71, v8
	v_cmp_eq_u32_e32 vcc, 0, v8
	v_cndmask_b32_e64 v2, 0, v2, s[28:29]
	v_mov_b32_e32 v9, 0x70
	v_cndmask_b32_e32 v9, v2, v9, vcc
	v_or_b32_e32 v13, 0x800000, v0
	v_add_u32_e32 v2, 21, v9
	v_cndmask_b32_e32 v0, v13, v0, vcc
	v_lshlrev_b64 v[13:14], v2, -1
	v_add_u32_e32 v2, 20, v9
	v_bfi_b32 v13, v13, 0, v0
	v_lshlrev_b64 v[15:16], v2, 1
	v_lshrrev_b64 v[0:1], v9, v[0:1]
	v_bfi_b32 v14, v14, 0, 0
	v_cmp_eq_u64_e64 s[28:29], v[13:14], v[15:16]
	v_mov_b32_e32 v2, v1
	v_mov_b32_e32 v1, v0
	s_and_saveexec_b64 s[38:39], s[28:29]
; %bb.6725:                             ;   in Loop: Header=BB6_5473 Depth=4
	v_bfe_u32 v1, v0, 21, 1
	v_add_co_u32_e64 v1, s[28:29], v0, v1
	v_add_co_u32_e64 v1, s[28:29], -1, v1
; %bb.6726:                             ;   in Loop: Header=BB6_5473 Depth=4
	s_or_b64 exec, exec, s[38:39]
	v_add_u32_e32 v2, 0xffffff81, v8
	v_mov_b32_e32 v8, 0xffffff82
	v_cndmask_b32_e32 v2, v2, v8, vcc
	v_lshrrev_b32_e32 v8, 23, v0
	v_add3_u32 v9, v9, v2, v8
	v_add_u32_e32 v8, 14, v9
	v_and_b32_e32 v1, 0x1fffff, v1
	v_add_u32_e32 v0, v1, v0
	v_mov_b32_e32 v1, v33
	v_cmp_ne_u32_e32 vcc, 0, v8
                                        ; implicit-def: $vgpr2
	s_and_saveexec_b64 s[28:29], vcc
	s_xor_b64 s[28:29], exec, s[28:29]
; %bb.6727:                             ;   in Loop: Header=BB6_5473 Depth=4
	v_cmp_lt_u64_e32 vcc, s[88:89], v[0:1]
	v_add_u32_e32 v2, 15, v9
	v_cndmask_b32_e32 v2, v8, v2, vcc
	v_cndmask_b32_e64 v8, 0, 1, vcc
	v_lshrrev_b64 v[0:1], v8, v[0:1]
; %bb.6728:                             ;   in Loop: Header=BB6_5473 Depth=4
	s_andn2_saveexec_b64 s[28:29], s[28:29]
; %bb.6729:                             ;   in Loop: Header=BB6_5473 Depth=4
	v_bfe_u32 v2, v0, 23, 1
; %bb.6730:                             ;   in Loop: Header=BB6_5473 Depth=4
	s_or_b64 exec, exec, s[28:29]
	v_lshrrev_b64 v[0:1], 21, v[0:1]
	v_cmp_gt_i32_e32 vcc, 32, v2
	v_cndmask_b32_e32 v1, 0, v1, vcc
	v_cndmask_b32_e32 v0, 3, v0, vcc
	v_cmp_eq_u64_e64 s[28:29], 0, v[0:1]
	v_min_i32_e32 v1, 31, v2
	v_lshlrev_b32_e32 v1, 2, v1
	v_cmp_eq_u32_e32 vcc, 0, v2
	v_and_b32_e32 v1, 0xfc, v1
	v_and_or_b32 v0, v0, 3, v1
	s_and_b64 s[28:29], vcc, s[28:29]
	v_cndmask_b32_e64 v0, v0, 0, s[28:29]
	v_or_b32_e32 v50, v0, v7
.LBB6_6731:                             ;   in Loop: Header=BB6_5473 Depth=4
	s_or_b64 exec, exec, s[36:37]
                                        ; implicit-def: $vgpr7
.LBB6_6732:                             ;   in Loop: Header=BB6_5473 Depth=4
	s_andn2_saveexec_b64 s[28:29], s[34:35]
; %bb.6733:                             ;   in Loop: Header=BB6_5473 Depth=4
	v_or_b32_e32 v50, 0x7b, v7
; %bb.6734:                             ;   in Loop: Header=BB6_5473 Depth=4
	s_or_b64 exec, exec, s[28:29]
                                        ; implicit-def: $vgpr2
                                        ; implicit-def: $vgpr0_vgpr1
.LBB6_6735:                             ;   in Loop: Header=BB6_5473 Depth=4
	s_andn2_saveexec_b64 s[28:29], s[30:31]
	s_cbranch_execz .LBB6_6741
; %bb.6736:                             ;   in Loop: Header=BB6_5473 Depth=4
	v_cmp_ne_u64_e32 vcc, 0, v[0:1]
                                        ; implicit-def: $vgpr50
	s_and_saveexec_b64 s[62:63], vcc
	s_xor_b64 vcc, exec, s[62:63]
; %bb.6737:                             ;   in Loop: Header=BB6_5473 Depth=4
	v_or_b32_sdwa v50, v2, s44 dst_sel:DWORD dst_unused:UNUSED_PAD src0_sel:BYTE_3 src1_sel:DWORD
                                        ; implicit-def: $vgpr2
; %bb.6738:                             ;   in Loop: Header=BB6_5473 Depth=4
	s_andn2_saveexec_b64 s[30:31], vcc
; %bb.6739:                             ;   in Loop: Header=BB6_5473 Depth=4
	v_cmp_lt_i32_e32 vcc, -1, v2
	v_bfrev_b32_e32 v0, 0.5
	v_mov_b32_e32 v1, 0x7c
	v_cndmask_b32_e32 v50, v0, v1, vcc
; %bb.6740:                             ;   in Loop: Header=BB6_5473 Depth=4
	s_or_b64 exec, exec, s[30:31]
.LBB6_6741:                             ;   in Loop: Header=BB6_5473 Depth=4
	s_or_b64 exec, exec, s[28:29]
	v_lshrrev_b16_e32 v0, 8, v32
	v_cmp_ne_u16_e32 vcc, 0, v0
	v_mov_b32_e32 v1, 0
	s_and_saveexec_b64 s[28:29], vcc
	s_cbranch_execz .LBB6_6749
; %bb.6742:                             ;   in Loop: Header=BB6_5473 Depth=4
	v_cmp_ne_u16_e32 vcc, s97, v0
	v_bfrev_b32_e32 v1, 1
	s_and_saveexec_b64 s[30:31], vcc
	s_cbranch_execz .LBB6_6748
; %bb.6743:                             ;   in Loop: Header=BB6_5473 Depth=4
	v_and_b32_e32 v1, 0x7c, v0
	v_and_b32_e32 v2, 3, v0
	v_cmp_ne_u32_e32 vcc, s86, v1
                                        ; implicit-def: $vgpr1
	s_and_saveexec_b64 s[62:63], vcc
	s_xor_b64 s[34:35], exec, s[62:63]
	s_cbranch_execz .LBB6_6745
; %bb.6744:                             ;   in Loop: Header=BB6_5473 Depth=4
	v_ffbh_u32_e32 v8, v2
	v_min_u32_e32 v8, 32, v8
	v_mov_b32_e32 v1, v33
	v_subrev_u32_e32 v9, 29, v8
	v_bfe_u32 v7, v0, 2, 5
	v_lshlrev_b64 v[0:1], v9, v[0:1]
	v_cmp_eq_u32_e32 vcc, 0, v7
	v_and_b32_e32 v0, 3, v0
	v_sub_u32_e32 v1, 30, v8
	v_cndmask_b32_e32 v0, v2, v0, vcc
	v_lshlrev_b32_e32 v2, 16, v32
	v_cndmask_b32_e32 v1, v7, v1, vcc
	v_and_b32_e32 v2, 0x80000000, v2
	v_lshl_add_u32 v1, v1, 23, v2
	v_lshl_or_b32 v0, v0, 21, v1
	v_add_u32_e32 v1, 0x38000000, v0
                                        ; implicit-def: $vgpr2
.LBB6_6745:                             ;   in Loop: Header=BB6_5473 Depth=4
	s_andn2_saveexec_b64 s[34:35], s[34:35]
; %bb.6746:                             ;   in Loop: Header=BB6_5473 Depth=4
	v_cmp_lt_i16_e32 vcc, -1, v32
	v_mov_b32_e32 v0, 0xff800000
	v_mov_b32_e32 v1, 0x7f800000
	v_cndmask_b32_e32 v0, v0, v1, vcc
	v_cmp_eq_u32_e32 vcc, 0, v2
	v_mov_b32_e32 v1, 0x7f800001
	v_cndmask_b32_e32 v1, v1, v0, vcc
; %bb.6747:                             ;   in Loop: Header=BB6_5473 Depth=4
	s_or_b64 exec, exec, s[34:35]
.LBB6_6748:                             ;   in Loop: Header=BB6_5473 Depth=4
	s_or_b64 exec, exec, s[30:31]
.LBB6_6749:                             ;   in Loop: Header=BB6_5473 Depth=4
	s_or_b64 exec, exec, s[28:29]
	v_mul_f32_e32 v0, v12, v1
	v_and_b32_e32 v1, 0x7f800000, v0
	v_mov_b32_e32 v2, v33
	v_cmp_ne_u64_e32 vcc, s[76:77], v[1:2]
	v_and_b32_e32 v32, 0x7fffff, v0
                                        ; implicit-def: $vgpr1
                                        ; kill: killed $vgpr1
	s_and_saveexec_b64 s[28:29], vcc
	s_xor_b64 s[30:31], exec, s[28:29]
	s_cbranch_execz .LBB6_6763
; %bb.6750:                             ;   in Loop: Header=BB6_5473 Depth=4
	v_and_b32_e32 v1, 0x7fffffff, v0
	v_mov_b32_e32 v2, v33
	v_cmp_gt_u64_e32 vcc, s[78:79], v[1:2]
	v_and_b32_sdwa v7, v0, s97 dst_sel:DWORD dst_unused:UNUSED_PAD src0_sel:BYTE_3 src1_sel:DWORD
                                        ; implicit-def: $vgpr1
                                        ; kill: killed $vgpr1
	s_and_saveexec_b64 s[28:29], vcc
	s_xor_b64 s[34:35], exec, s[28:29]
	s_cbranch_execz .LBB6_6760
; %bb.6751:                             ;   in Loop: Header=BB6_5473 Depth=4
	v_mov_b32_e32 v1, 0
	v_cmp_ne_u32_e32 vcc, 0, v0
	buffer_store_dword v1, off, s[0:3], s33 offset:212 ; 4-byte Folded Spill
	s_and_saveexec_b64 s[36:37], vcc
	s_cbranch_execz .LBB6_6759
; %bb.6752:                             ;   in Loop: Header=BB6_5473 Depth=4
	v_bfe_u32 v8, v0, 23, 8
	v_cmp_gt_u32_e64 s[28:29], s47, v8
	v_sub_u32_e32 v0, 0x71, v8
	v_cmp_eq_u32_e32 vcc, 0, v8
	v_cndmask_b32_e64 v0, 0, v0, s[28:29]
	v_mov_b32_e32 v2, 0x70
	v_cndmask_b32_e32 v9, v0, v2, vcc
	v_add_u32_e32 v2, 21, v9
	v_or_b32_e32 v1, 0x800000, v32
	v_lshlrev_b64 v[13:14], v2, -1
	v_cndmask_b32_e32 v0, v1, v32, vcc
	v_mov_b32_e32 v1, v33
	v_add_u32_e32 v2, 20, v9
	v_bfi_b32 v13, v13, 0, v0
	v_lshlrev_b64 v[15:16], v2, 1
	v_lshrrev_b64 v[0:1], v9, v[0:1]
	v_bfi_b32 v14, v14, 0, 0
	v_cmp_eq_u64_e64 s[28:29], v[13:14], v[15:16]
	v_mov_b32_e32 v2, v1
	v_mov_b32_e32 v1, v0
	s_and_saveexec_b64 s[38:39], s[28:29]
; %bb.6753:                             ;   in Loop: Header=BB6_5473 Depth=4
	v_bfe_u32 v1, v0, 21, 1
	v_add_co_u32_e64 v1, s[28:29], v0, v1
	v_add_co_u32_e64 v1, s[28:29], -1, v1
; %bb.6754:                             ;   in Loop: Header=BB6_5473 Depth=4
	s_or_b64 exec, exec, s[38:39]
	v_add_u32_e32 v2, 0xffffff81, v8
	v_mov_b32_e32 v8, 0xffffff82
	v_cndmask_b32_e32 v2, v2, v8, vcc
	v_lshrrev_b32_e32 v8, 23, v0
	v_add3_u32 v9, v9, v2, v8
	v_add_u32_e32 v8, 14, v9
	v_and_b32_e32 v1, 0x1fffff, v1
	v_add_u32_e32 v32, v1, v0
	v_cmp_ne_u32_e32 vcc, 0, v8
                                        ; implicit-def: $vgpr0_vgpr1
                                        ; implicit-def: $vgpr2
	s_and_saveexec_b64 s[28:29], vcc
	s_xor_b64 s[28:29], exec, s[28:29]
; %bb.6755:                             ;   in Loop: Header=BB6_5473 Depth=4
	v_cmp_lt_u64_e32 vcc, s[88:89], v[32:33]
	v_add_u32_e32 v0, 15, v9
	v_cndmask_b32_e32 v2, v8, v0, vcc
	v_cndmask_b32_e64 v0, 0, 1, vcc
	v_lshrrev_b64 v[0:1], v0, v[32:33]
; %bb.6756:                             ;   in Loop: Header=BB6_5473 Depth=4
	s_andn2_saveexec_b64 s[28:29], s[28:29]
; %bb.6757:                             ;   in Loop: Header=BB6_5473 Depth=4
	v_mov_b32_e32 v0, v32
	v_mov_b32_e32 v1, v33
	v_bfe_u32 v2, v32, 23, 1
; %bb.6758:                             ;   in Loop: Header=BB6_5473 Depth=4
	s_or_b64 exec, exec, s[28:29]
	v_lshrrev_b64 v[0:1], 21, v[0:1]
	v_cmp_gt_i32_e32 vcc, 32, v2
	v_cndmask_b32_e32 v1, 0, v1, vcc
	v_cndmask_b32_e32 v0, 3, v0, vcc
	v_cmp_eq_u64_e64 s[28:29], 0, v[0:1]
	v_min_i32_e32 v1, 31, v2
	v_lshlrev_b32_e32 v1, 2, v1
	v_cmp_eq_u32_e32 vcc, 0, v2
	v_and_b32_e32 v1, 0xfc, v1
	v_and_or_b32 v0, v0, 3, v1
	s_and_b64 s[28:29], vcc, s[28:29]
	v_cndmask_b32_e64 v0, v0, 0, s[28:29]
	v_or_b32_e32 v0, v0, v7
	buffer_store_dword v0, off, s[0:3], s33 offset:212 ; 4-byte Folded Spill
.LBB6_6759:                             ;   in Loop: Header=BB6_5473 Depth=4
	s_or_b64 exec, exec, s[36:37]
                                        ; implicit-def: $vgpr7
.LBB6_6760:                             ;   in Loop: Header=BB6_5473 Depth=4
	s_andn2_saveexec_b64 s[28:29], s[34:35]
	s_cbranch_execz .LBB6_6762
; %bb.6761:                             ;   in Loop: Header=BB6_5473 Depth=4
	v_or_b32_e32 v0, 0x7b, v7
	buffer_store_dword v0, off, s[0:3], s33 offset:212 ; 4-byte Folded Spill
.LBB6_6762:                             ;   in Loop: Header=BB6_5473 Depth=4
	s_or_b64 exec, exec, s[28:29]
                                        ; implicit-def: $vgpr0
.LBB6_6763:                             ;   in Loop: Header=BB6_5473 Depth=4
	s_andn2_saveexec_b64 s[28:29], s[30:31]
	s_cbranch_execz .LBB6_6769
; %bb.6764:                             ;   in Loop: Header=BB6_5473 Depth=4
	v_cmp_ne_u64_e32 vcc, 0, v[32:33]
                                        ; implicit-def: $vgpr1
                                        ; kill: killed $vgpr1
	s_and_saveexec_b64 s[62:63], vcc
	s_xor_b64 vcc, exec, s[62:63]
	s_cbranch_execz .LBB6_6766
; %bb.6765:                             ;   in Loop: Header=BB6_5473 Depth=4
	v_or_b32_sdwa v0, v0, s44 dst_sel:DWORD dst_unused:UNUSED_PAD src0_sel:BYTE_3 src1_sel:DWORD
	buffer_store_dword v0, off, s[0:3], s33 offset:212 ; 4-byte Folded Spill
                                        ; implicit-def: $vgpr0
.LBB6_6766:                             ;   in Loop: Header=BB6_5473 Depth=4
	s_andn2_saveexec_b64 s[30:31], vcc
	s_cbranch_execz .LBB6_6768
; %bb.6767:                             ;   in Loop: Header=BB6_5473 Depth=4
	v_cmp_lt_i32_e32 vcc, -1, v0
	v_bfrev_b32_e32 v0, 0.5
	v_mov_b32_e32 v1, 0x7c
	v_cndmask_b32_e32 v0, v0, v1, vcc
	buffer_store_dword v0, off, s[0:3], s33 offset:212 ; 4-byte Folded Spill
.LBB6_6768:                             ;   in Loop: Header=BB6_5473 Depth=4
	s_or_b64 exec, exec, s[30:31]
.LBB6_6769:                             ;   in Loop: Header=BB6_5473 Depth=4
	s_or_b64 exec, exec, s[28:29]
	v_lshrrev_b32_e32 v0, 16, v11
	v_cmp_ne_u16_sdwa s[62:63], v0, v33 src0_sel:BYTE_0 src1_sel:DWORD
	v_mov_b32_e32 v1, 0
	s_and_saveexec_b64 s[28:29], s[62:63]
	s_cbranch_execz .LBB6_6777
; %bb.6770:                             ;   in Loop: Header=BB6_5473 Depth=4
	v_cmp_ne_u16_sdwa s[62:63], v0, s97 src0_sel:BYTE_0 src1_sel:DWORD
	v_bfrev_b32_e32 v1, 1
	s_and_saveexec_b64 s[30:31], s[62:63]
	s_cbranch_execz .LBB6_6776
; %bb.6771:                             ;   in Loop: Header=BB6_5473 Depth=4
	v_and_b32_e32 v1, 0x7c0000, v11
	v_bfe_u32 v2, v11, 16, 2
	v_cmp_ne_u32_e32 vcc, s45, v1
                                        ; implicit-def: $vgpr1
	s_and_saveexec_b64 s[62:63], vcc
	s_xor_b64 s[34:35], exec, s[62:63]
	s_cbranch_execz .LBB6_6773
; %bb.6772:                             ;   in Loop: Header=BB6_5473 Depth=4
	v_ffbh_u32_e32 v1, v2
	v_min_u32_e32 v8, 32, v1
	v_subrev_u32_e32 v1, 29, v8
	v_lshlrev_b64 v[0:1], v1, v[0:1]
	v_bfe_u32 v7, v11, 18, 5
	v_and_b32_e32 v0, 3, v0
	v_cmp_eq_u32_e32 vcc, 0, v7
	v_sub_u32_e32 v1, 30, v8
	v_cndmask_b32_e32 v0, v2, v0, vcc
	v_lshlrev_b32_e32 v2, 8, v11
	v_cndmask_b32_e32 v1, v7, v1, vcc
	v_and_b32_e32 v2, 0x80000000, v2
	v_lshl_add_u32 v1, v1, 23, v2
	v_lshl_or_b32 v0, v0, 21, v1
	v_add_u32_e32 v1, 0x38000000, v0
                                        ; implicit-def: $vgpr2
                                        ; implicit-def: $vgpr0
.LBB6_6773:                             ;   in Loop: Header=BB6_5473 Depth=4
	s_andn2_saveexec_b64 s[34:35], s[34:35]
; %bb.6774:                             ;   in Loop: Header=BB6_5473 Depth=4
	v_mov_b32_e32 v1, -1
	v_cmp_gt_i16_sdwa vcc, sext(v0), v1 src0_sel:BYTE_0 src1_sel:DWORD
	v_mov_b32_e32 v0, 0xff800000
	v_mov_b32_e32 v1, 0x7f800000
	v_cndmask_b32_e32 v0, v0, v1, vcc
	v_cmp_eq_u32_e32 vcc, 0, v2
	v_mov_b32_e32 v1, 0x7f800001
	v_cndmask_b32_e32 v1, v1, v0, vcc
; %bb.6775:                             ;   in Loop: Header=BB6_5473 Depth=4
	s_or_b64 exec, exec, s[34:35]
.LBB6_6776:                             ;   in Loop: Header=BB6_5473 Depth=4
	s_or_b64 exec, exec, s[30:31]
.LBB6_6777:                             ;   in Loop: Header=BB6_5473 Depth=4
	s_or_b64 exec, exec, s[28:29]
	v_mul_f32_e32 v0, v12, v1
	v_and_b32_e32 v1, 0x7f800000, v0
	v_mov_b32_e32 v2, v33
	v_cmp_ne_u64_e32 vcc, s[76:77], v[1:2]
	v_and_b32_e32 v32, 0x7fffff, v0
                                        ; implicit-def: $vgpr1
                                        ; kill: killed $vgpr1
	s_and_saveexec_b64 s[28:29], vcc
	s_xor_b64 s[30:31], exec, s[28:29]
	s_cbranch_execz .LBB6_6791
; %bb.6778:                             ;   in Loop: Header=BB6_5473 Depth=4
	v_and_b32_e32 v1, 0x7fffffff, v0
	v_mov_b32_e32 v2, v33
	v_cmp_gt_u64_e32 vcc, s[78:79], v[1:2]
	v_and_b32_sdwa v7, v0, s97 dst_sel:DWORD dst_unused:UNUSED_PAD src0_sel:BYTE_3 src1_sel:DWORD
                                        ; implicit-def: $vgpr1
                                        ; kill: killed $vgpr1
	s_and_saveexec_b64 s[28:29], vcc
	s_xor_b64 s[34:35], exec, s[28:29]
	s_cbranch_execz .LBB6_6788
; %bb.6779:                             ;   in Loop: Header=BB6_5473 Depth=4
	v_mov_b32_e32 v1, 0
	v_cmp_ne_u32_e32 vcc, 0, v0
	buffer_store_dword v1, off, s[0:3], s33 offset:236 ; 4-byte Folded Spill
	s_and_saveexec_b64 s[36:37], vcc
	s_cbranch_execz .LBB6_6787
; %bb.6780:                             ;   in Loop: Header=BB6_5473 Depth=4
	v_bfe_u32 v8, v0, 23, 8
	v_cmp_gt_u32_e64 s[28:29], s47, v8
	v_sub_u32_e32 v0, 0x71, v8
	v_cmp_eq_u32_e32 vcc, 0, v8
	v_cndmask_b32_e64 v0, 0, v0, s[28:29]
	v_mov_b32_e32 v2, 0x70
	v_cndmask_b32_e32 v9, v0, v2, vcc
	v_add_u32_e32 v2, 21, v9
	v_or_b32_e32 v1, 0x800000, v32
	v_lshlrev_b64 v[13:14], v2, -1
	v_cndmask_b32_e32 v0, v1, v32, vcc
	v_mov_b32_e32 v1, v33
	v_add_u32_e32 v2, 20, v9
	v_bfi_b32 v13, v13, 0, v0
	v_lshlrev_b64 v[15:16], v2, 1
	v_lshrrev_b64 v[0:1], v9, v[0:1]
	v_bfi_b32 v14, v14, 0, 0
	v_cmp_eq_u64_e64 s[28:29], v[13:14], v[15:16]
	v_mov_b32_e32 v2, v1
	v_mov_b32_e32 v1, v0
	s_and_saveexec_b64 s[38:39], s[28:29]
; %bb.6781:                             ;   in Loop: Header=BB6_5473 Depth=4
	v_bfe_u32 v1, v0, 21, 1
	v_add_co_u32_e64 v1, s[28:29], v0, v1
	v_add_co_u32_e64 v1, s[28:29], -1, v1
; %bb.6782:                             ;   in Loop: Header=BB6_5473 Depth=4
	s_or_b64 exec, exec, s[38:39]
	v_add_u32_e32 v2, 0xffffff81, v8
	v_mov_b32_e32 v8, 0xffffff82
	v_cndmask_b32_e32 v2, v2, v8, vcc
	v_lshrrev_b32_e32 v8, 23, v0
	v_add3_u32 v9, v9, v2, v8
	v_add_u32_e32 v8, 14, v9
	v_and_b32_e32 v1, 0x1fffff, v1
	v_add_u32_e32 v32, v1, v0
	v_cmp_ne_u32_e32 vcc, 0, v8
                                        ; implicit-def: $vgpr0_vgpr1
                                        ; implicit-def: $vgpr2
	s_and_saveexec_b64 s[28:29], vcc
	s_xor_b64 s[28:29], exec, s[28:29]
; %bb.6783:                             ;   in Loop: Header=BB6_5473 Depth=4
	v_cmp_lt_u64_e32 vcc, s[88:89], v[32:33]
	v_add_u32_e32 v0, 15, v9
	v_cndmask_b32_e32 v2, v8, v0, vcc
	v_cndmask_b32_e64 v0, 0, 1, vcc
	v_lshrrev_b64 v[0:1], v0, v[32:33]
; %bb.6784:                             ;   in Loop: Header=BB6_5473 Depth=4
	s_andn2_saveexec_b64 s[28:29], s[28:29]
; %bb.6785:                             ;   in Loop: Header=BB6_5473 Depth=4
	v_mov_b32_e32 v0, v32
	v_mov_b32_e32 v1, v33
	v_bfe_u32 v2, v32, 23, 1
; %bb.6786:                             ;   in Loop: Header=BB6_5473 Depth=4
	s_or_b64 exec, exec, s[28:29]
	v_lshrrev_b64 v[0:1], 21, v[0:1]
	v_cmp_gt_i32_e32 vcc, 32, v2
	v_cndmask_b32_e32 v1, 0, v1, vcc
	v_cndmask_b32_e32 v0, 3, v0, vcc
	v_cmp_eq_u64_e64 s[28:29], 0, v[0:1]
	v_min_i32_e32 v1, 31, v2
	v_lshlrev_b32_e32 v1, 2, v1
	v_cmp_eq_u32_e32 vcc, 0, v2
	v_and_b32_e32 v1, 0xfc, v1
	v_and_or_b32 v0, v0, 3, v1
	s_and_b64 s[28:29], vcc, s[28:29]
	v_cndmask_b32_e64 v0, v0, 0, s[28:29]
	v_or_b32_e32 v0, v0, v7
	buffer_store_dword v0, off, s[0:3], s33 offset:236 ; 4-byte Folded Spill
.LBB6_6787:                             ;   in Loop: Header=BB6_5473 Depth=4
	s_or_b64 exec, exec, s[36:37]
                                        ; implicit-def: $vgpr7
.LBB6_6788:                             ;   in Loop: Header=BB6_5473 Depth=4
	s_andn2_saveexec_b64 s[28:29], s[34:35]
	s_cbranch_execz .LBB6_6790
; %bb.6789:                             ;   in Loop: Header=BB6_5473 Depth=4
	v_or_b32_e32 v0, 0x7b, v7
	buffer_store_dword v0, off, s[0:3], s33 offset:236 ; 4-byte Folded Spill
.LBB6_6790:                             ;   in Loop: Header=BB6_5473 Depth=4
	s_or_b64 exec, exec, s[28:29]
                                        ; implicit-def: $vgpr0
.LBB6_6791:                             ;   in Loop: Header=BB6_5473 Depth=4
	s_andn2_saveexec_b64 s[28:29], s[30:31]
	s_cbranch_execz .LBB6_6797
; %bb.6792:                             ;   in Loop: Header=BB6_5473 Depth=4
	v_cmp_ne_u64_e32 vcc, 0, v[32:33]
                                        ; implicit-def: $vgpr1
                                        ; kill: killed $vgpr1
	s_and_saveexec_b64 s[62:63], vcc
	s_xor_b64 vcc, exec, s[62:63]
	s_cbranch_execz .LBB6_6794
; %bb.6793:                             ;   in Loop: Header=BB6_5473 Depth=4
	v_or_b32_sdwa v0, v0, s44 dst_sel:DWORD dst_unused:UNUSED_PAD src0_sel:BYTE_3 src1_sel:DWORD
	buffer_store_dword v0, off, s[0:3], s33 offset:236 ; 4-byte Folded Spill
                                        ; implicit-def: $vgpr0
.LBB6_6794:                             ;   in Loop: Header=BB6_5473 Depth=4
	s_andn2_saveexec_b64 s[30:31], vcc
	s_cbranch_execz .LBB6_6796
; %bb.6795:                             ;   in Loop: Header=BB6_5473 Depth=4
	v_cmp_lt_i32_e32 vcc, -1, v0
	v_bfrev_b32_e32 v0, 0.5
	v_mov_b32_e32 v1, 0x7c
	v_cndmask_b32_e32 v0, v0, v1, vcc
	buffer_store_dword v0, off, s[0:3], s33 offset:236 ; 4-byte Folded Spill
.LBB6_6796:                             ;   in Loop: Header=BB6_5473 Depth=4
	s_or_b64 exec, exec, s[30:31]
.LBB6_6797:                             ;   in Loop: Header=BB6_5473 Depth=4
	s_or_b64 exec, exec, s[28:29]
	v_cmp_lt_u64_e32 vcc, s[56:57], v[10:11]
	v_mov_b32_e32 v1, 0
	s_and_saveexec_b64 s[28:29], vcc
	s_cbranch_execz .LBB6_6805
; %bb.6798:                             ;   in Loop: Header=BB6_5473 Depth=4
	v_lshrrev_b32_e32 v0, 24, v11
	v_cmp_ne_u32_e32 vcc, s97, v0
	v_bfrev_b32_e32 v1, 1
	s_and_saveexec_b64 s[30:31], vcc
	s_cbranch_execz .LBB6_6804
; %bb.6799:                             ;   in Loop: Header=BB6_5473 Depth=4
	v_and_b32_e32 v1, 0x7c000000, v11
	v_bfe_u32 v2, v11, 24, 2
	v_cmp_ne_u32_e32 vcc, s68, v1
                                        ; implicit-def: $vgpr1
	s_and_saveexec_b64 s[62:63], vcc
	s_xor_b64 s[34:35], exec, s[62:63]
	s_cbranch_execz .LBB6_6801
; %bb.6800:                             ;   in Loop: Header=BB6_5473 Depth=4
	v_ffbh_u32_e32 v1, v2
	v_min_u32_e32 v8, 32, v1
	v_subrev_u32_e32 v1, 29, v8
	v_lshlrev_b64 v[0:1], v1, v[0:1]
	v_bfe_u32 v7, v11, 26, 5
	v_sub_u32_e32 v1, 30, v8
	v_and_b32_e32 v0, 3, v0
	v_cmp_eq_u32_e32 vcc, 0, v7
	v_cndmask_b32_e32 v1, v7, v1, vcc
	v_cndmask_b32_e32 v0, v2, v0, vcc
	v_and_b32_e32 v2, 0x80000000, v11
	v_lshl_add_u32 v1, v1, 23, v2
	v_lshl_or_b32 v0, v0, 21, v1
	v_add_u32_e32 v1, 0x38000000, v0
                                        ; implicit-def: $vgpr2
                                        ; implicit-def: $vgpr10_vgpr11
.LBB6_6801:                             ;   in Loop: Header=BB6_5473 Depth=4
	s_andn2_saveexec_b64 s[34:35], s[34:35]
; %bb.6802:                             ;   in Loop: Header=BB6_5473 Depth=4
	v_cmp_lt_i64_e32 vcc, -1, v[10:11]
	v_mov_b32_e32 v0, 0xff800000
	v_mov_b32_e32 v1, 0x7f800000
	v_cndmask_b32_e32 v0, v0, v1, vcc
	v_cmp_eq_u32_e32 vcc, 0, v2
	v_mov_b32_e32 v1, 0x7f800001
	v_cndmask_b32_e32 v1, v1, v0, vcc
; %bb.6803:                             ;   in Loop: Header=BB6_5473 Depth=4
	s_or_b64 exec, exec, s[34:35]
.LBB6_6804:                             ;   in Loop: Header=BB6_5473 Depth=4
	s_or_b64 exec, exec, s[30:31]
.LBB6_6805:                             ;   in Loop: Header=BB6_5473 Depth=4
	s_or_b64 exec, exec, s[28:29]
	v_mul_f32_e32 v0, v12, v1
	v_and_b32_e32 v1, 0x7f800000, v0
	v_mov_b32_e32 v2, v33
	v_cmp_ne_u64_e32 vcc, s[76:77], v[1:2]
	v_and_b32_e32 v32, 0x7fffff, v0
                                        ; implicit-def: $vgpr1
                                        ; kill: killed $vgpr1
	s_and_saveexec_b64 s[28:29], vcc
	s_xor_b64 s[30:31], exec, s[28:29]
	s_cbranch_execz .LBB6_6819
; %bb.6806:                             ;   in Loop: Header=BB6_5473 Depth=4
	v_and_b32_e32 v1, 0x7fffffff, v0
	v_mov_b32_e32 v2, v33
	v_cmp_gt_u64_e32 vcc, s[78:79], v[1:2]
	v_and_b32_sdwa v7, v0, s97 dst_sel:DWORD dst_unused:UNUSED_PAD src0_sel:BYTE_3 src1_sel:DWORD
                                        ; implicit-def: $vgpr1
                                        ; kill: killed $vgpr1
	s_and_saveexec_b64 s[28:29], vcc
	s_xor_b64 s[34:35], exec, s[28:29]
	s_cbranch_execz .LBB6_6816
; %bb.6807:                             ;   in Loop: Header=BB6_5473 Depth=4
	v_mov_b32_e32 v1, 0
	v_cmp_ne_u32_e32 vcc, 0, v0
	buffer_store_dword v1, off, s[0:3], s33 offset:268 ; 4-byte Folded Spill
	s_and_saveexec_b64 s[36:37], vcc
	s_cbranch_execz .LBB6_6815
; %bb.6808:                             ;   in Loop: Header=BB6_5473 Depth=4
	v_bfe_u32 v8, v0, 23, 8
	v_cmp_gt_u32_e64 s[28:29], s47, v8
	v_sub_u32_e32 v0, 0x71, v8
	v_cmp_eq_u32_e32 vcc, 0, v8
	v_cndmask_b32_e64 v0, 0, v0, s[28:29]
	v_mov_b32_e32 v2, 0x70
	v_cndmask_b32_e32 v9, v0, v2, vcc
	v_add_u32_e32 v2, 21, v9
	v_or_b32_e32 v1, 0x800000, v32
	v_lshlrev_b64 v[10:11], v2, -1
	v_cndmask_b32_e32 v0, v1, v32, vcc
	v_mov_b32_e32 v1, v33
	v_add_u32_e32 v2, 20, v9
	v_bfi_b32 v10, v10, 0, v0
	v_lshlrev_b64 v[13:14], v2, 1
	v_lshrrev_b64 v[0:1], v9, v[0:1]
	v_bfi_b32 v11, v11, 0, 0
	v_cmp_eq_u64_e64 s[28:29], v[10:11], v[13:14]
	v_mov_b32_e32 v2, v1
	v_mov_b32_e32 v1, v0
	s_and_saveexec_b64 s[38:39], s[28:29]
; %bb.6809:                             ;   in Loop: Header=BB6_5473 Depth=4
	v_bfe_u32 v1, v0, 21, 1
	v_add_co_u32_e64 v1, s[28:29], v0, v1
	v_add_co_u32_e64 v1, s[28:29], -1, v1
; %bb.6810:                             ;   in Loop: Header=BB6_5473 Depth=4
	s_or_b64 exec, exec, s[38:39]
	v_add_u32_e32 v2, 0xffffff81, v8
	v_mov_b32_e32 v8, 0xffffff82
	v_cndmask_b32_e32 v2, v2, v8, vcc
	v_lshrrev_b32_e32 v8, 23, v0
	v_add3_u32 v9, v9, v2, v8
	v_add_u32_e32 v8, 14, v9
	v_and_b32_e32 v1, 0x1fffff, v1
	v_add_u32_e32 v32, v1, v0
	v_cmp_ne_u32_e32 vcc, 0, v8
                                        ; implicit-def: $vgpr0_vgpr1
                                        ; implicit-def: $vgpr2
	s_and_saveexec_b64 s[28:29], vcc
	s_xor_b64 s[28:29], exec, s[28:29]
; %bb.6811:                             ;   in Loop: Header=BB6_5473 Depth=4
	v_cmp_lt_u64_e32 vcc, s[88:89], v[32:33]
	v_add_u32_e32 v0, 15, v9
	v_cndmask_b32_e32 v2, v8, v0, vcc
	v_cndmask_b32_e64 v0, 0, 1, vcc
	v_lshrrev_b64 v[0:1], v0, v[32:33]
; %bb.6812:                             ;   in Loop: Header=BB6_5473 Depth=4
	s_andn2_saveexec_b64 s[28:29], s[28:29]
; %bb.6813:                             ;   in Loop: Header=BB6_5473 Depth=4
	v_mov_b32_e32 v0, v32
	v_mov_b32_e32 v1, v33
	v_bfe_u32 v2, v32, 23, 1
; %bb.6814:                             ;   in Loop: Header=BB6_5473 Depth=4
	s_or_b64 exec, exec, s[28:29]
	v_lshrrev_b64 v[0:1], 21, v[0:1]
	v_cmp_gt_i32_e32 vcc, 32, v2
	v_cndmask_b32_e32 v1, 0, v1, vcc
	v_cndmask_b32_e32 v0, 3, v0, vcc
	v_cmp_eq_u64_e64 s[28:29], 0, v[0:1]
	v_min_i32_e32 v1, 31, v2
	v_lshlrev_b32_e32 v1, 2, v1
	v_cmp_eq_u32_e32 vcc, 0, v2
	v_and_b32_e32 v1, 0xfc, v1
	v_and_or_b32 v0, v0, 3, v1
	s_and_b64 s[28:29], vcc, s[28:29]
	v_cndmask_b32_e64 v0, v0, 0, s[28:29]
	v_or_b32_e32 v0, v0, v7
	buffer_store_dword v0, off, s[0:3], s33 offset:268 ; 4-byte Folded Spill
.LBB6_6815:                             ;   in Loop: Header=BB6_5473 Depth=4
	s_or_b64 exec, exec, s[36:37]
                                        ; implicit-def: $vgpr7
.LBB6_6816:                             ;   in Loop: Header=BB6_5473 Depth=4
	s_andn2_saveexec_b64 s[28:29], s[34:35]
	s_cbranch_execz .LBB6_6818
; %bb.6817:                             ;   in Loop: Header=BB6_5473 Depth=4
	v_or_b32_e32 v0, 0x7b, v7
	buffer_store_dword v0, off, s[0:3], s33 offset:268 ; 4-byte Folded Spill
.LBB6_6818:                             ;   in Loop: Header=BB6_5473 Depth=4
	s_or_b64 exec, exec, s[28:29]
                                        ; implicit-def: $vgpr0
.LBB6_6819:                             ;   in Loop: Header=BB6_5473 Depth=4
	s_andn2_saveexec_b64 s[28:29], s[30:31]
	s_cbranch_execz .LBB6_6825
; %bb.6820:                             ;   in Loop: Header=BB6_5473 Depth=4
	v_cmp_ne_u64_e32 vcc, 0, v[32:33]
                                        ; implicit-def: $vgpr1
                                        ; kill: killed $vgpr1
	s_and_saveexec_b64 s[62:63], vcc
	s_xor_b64 vcc, exec, s[62:63]
	s_cbranch_execz .LBB6_6822
; %bb.6821:                             ;   in Loop: Header=BB6_5473 Depth=4
	v_or_b32_sdwa v0, v0, s44 dst_sel:DWORD dst_unused:UNUSED_PAD src0_sel:BYTE_3 src1_sel:DWORD
	buffer_store_dword v0, off, s[0:3], s33 offset:268 ; 4-byte Folded Spill
                                        ; implicit-def: $vgpr0
.LBB6_6822:                             ;   in Loop: Header=BB6_5473 Depth=4
	s_andn2_saveexec_b64 s[30:31], vcc
	s_cbranch_execz .LBB6_6824
; %bb.6823:                             ;   in Loop: Header=BB6_5473 Depth=4
	v_cmp_lt_i32_e32 vcc, -1, v0
	v_bfrev_b32_e32 v0, 0.5
	v_mov_b32_e32 v1, 0x7c
	v_cndmask_b32_e32 v0, v0, v1, vcc
	buffer_store_dword v0, off, s[0:3], s33 offset:268 ; 4-byte Folded Spill
.LBB6_6824:                             ;   in Loop: Header=BB6_5473 Depth=4
	s_or_b64 exec, exec, s[30:31]
.LBB6_6825:                             ;   in Loop: Header=BB6_5473 Depth=4
	s_or_b64 exec, exec, s[28:29]
	global_load_dwordx4 v[8:11], v[26:27], off offset:3072 glc slc
	v_mov_b32_e32 v0, 0
	s_waitcnt vmcnt(0)
	v_cmp_ne_u16_sdwa s[62:63], v8, v33 src0_sel:BYTE_0 src1_sel:DWORD
	s_and_saveexec_b64 s[28:29], s[62:63]
	s_cbranch_execz .LBB6_6833
; %bb.6826:                             ;   in Loop: Header=BB6_5473 Depth=4
	v_cmp_ne_u16_sdwa s[62:63], sext(v8), s46 src0_sel:BYTE_0 src1_sel:DWORD
	v_bfrev_b32_e32 v0, 1
	s_and_saveexec_b64 s[30:31], s[62:63]
	s_cbranch_execz .LBB6_6832
; %bb.6827:                             ;   in Loop: Header=BB6_5473 Depth=4
	v_and_b32_e32 v0, 0x7c, v8
	v_and_b32_e32 v1, 3, v8
	v_cmp_ne_u32_e32 vcc, s86, v0
                                        ; implicit-def: $vgpr0
	s_and_saveexec_b64 s[62:63], vcc
	s_xor_b64 s[34:35], exec, s[62:63]
	s_cbranch_execz .LBB6_6829
; %bb.6828:                             ;   in Loop: Header=BB6_5473 Depth=4
	v_ffbh_u32_e32 v2, v1
	v_min_u32_e32 v2, 32, v2
	v_bfe_u32 v0, v8, 2, 5
	v_subrev_u32_e32 v7, 29, v2
	v_lshlrev_b64 v[13:14], v7, v[8:9]
	v_sub_u32_e32 v2, 30, v2
	v_cmp_eq_u32_e32 vcc, 0, v0
	v_cndmask_b32_e32 v0, v0, v2, vcc
	v_lshlrev_b32_e32 v2, 24, v8
	v_and_b32_e32 v7, 3, v13
	v_and_b32_e32 v2, 0x80000000, v2
	v_cndmask_b32_e32 v1, v1, v7, vcc
	v_lshl_add_u32 v0, v0, 23, v2
	v_lshl_or_b32 v0, v1, 21, v0
	v_add_u32_e32 v0, 0x38000000, v0
                                        ; implicit-def: $vgpr1
.LBB6_6829:                             ;   in Loop: Header=BB6_5473 Depth=4
	s_andn2_saveexec_b64 s[34:35], s[34:35]
; %bb.6830:                             ;   in Loop: Header=BB6_5473 Depth=4
	v_mov_b32_e32 v0, -1
	v_cmp_gt_i16_sdwa vcc, sext(v8), v0 src0_sel:BYTE_0 src1_sel:DWORD
	v_mov_b32_e32 v0, 0xff800000
	v_mov_b32_e32 v2, 0x7f800000
	v_cndmask_b32_e32 v0, v0, v2, vcc
	v_cmp_eq_u32_e32 vcc, 0, v1
	v_mov_b32_e32 v1, 0x7f800001
	v_cndmask_b32_e32 v0, v1, v0, vcc
; %bb.6831:                             ;   in Loop: Header=BB6_5473 Depth=4
	s_or_b64 exec, exec, s[34:35]
.LBB6_6832:                             ;   in Loop: Header=BB6_5473 Depth=4
	s_or_b64 exec, exec, s[30:31]
.LBB6_6833:                             ;   in Loop: Header=BB6_5473 Depth=4
	s_or_b64 exec, exec, s[28:29]
	v_mul_f32_e32 v0, v12, v0
	v_and_b32_e32 v1, 0x7f800000, v0
	v_mov_b32_e32 v2, v33
	v_cmp_ne_u64_e32 vcc, s[76:77], v[1:2]
	v_and_b32_e32 v32, 0x7fffff, v0
                                        ; implicit-def: $vgpr37
	s_and_saveexec_b64 s[28:29], vcc
	s_xor_b64 s[30:31], exec, s[28:29]
	s_cbranch_execz .LBB6_6847
; %bb.6834:                             ;   in Loop: Header=BB6_5473 Depth=4
	v_and_b32_e32 v1, 0x7fffffff, v0
	v_mov_b32_e32 v2, v33
	v_cmp_gt_u64_e32 vcc, s[78:79], v[1:2]
	v_and_b32_sdwa v7, v0, s97 dst_sel:DWORD dst_unused:UNUSED_PAD src0_sel:BYTE_3 src1_sel:DWORD
                                        ; implicit-def: $vgpr37
	s_and_saveexec_b64 s[28:29], vcc
	s_xor_b64 s[34:35], exec, s[28:29]
	s_cbranch_execz .LBB6_6844
; %bb.6835:                             ;   in Loop: Header=BB6_5473 Depth=4
	v_mov_b32_e32 v37, 0
	v_cmp_ne_u32_e32 vcc, 0, v0
	s_and_saveexec_b64 s[36:37], vcc
	s_cbranch_execz .LBB6_6843
; %bb.6836:                             ;   in Loop: Header=BB6_5473 Depth=4
	v_bfe_u32 v13, v0, 23, 8
	v_cmp_gt_u32_e64 s[28:29], s47, v13
	v_sub_u32_e32 v0, 0x71, v13
	v_cmp_eq_u32_e32 vcc, 0, v13
	v_cndmask_b32_e64 v0, 0, v0, s[28:29]
	v_mov_b32_e32 v2, 0x70
	v_cndmask_b32_e32 v14, v0, v2, vcc
	v_add_u32_e32 v2, 21, v14
	v_or_b32_e32 v1, 0x800000, v32
	v_lshlrev_b64 v[15:16], v2, -1
	v_cndmask_b32_e32 v0, v1, v32, vcc
	v_mov_b32_e32 v1, v33
	v_add_u32_e32 v2, 20, v14
	v_bfi_b32 v15, v15, 0, v0
	v_lshlrev_b64 v[17:18], v2, 1
	v_lshrrev_b64 v[0:1], v14, v[0:1]
	v_bfi_b32 v16, v16, 0, 0
	v_cmp_eq_u64_e64 s[28:29], v[15:16], v[17:18]
	v_mov_b32_e32 v2, v1
	v_mov_b32_e32 v1, v0
	s_and_saveexec_b64 s[38:39], s[28:29]
; %bb.6837:                             ;   in Loop: Header=BB6_5473 Depth=4
	v_bfe_u32 v1, v0, 21, 1
	v_add_co_u32_e64 v1, s[28:29], v0, v1
	v_add_co_u32_e64 v1, s[28:29], -1, v1
; %bb.6838:                             ;   in Loop: Header=BB6_5473 Depth=4
	s_or_b64 exec, exec, s[38:39]
	v_add_u32_e32 v2, 0xffffff81, v13
	v_mov_b32_e32 v13, 0xffffff82
	v_cndmask_b32_e32 v2, v2, v13, vcc
	v_lshrrev_b32_e32 v13, 23, v0
	v_add3_u32 v14, v14, v2, v13
	v_add_u32_e32 v13, 14, v14
	v_and_b32_e32 v1, 0x1fffff, v1
	v_add_u32_e32 v32, v1, v0
	v_cmp_ne_u32_e32 vcc, 0, v13
                                        ; implicit-def: $vgpr0_vgpr1
                                        ; implicit-def: $vgpr2
	s_and_saveexec_b64 s[28:29], vcc
	s_xor_b64 s[28:29], exec, s[28:29]
; %bb.6839:                             ;   in Loop: Header=BB6_5473 Depth=4
	v_cmp_lt_u64_e32 vcc, s[88:89], v[32:33]
	v_add_u32_e32 v0, 15, v14
	v_cndmask_b32_e32 v2, v13, v0, vcc
	v_cndmask_b32_e64 v0, 0, 1, vcc
	v_lshrrev_b64 v[0:1], v0, v[32:33]
; %bb.6840:                             ;   in Loop: Header=BB6_5473 Depth=4
	s_andn2_saveexec_b64 s[28:29], s[28:29]
; %bb.6841:                             ;   in Loop: Header=BB6_5473 Depth=4
	v_mov_b32_e32 v0, v32
	v_mov_b32_e32 v1, v33
	v_bfe_u32 v2, v32, 23, 1
; %bb.6842:                             ;   in Loop: Header=BB6_5473 Depth=4
	s_or_b64 exec, exec, s[28:29]
	v_lshrrev_b64 v[0:1], 21, v[0:1]
	v_cmp_gt_i32_e32 vcc, 32, v2
	v_cndmask_b32_e32 v1, 0, v1, vcc
	v_cndmask_b32_e32 v0, 3, v0, vcc
	v_cmp_eq_u64_e64 s[28:29], 0, v[0:1]
	v_min_i32_e32 v1, 31, v2
	v_lshlrev_b32_e32 v1, 2, v1
	v_cmp_eq_u32_e32 vcc, 0, v2
	v_and_b32_e32 v1, 0xfc, v1
	v_and_or_b32 v0, v0, 3, v1
	s_and_b64 s[28:29], vcc, s[28:29]
	v_cndmask_b32_e64 v0, v0, 0, s[28:29]
	v_or_b32_e32 v37, v0, v7
.LBB6_6843:                             ;   in Loop: Header=BB6_5473 Depth=4
	s_or_b64 exec, exec, s[36:37]
                                        ; implicit-def: $vgpr7
.LBB6_6844:                             ;   in Loop: Header=BB6_5473 Depth=4
	s_andn2_saveexec_b64 s[28:29], s[34:35]
; %bb.6845:                             ;   in Loop: Header=BB6_5473 Depth=4
	v_or_b32_e32 v37, 0x7b, v7
; %bb.6846:                             ;   in Loop: Header=BB6_5473 Depth=4
	s_or_b64 exec, exec, s[28:29]
                                        ; implicit-def: $vgpr0
.LBB6_6847:                             ;   in Loop: Header=BB6_5473 Depth=4
	s_andn2_saveexec_b64 s[28:29], s[30:31]
	s_cbranch_execz .LBB6_6853
; %bb.6848:                             ;   in Loop: Header=BB6_5473 Depth=4
	v_cmp_ne_u64_e32 vcc, 0, v[32:33]
                                        ; implicit-def: $vgpr37
	s_and_saveexec_b64 s[62:63], vcc
	s_xor_b64 vcc, exec, s[62:63]
; %bb.6849:                             ;   in Loop: Header=BB6_5473 Depth=4
	v_or_b32_sdwa v37, v0, s44 dst_sel:DWORD dst_unused:UNUSED_PAD src0_sel:BYTE_3 src1_sel:DWORD
                                        ; implicit-def: $vgpr0
; %bb.6850:                             ;   in Loop: Header=BB6_5473 Depth=4
	s_andn2_saveexec_b64 s[30:31], vcc
; %bb.6851:                             ;   in Loop: Header=BB6_5473 Depth=4
	v_cmp_lt_i32_e32 vcc, -1, v0
	v_bfrev_b32_e32 v0, 0.5
	v_mov_b32_e32 v1, 0x7c
	v_cndmask_b32_e32 v37, v0, v1, vcc
; %bb.6852:                             ;   in Loop: Header=BB6_5473 Depth=4
	s_or_b64 exec, exec, s[30:31]
.LBB6_6853:                             ;   in Loop: Header=BB6_5473 Depth=4
	s_or_b64 exec, exec, s[28:29]
	v_lshrrev_b16_e32 v0, 8, v8
	v_cmp_ne_u16_e32 vcc, 0, v0
	v_mov_b32_e32 v1, 0
	s_and_saveexec_b64 s[28:29], vcc
	s_cbranch_execz .LBB6_6861
; %bb.6854:                             ;   in Loop: Header=BB6_5473 Depth=4
	v_cmp_ne_u16_e32 vcc, s97, v0
	v_bfrev_b32_e32 v1, 1
	s_and_saveexec_b64 s[30:31], vcc
	s_cbranch_execz .LBB6_6860
; %bb.6855:                             ;   in Loop: Header=BB6_5473 Depth=4
	v_and_b32_e32 v1, 0x7c, v0
	v_and_b32_e32 v2, 3, v0
	v_cmp_ne_u32_e32 vcc, s86, v1
                                        ; implicit-def: $vgpr1
	s_and_saveexec_b64 s[62:63], vcc
	s_xor_b64 s[34:35], exec, s[62:63]
	s_cbranch_execz .LBB6_6857
; %bb.6856:                             ;   in Loop: Header=BB6_5473 Depth=4
	v_ffbh_u32_e32 v13, v2
	v_min_u32_e32 v13, 32, v13
	v_mov_b32_e32 v1, v33
	v_subrev_u32_e32 v14, 29, v13
	v_bfe_u32 v7, v0, 2, 5
	v_lshlrev_b64 v[0:1], v14, v[0:1]
	v_cmp_eq_u32_e32 vcc, 0, v7
	v_and_b32_e32 v0, 3, v0
	v_sub_u32_e32 v1, 30, v13
	v_cndmask_b32_e32 v0, v2, v0, vcc
	v_lshlrev_b32_e32 v2, 16, v8
	v_cndmask_b32_e32 v1, v7, v1, vcc
	v_and_b32_e32 v2, 0x80000000, v2
	v_lshl_add_u32 v1, v1, 23, v2
	v_lshl_or_b32 v0, v0, 21, v1
	v_add_u32_e32 v1, 0x38000000, v0
                                        ; implicit-def: $vgpr2
.LBB6_6857:                             ;   in Loop: Header=BB6_5473 Depth=4
	s_andn2_saveexec_b64 s[34:35], s[34:35]
; %bb.6858:                             ;   in Loop: Header=BB6_5473 Depth=4
	v_cmp_lt_i16_e32 vcc, -1, v8
	v_mov_b32_e32 v0, 0xff800000
	v_mov_b32_e32 v1, 0x7f800000
	v_cndmask_b32_e32 v0, v0, v1, vcc
	v_cmp_eq_u32_e32 vcc, 0, v2
	v_mov_b32_e32 v1, 0x7f800001
	v_cndmask_b32_e32 v1, v1, v0, vcc
; %bb.6859:                             ;   in Loop: Header=BB6_5473 Depth=4
	s_or_b64 exec, exec, s[34:35]
.LBB6_6860:                             ;   in Loop: Header=BB6_5473 Depth=4
	s_or_b64 exec, exec, s[30:31]
.LBB6_6861:                             ;   in Loop: Header=BB6_5473 Depth=4
	s_or_b64 exec, exec, s[28:29]
	v_mul_f32_e32 v0, v12, v1
	v_and_b32_e32 v1, 0x7f800000, v0
	v_mov_b32_e32 v2, v33
	v_cmp_ne_u64_e32 vcc, s[76:77], v[1:2]
	v_and_b32_e32 v32, 0x7fffff, v0
                                        ; implicit-def: $vgpr1
                                        ; kill: killed $vgpr1
	s_and_saveexec_b64 s[28:29], vcc
	s_xor_b64 s[30:31], exec, s[28:29]
	s_cbranch_execz .LBB6_6875
; %bb.6862:                             ;   in Loop: Header=BB6_5473 Depth=4
	v_and_b32_e32 v1, 0x7fffffff, v0
	v_mov_b32_e32 v2, v33
	v_cmp_gt_u64_e32 vcc, s[78:79], v[1:2]
	v_and_b32_sdwa v7, v0, s97 dst_sel:DWORD dst_unused:UNUSED_PAD src0_sel:BYTE_3 src1_sel:DWORD
                                        ; implicit-def: $vgpr1
                                        ; kill: killed $vgpr1
	s_and_saveexec_b64 s[28:29], vcc
	s_xor_b64 s[34:35], exec, s[28:29]
	s_cbranch_execz .LBB6_6872
; %bb.6863:                             ;   in Loop: Header=BB6_5473 Depth=4
	v_mov_b32_e32 v1, 0
	v_cmp_ne_u32_e32 vcc, 0, v0
	buffer_store_dword v1, off, s[0:3], s33 offset:180 ; 4-byte Folded Spill
	s_and_saveexec_b64 s[36:37], vcc
	s_cbranch_execz .LBB6_6871
; %bb.6864:                             ;   in Loop: Header=BB6_5473 Depth=4
	v_bfe_u32 v13, v0, 23, 8
	v_cmp_gt_u32_e64 s[28:29], s47, v13
	v_sub_u32_e32 v0, 0x71, v13
	v_cmp_eq_u32_e32 vcc, 0, v13
	v_cndmask_b32_e64 v0, 0, v0, s[28:29]
	v_mov_b32_e32 v2, 0x70
	v_cndmask_b32_e32 v14, v0, v2, vcc
	v_add_u32_e32 v2, 21, v14
	v_or_b32_e32 v1, 0x800000, v32
	v_lshlrev_b64 v[15:16], v2, -1
	v_cndmask_b32_e32 v0, v1, v32, vcc
	v_mov_b32_e32 v1, v33
	v_add_u32_e32 v2, 20, v14
	v_bfi_b32 v15, v15, 0, v0
	v_lshlrev_b64 v[17:18], v2, 1
	v_lshrrev_b64 v[0:1], v14, v[0:1]
	v_bfi_b32 v16, v16, 0, 0
	v_cmp_eq_u64_e64 s[28:29], v[15:16], v[17:18]
	v_mov_b32_e32 v2, v1
	v_mov_b32_e32 v1, v0
	s_and_saveexec_b64 s[38:39], s[28:29]
; %bb.6865:                             ;   in Loop: Header=BB6_5473 Depth=4
	v_bfe_u32 v1, v0, 21, 1
	v_add_co_u32_e64 v1, s[28:29], v0, v1
	v_add_co_u32_e64 v1, s[28:29], -1, v1
; %bb.6866:                             ;   in Loop: Header=BB6_5473 Depth=4
	s_or_b64 exec, exec, s[38:39]
	v_add_u32_e32 v2, 0xffffff81, v13
	v_mov_b32_e32 v13, 0xffffff82
	v_cndmask_b32_e32 v2, v2, v13, vcc
	v_lshrrev_b32_e32 v13, 23, v0
	v_add3_u32 v14, v14, v2, v13
	v_add_u32_e32 v13, 14, v14
	v_and_b32_e32 v1, 0x1fffff, v1
	v_add_u32_e32 v32, v1, v0
	v_cmp_ne_u32_e32 vcc, 0, v13
                                        ; implicit-def: $vgpr0_vgpr1
                                        ; implicit-def: $vgpr2
	s_and_saveexec_b64 s[28:29], vcc
	s_xor_b64 s[28:29], exec, s[28:29]
; %bb.6867:                             ;   in Loop: Header=BB6_5473 Depth=4
	v_cmp_lt_u64_e32 vcc, s[88:89], v[32:33]
	v_add_u32_e32 v0, 15, v14
	v_cndmask_b32_e32 v2, v13, v0, vcc
	v_cndmask_b32_e64 v0, 0, 1, vcc
	v_lshrrev_b64 v[0:1], v0, v[32:33]
; %bb.6868:                             ;   in Loop: Header=BB6_5473 Depth=4
	s_andn2_saveexec_b64 s[28:29], s[28:29]
; %bb.6869:                             ;   in Loop: Header=BB6_5473 Depth=4
	v_mov_b32_e32 v0, v32
	v_mov_b32_e32 v1, v33
	v_bfe_u32 v2, v32, 23, 1
; %bb.6870:                             ;   in Loop: Header=BB6_5473 Depth=4
	s_or_b64 exec, exec, s[28:29]
	v_lshrrev_b64 v[0:1], 21, v[0:1]
	v_cmp_gt_i32_e32 vcc, 32, v2
	v_cndmask_b32_e32 v1, 0, v1, vcc
	v_cndmask_b32_e32 v0, 3, v0, vcc
	v_cmp_eq_u64_e64 s[28:29], 0, v[0:1]
	v_min_i32_e32 v1, 31, v2
	v_lshlrev_b32_e32 v1, 2, v1
	v_cmp_eq_u32_e32 vcc, 0, v2
	v_and_b32_e32 v1, 0xfc, v1
	v_and_or_b32 v0, v0, 3, v1
	s_and_b64 s[28:29], vcc, s[28:29]
	v_cndmask_b32_e64 v0, v0, 0, s[28:29]
	v_or_b32_e32 v0, v0, v7
	buffer_store_dword v0, off, s[0:3], s33 offset:180 ; 4-byte Folded Spill
.LBB6_6871:                             ;   in Loop: Header=BB6_5473 Depth=4
	s_or_b64 exec, exec, s[36:37]
                                        ; implicit-def: $vgpr7
.LBB6_6872:                             ;   in Loop: Header=BB6_5473 Depth=4
	s_andn2_saveexec_b64 s[28:29], s[34:35]
	s_cbranch_execz .LBB6_6874
; %bb.6873:                             ;   in Loop: Header=BB6_5473 Depth=4
	v_or_b32_e32 v0, 0x7b, v7
	buffer_store_dword v0, off, s[0:3], s33 offset:180 ; 4-byte Folded Spill
.LBB6_6874:                             ;   in Loop: Header=BB6_5473 Depth=4
	s_or_b64 exec, exec, s[28:29]
                                        ; implicit-def: $vgpr0
.LBB6_6875:                             ;   in Loop: Header=BB6_5473 Depth=4
	s_andn2_saveexec_b64 s[28:29], s[30:31]
	s_cbranch_execz .LBB6_6881
; %bb.6876:                             ;   in Loop: Header=BB6_5473 Depth=4
	v_cmp_ne_u64_e32 vcc, 0, v[32:33]
                                        ; implicit-def: $vgpr1
                                        ; kill: killed $vgpr1
	s_and_saveexec_b64 s[62:63], vcc
	s_xor_b64 vcc, exec, s[62:63]
	s_cbranch_execz .LBB6_6878
; %bb.6877:                             ;   in Loop: Header=BB6_5473 Depth=4
	v_or_b32_sdwa v0, v0, s44 dst_sel:DWORD dst_unused:UNUSED_PAD src0_sel:BYTE_3 src1_sel:DWORD
	buffer_store_dword v0, off, s[0:3], s33 offset:180 ; 4-byte Folded Spill
                                        ; implicit-def: $vgpr0
.LBB6_6878:                             ;   in Loop: Header=BB6_5473 Depth=4
	s_andn2_saveexec_b64 s[30:31], vcc
	s_cbranch_execz .LBB6_6880
; %bb.6879:                             ;   in Loop: Header=BB6_5473 Depth=4
	v_cmp_lt_i32_e32 vcc, -1, v0
	v_bfrev_b32_e32 v0, 0.5
	v_mov_b32_e32 v1, 0x7c
	v_cndmask_b32_e32 v0, v0, v1, vcc
	buffer_store_dword v0, off, s[0:3], s33 offset:180 ; 4-byte Folded Spill
.LBB6_6880:                             ;   in Loop: Header=BB6_5473 Depth=4
	s_or_b64 exec, exec, s[30:31]
.LBB6_6881:                             ;   in Loop: Header=BB6_5473 Depth=4
	s_or_b64 exec, exec, s[28:29]
	v_lshrrev_b32_e32 v0, 16, v8
	v_cmp_ne_u16_sdwa s[62:63], v0, v33 src0_sel:BYTE_0 src1_sel:DWORD
	v_mov_b32_e32 v1, 0
	s_and_saveexec_b64 s[28:29], s[62:63]
	s_cbranch_execz .LBB6_6889
; %bb.6882:                             ;   in Loop: Header=BB6_5473 Depth=4
	v_cmp_ne_u16_sdwa s[62:63], v0, s97 src0_sel:BYTE_0 src1_sel:DWORD
	v_bfrev_b32_e32 v1, 1
	s_and_saveexec_b64 s[30:31], s[62:63]
	s_cbranch_execz .LBB6_6888
; %bb.6883:                             ;   in Loop: Header=BB6_5473 Depth=4
	v_and_b32_e32 v1, 0x7c0000, v8
	v_bfe_u32 v2, v8, 16, 2
	v_cmp_ne_u32_e32 vcc, s45, v1
                                        ; implicit-def: $vgpr1
	s_and_saveexec_b64 s[62:63], vcc
	s_xor_b64 s[34:35], exec, s[62:63]
	s_cbranch_execz .LBB6_6885
; %bb.6884:                             ;   in Loop: Header=BB6_5473 Depth=4
	v_ffbh_u32_e32 v1, v2
	v_min_u32_e32 v13, 32, v1
	v_subrev_u32_e32 v1, 29, v13
	v_lshlrev_b64 v[0:1], v1, v[0:1]
	v_bfe_u32 v7, v8, 18, 5
	v_and_b32_e32 v0, 3, v0
	v_cmp_eq_u32_e32 vcc, 0, v7
	v_sub_u32_e32 v1, 30, v13
	v_cndmask_b32_e32 v0, v2, v0, vcc
	v_lshlrev_b32_e32 v2, 8, v8
	v_cndmask_b32_e32 v1, v7, v1, vcc
	v_and_b32_e32 v2, 0x80000000, v2
	v_lshl_add_u32 v1, v1, 23, v2
	v_lshl_or_b32 v0, v0, 21, v1
	v_add_u32_e32 v1, 0x38000000, v0
                                        ; implicit-def: $vgpr2
                                        ; implicit-def: $vgpr0
.LBB6_6885:                             ;   in Loop: Header=BB6_5473 Depth=4
	s_andn2_saveexec_b64 s[34:35], s[34:35]
; %bb.6886:                             ;   in Loop: Header=BB6_5473 Depth=4
	v_mov_b32_e32 v1, -1
	v_cmp_gt_i16_sdwa vcc, sext(v0), v1 src0_sel:BYTE_0 src1_sel:DWORD
	v_mov_b32_e32 v0, 0xff800000
	v_mov_b32_e32 v1, 0x7f800000
	v_cndmask_b32_e32 v0, v0, v1, vcc
	v_cmp_eq_u32_e32 vcc, 0, v2
	v_mov_b32_e32 v1, 0x7f800001
	v_cndmask_b32_e32 v1, v1, v0, vcc
; %bb.6887:                             ;   in Loop: Header=BB6_5473 Depth=4
	s_or_b64 exec, exec, s[34:35]
.LBB6_6888:                             ;   in Loop: Header=BB6_5473 Depth=4
	s_or_b64 exec, exec, s[30:31]
.LBB6_6889:                             ;   in Loop: Header=BB6_5473 Depth=4
	s_or_b64 exec, exec, s[28:29]
	v_mul_f32_e32 v0, v12, v1
	v_and_b32_e32 v1, 0x7f800000, v0
	v_mov_b32_e32 v2, v33
	v_cmp_ne_u64_e32 vcc, s[76:77], v[1:2]
	v_and_b32_e32 v32, 0x7fffff, v0
                                        ; implicit-def: $vgpr1
                                        ; kill: killed $vgpr1
	s_and_saveexec_b64 s[28:29], vcc
	s_xor_b64 s[30:31], exec, s[28:29]
	s_cbranch_execz .LBB6_6903
; %bb.6890:                             ;   in Loop: Header=BB6_5473 Depth=4
	v_and_b32_e32 v1, 0x7fffffff, v0
	v_mov_b32_e32 v2, v33
	v_cmp_gt_u64_e32 vcc, s[78:79], v[1:2]
	v_and_b32_sdwa v7, v0, s97 dst_sel:DWORD dst_unused:UNUSED_PAD src0_sel:BYTE_3 src1_sel:DWORD
                                        ; implicit-def: $vgpr1
                                        ; kill: killed $vgpr1
	s_and_saveexec_b64 s[28:29], vcc
	s_xor_b64 s[34:35], exec, s[28:29]
	s_cbranch_execz .LBB6_6900
; %bb.6891:                             ;   in Loop: Header=BB6_5473 Depth=4
	v_mov_b32_e32 v1, 0
	v_cmp_ne_u32_e32 vcc, 0, v0
	buffer_store_dword v1, off, s[0:3], s33 offset:204 ; 4-byte Folded Spill
	s_and_saveexec_b64 s[36:37], vcc
	s_cbranch_execz .LBB6_6899
; %bb.6892:                             ;   in Loop: Header=BB6_5473 Depth=4
	v_bfe_u32 v13, v0, 23, 8
	v_cmp_gt_u32_e64 s[28:29], s47, v13
	v_sub_u32_e32 v0, 0x71, v13
	v_cmp_eq_u32_e32 vcc, 0, v13
	v_cndmask_b32_e64 v0, 0, v0, s[28:29]
	v_mov_b32_e32 v2, 0x70
	v_cndmask_b32_e32 v14, v0, v2, vcc
	v_add_u32_e32 v2, 21, v14
	v_or_b32_e32 v1, 0x800000, v32
	v_lshlrev_b64 v[15:16], v2, -1
	v_cndmask_b32_e32 v0, v1, v32, vcc
	v_mov_b32_e32 v1, v33
	v_add_u32_e32 v2, 20, v14
	v_bfi_b32 v15, v15, 0, v0
	v_lshlrev_b64 v[17:18], v2, 1
	v_lshrrev_b64 v[0:1], v14, v[0:1]
	v_bfi_b32 v16, v16, 0, 0
	v_cmp_eq_u64_e64 s[28:29], v[15:16], v[17:18]
	v_mov_b32_e32 v2, v1
	v_mov_b32_e32 v1, v0
	s_and_saveexec_b64 s[38:39], s[28:29]
; %bb.6893:                             ;   in Loop: Header=BB6_5473 Depth=4
	v_bfe_u32 v1, v0, 21, 1
	v_add_co_u32_e64 v1, s[28:29], v0, v1
	v_add_co_u32_e64 v1, s[28:29], -1, v1
; %bb.6894:                             ;   in Loop: Header=BB6_5473 Depth=4
	s_or_b64 exec, exec, s[38:39]
	v_add_u32_e32 v2, 0xffffff81, v13
	v_mov_b32_e32 v13, 0xffffff82
	v_cndmask_b32_e32 v2, v2, v13, vcc
	v_lshrrev_b32_e32 v13, 23, v0
	v_add3_u32 v14, v14, v2, v13
	v_add_u32_e32 v13, 14, v14
	v_and_b32_e32 v1, 0x1fffff, v1
	v_add_u32_e32 v32, v1, v0
	v_cmp_ne_u32_e32 vcc, 0, v13
                                        ; implicit-def: $vgpr0_vgpr1
                                        ; implicit-def: $vgpr2
	s_and_saveexec_b64 s[28:29], vcc
	s_xor_b64 s[28:29], exec, s[28:29]
; %bb.6895:                             ;   in Loop: Header=BB6_5473 Depth=4
	v_cmp_lt_u64_e32 vcc, s[88:89], v[32:33]
	v_add_u32_e32 v0, 15, v14
	v_cndmask_b32_e32 v2, v13, v0, vcc
	v_cndmask_b32_e64 v0, 0, 1, vcc
	v_lshrrev_b64 v[0:1], v0, v[32:33]
; %bb.6896:                             ;   in Loop: Header=BB6_5473 Depth=4
	s_andn2_saveexec_b64 s[28:29], s[28:29]
; %bb.6897:                             ;   in Loop: Header=BB6_5473 Depth=4
	v_mov_b32_e32 v0, v32
	v_mov_b32_e32 v1, v33
	v_bfe_u32 v2, v32, 23, 1
; %bb.6898:                             ;   in Loop: Header=BB6_5473 Depth=4
	s_or_b64 exec, exec, s[28:29]
	v_lshrrev_b64 v[0:1], 21, v[0:1]
	v_cmp_gt_i32_e32 vcc, 32, v2
	v_cndmask_b32_e32 v1, 0, v1, vcc
	v_cndmask_b32_e32 v0, 3, v0, vcc
	v_cmp_eq_u64_e64 s[28:29], 0, v[0:1]
	v_min_i32_e32 v1, 31, v2
	v_lshlrev_b32_e32 v1, 2, v1
	v_cmp_eq_u32_e32 vcc, 0, v2
	v_and_b32_e32 v1, 0xfc, v1
	v_and_or_b32 v0, v0, 3, v1
	s_and_b64 s[28:29], vcc, s[28:29]
	v_cndmask_b32_e64 v0, v0, 0, s[28:29]
	v_or_b32_e32 v0, v0, v7
	buffer_store_dword v0, off, s[0:3], s33 offset:204 ; 4-byte Folded Spill
.LBB6_6899:                             ;   in Loop: Header=BB6_5473 Depth=4
	s_or_b64 exec, exec, s[36:37]
                                        ; implicit-def: $vgpr7
.LBB6_6900:                             ;   in Loop: Header=BB6_5473 Depth=4
	s_andn2_saveexec_b64 s[28:29], s[34:35]
	s_cbranch_execz .LBB6_6902
; %bb.6901:                             ;   in Loop: Header=BB6_5473 Depth=4
	v_or_b32_e32 v0, 0x7b, v7
	buffer_store_dword v0, off, s[0:3], s33 offset:204 ; 4-byte Folded Spill
.LBB6_6902:                             ;   in Loop: Header=BB6_5473 Depth=4
	s_or_b64 exec, exec, s[28:29]
                                        ; implicit-def: $vgpr0
.LBB6_6903:                             ;   in Loop: Header=BB6_5473 Depth=4
	s_andn2_saveexec_b64 s[28:29], s[30:31]
	s_cbranch_execz .LBB6_6909
; %bb.6904:                             ;   in Loop: Header=BB6_5473 Depth=4
	v_cmp_ne_u64_e32 vcc, 0, v[32:33]
                                        ; implicit-def: $vgpr1
                                        ; kill: killed $vgpr1
	s_and_saveexec_b64 s[62:63], vcc
	s_xor_b64 vcc, exec, s[62:63]
	s_cbranch_execz .LBB6_6906
; %bb.6905:                             ;   in Loop: Header=BB6_5473 Depth=4
	v_or_b32_sdwa v0, v0, s44 dst_sel:DWORD dst_unused:UNUSED_PAD src0_sel:BYTE_3 src1_sel:DWORD
	buffer_store_dword v0, off, s[0:3], s33 offset:204 ; 4-byte Folded Spill
                                        ; implicit-def: $vgpr0
.LBB6_6906:                             ;   in Loop: Header=BB6_5473 Depth=4
	s_andn2_saveexec_b64 s[30:31], vcc
	s_cbranch_execz .LBB6_6908
; %bb.6907:                             ;   in Loop: Header=BB6_5473 Depth=4
	v_cmp_lt_i32_e32 vcc, -1, v0
	v_bfrev_b32_e32 v0, 0.5
	v_mov_b32_e32 v1, 0x7c
	v_cndmask_b32_e32 v0, v0, v1, vcc
	buffer_store_dword v0, off, s[0:3], s33 offset:204 ; 4-byte Folded Spill
.LBB6_6908:                             ;   in Loop: Header=BB6_5473 Depth=4
	s_or_b64 exec, exec, s[30:31]
.LBB6_6909:                             ;   in Loop: Header=BB6_5473 Depth=4
	s_or_b64 exec, exec, s[28:29]
	v_cmp_lt_u32_e32 vcc, s57, v8
	v_mov_b32_e32 v1, 0
	s_and_saveexec_b64 s[28:29], vcc
	s_cbranch_execz .LBB6_6917
; %bb.6910:                             ;   in Loop: Header=BB6_5473 Depth=4
	v_lshrrev_b32_e32 v0, 24, v8
	v_cmp_ne_u32_e32 vcc, s97, v0
	v_bfrev_b32_e32 v1, 1
	s_and_saveexec_b64 s[30:31], vcc
	s_cbranch_execz .LBB6_6916
; %bb.6911:                             ;   in Loop: Header=BB6_5473 Depth=4
	v_and_b32_e32 v1, 0x7c000000, v8
	v_bfe_u32 v2, v8, 24, 2
	v_cmp_ne_u32_e32 vcc, s68, v1
                                        ; implicit-def: $vgpr1
	s_and_saveexec_b64 s[62:63], vcc
	s_xor_b64 s[34:35], exec, s[62:63]
	s_cbranch_execz .LBB6_6913
; %bb.6912:                             ;   in Loop: Header=BB6_5473 Depth=4
	v_ffbh_u32_e32 v1, v2
	v_min_u32_e32 v13, 32, v1
	v_subrev_u32_e32 v1, 29, v13
	v_lshlrev_b64 v[0:1], v1, v[0:1]
	v_bfe_u32 v7, v8, 26, 5
	v_sub_u32_e32 v1, 30, v13
	v_and_b32_e32 v0, 3, v0
	v_cmp_eq_u32_e32 vcc, 0, v7
	v_cndmask_b32_e32 v1, v7, v1, vcc
	v_cndmask_b32_e32 v0, v2, v0, vcc
	v_and_b32_e32 v2, 0x80000000, v8
	v_lshl_add_u32 v1, v1, 23, v2
	v_lshl_or_b32 v0, v0, 21, v1
	v_add_u32_e32 v1, 0x38000000, v0
                                        ; implicit-def: $vgpr2
.LBB6_6913:                             ;   in Loop: Header=BB6_5473 Depth=4
	s_andn2_saveexec_b64 s[34:35], s[34:35]
; %bb.6914:                             ;   in Loop: Header=BB6_5473 Depth=4
	v_cmp_lt_i32_e32 vcc, -1, v8
	v_mov_b32_e32 v0, 0xff800000
	v_mov_b32_e32 v1, 0x7f800000
	v_cndmask_b32_e32 v0, v0, v1, vcc
	v_cmp_eq_u32_e32 vcc, 0, v2
	v_mov_b32_e32 v1, 0x7f800001
	v_cndmask_b32_e32 v1, v1, v0, vcc
; %bb.6915:                             ;   in Loop: Header=BB6_5473 Depth=4
	s_or_b64 exec, exec, s[34:35]
.LBB6_6916:                             ;   in Loop: Header=BB6_5473 Depth=4
	s_or_b64 exec, exec, s[30:31]
.LBB6_6917:                             ;   in Loop: Header=BB6_5473 Depth=4
	s_or_b64 exec, exec, s[28:29]
	v_mul_f32_e32 v0, v12, v1
	v_and_b32_e32 v1, 0x7f800000, v0
	v_mov_b32_e32 v2, v33
	v_cmp_ne_u64_e32 vcc, s[76:77], v[1:2]
	v_and_b32_e32 v32, 0x7fffff, v0
                                        ; implicit-def: $vgpr1
                                        ; kill: killed $vgpr1
	s_and_saveexec_b64 s[28:29], vcc
	s_xor_b64 s[30:31], exec, s[28:29]
	s_cbranch_execz .LBB6_6931
; %bb.6918:                             ;   in Loop: Header=BB6_5473 Depth=4
	v_and_b32_e32 v1, 0x7fffffff, v0
	v_mov_b32_e32 v2, v33
	v_cmp_gt_u64_e32 vcc, s[78:79], v[1:2]
	v_and_b32_sdwa v7, v0, s97 dst_sel:DWORD dst_unused:UNUSED_PAD src0_sel:BYTE_3 src1_sel:DWORD
                                        ; implicit-def: $vgpr1
                                        ; kill: killed $vgpr1
	s_and_saveexec_b64 s[28:29], vcc
	s_xor_b64 s[34:35], exec, s[28:29]
	s_cbranch_execz .LBB6_6928
; %bb.6919:                             ;   in Loop: Header=BB6_5473 Depth=4
	v_mov_b32_e32 v1, 0
	v_cmp_ne_u32_e32 vcc, 0, v0
	buffer_store_dword v1, off, s[0:3], s33 offset:228 ; 4-byte Folded Spill
	s_and_saveexec_b64 s[36:37], vcc
	s_cbranch_execz .LBB6_6927
; %bb.6920:                             ;   in Loop: Header=BB6_5473 Depth=4
	v_bfe_u32 v13, v0, 23, 8
	v_cmp_gt_u32_e64 s[28:29], s47, v13
	v_sub_u32_e32 v0, 0x71, v13
	v_cmp_eq_u32_e32 vcc, 0, v13
	v_cndmask_b32_e64 v0, 0, v0, s[28:29]
	v_mov_b32_e32 v2, 0x70
	v_cndmask_b32_e32 v14, v0, v2, vcc
	v_add_u32_e32 v2, 21, v14
	v_or_b32_e32 v1, 0x800000, v32
	v_lshlrev_b64 v[15:16], v2, -1
	v_cndmask_b32_e32 v0, v1, v32, vcc
	v_mov_b32_e32 v1, v33
	v_add_u32_e32 v2, 20, v14
	v_bfi_b32 v15, v15, 0, v0
	v_lshlrev_b64 v[17:18], v2, 1
	v_lshrrev_b64 v[0:1], v14, v[0:1]
	v_bfi_b32 v16, v16, 0, 0
	v_cmp_eq_u64_e64 s[28:29], v[15:16], v[17:18]
	v_mov_b32_e32 v2, v1
	v_mov_b32_e32 v1, v0
	s_and_saveexec_b64 s[38:39], s[28:29]
; %bb.6921:                             ;   in Loop: Header=BB6_5473 Depth=4
	v_bfe_u32 v1, v0, 21, 1
	v_add_co_u32_e64 v1, s[28:29], v0, v1
	v_add_co_u32_e64 v1, s[28:29], -1, v1
; %bb.6922:                             ;   in Loop: Header=BB6_5473 Depth=4
	s_or_b64 exec, exec, s[38:39]
	v_add_u32_e32 v2, 0xffffff81, v13
	v_mov_b32_e32 v13, 0xffffff82
	v_cndmask_b32_e32 v2, v2, v13, vcc
	v_lshrrev_b32_e32 v13, 23, v0
	v_add3_u32 v14, v14, v2, v13
	v_add_u32_e32 v13, 14, v14
	v_and_b32_e32 v1, 0x1fffff, v1
	v_add_u32_e32 v32, v1, v0
	v_cmp_ne_u32_e32 vcc, 0, v13
                                        ; implicit-def: $vgpr0_vgpr1
                                        ; implicit-def: $vgpr2
	s_and_saveexec_b64 s[28:29], vcc
	s_xor_b64 s[28:29], exec, s[28:29]
; %bb.6923:                             ;   in Loop: Header=BB6_5473 Depth=4
	v_cmp_lt_u64_e32 vcc, s[88:89], v[32:33]
	v_add_u32_e32 v0, 15, v14
	v_cndmask_b32_e32 v2, v13, v0, vcc
	v_cndmask_b32_e64 v0, 0, 1, vcc
	v_lshrrev_b64 v[0:1], v0, v[32:33]
; %bb.6924:                             ;   in Loop: Header=BB6_5473 Depth=4
	s_andn2_saveexec_b64 s[28:29], s[28:29]
; %bb.6925:                             ;   in Loop: Header=BB6_5473 Depth=4
	v_mov_b32_e32 v0, v32
	v_mov_b32_e32 v1, v33
	v_bfe_u32 v2, v32, 23, 1
; %bb.6926:                             ;   in Loop: Header=BB6_5473 Depth=4
	s_or_b64 exec, exec, s[28:29]
	v_lshrrev_b64 v[0:1], 21, v[0:1]
	v_cmp_gt_i32_e32 vcc, 32, v2
	v_cndmask_b32_e32 v1, 0, v1, vcc
	v_cndmask_b32_e32 v0, 3, v0, vcc
	v_cmp_eq_u64_e64 s[28:29], 0, v[0:1]
	v_min_i32_e32 v1, 31, v2
	v_lshlrev_b32_e32 v1, 2, v1
	v_cmp_eq_u32_e32 vcc, 0, v2
	v_and_b32_e32 v1, 0xfc, v1
	v_and_or_b32 v0, v0, 3, v1
	s_and_b64 s[28:29], vcc, s[28:29]
	v_cndmask_b32_e64 v0, v0, 0, s[28:29]
	v_or_b32_e32 v0, v0, v7
	buffer_store_dword v0, off, s[0:3], s33 offset:228 ; 4-byte Folded Spill
.LBB6_6927:                             ;   in Loop: Header=BB6_5473 Depth=4
	s_or_b64 exec, exec, s[36:37]
                                        ; implicit-def: $vgpr7
.LBB6_6928:                             ;   in Loop: Header=BB6_5473 Depth=4
	s_andn2_saveexec_b64 s[28:29], s[34:35]
	s_cbranch_execz .LBB6_6930
; %bb.6929:                             ;   in Loop: Header=BB6_5473 Depth=4
	v_or_b32_e32 v0, 0x7b, v7
	buffer_store_dword v0, off, s[0:3], s33 offset:228 ; 4-byte Folded Spill
.LBB6_6930:                             ;   in Loop: Header=BB6_5473 Depth=4
	s_or_b64 exec, exec, s[28:29]
                                        ; implicit-def: $vgpr0
.LBB6_6931:                             ;   in Loop: Header=BB6_5473 Depth=4
	s_andn2_saveexec_b64 s[28:29], s[30:31]
	s_cbranch_execz .LBB6_6937
; %bb.6932:                             ;   in Loop: Header=BB6_5473 Depth=4
	v_cmp_ne_u64_e32 vcc, 0, v[32:33]
                                        ; implicit-def: $vgpr1
                                        ; kill: killed $vgpr1
	s_and_saveexec_b64 s[62:63], vcc
	s_xor_b64 vcc, exec, s[62:63]
	s_cbranch_execz .LBB6_6934
; %bb.6933:                             ;   in Loop: Header=BB6_5473 Depth=4
	v_or_b32_sdwa v0, v0, s44 dst_sel:DWORD dst_unused:UNUSED_PAD src0_sel:BYTE_3 src1_sel:DWORD
	buffer_store_dword v0, off, s[0:3], s33 offset:228 ; 4-byte Folded Spill
                                        ; implicit-def: $vgpr0
.LBB6_6934:                             ;   in Loop: Header=BB6_5473 Depth=4
	s_andn2_saveexec_b64 s[30:31], vcc
	s_cbranch_execz .LBB6_6936
; %bb.6935:                             ;   in Loop: Header=BB6_5473 Depth=4
	v_cmp_lt_i32_e32 vcc, -1, v0
	v_bfrev_b32_e32 v0, 0.5
	v_mov_b32_e32 v1, 0x7c
	v_cndmask_b32_e32 v0, v0, v1, vcc
	buffer_store_dword v0, off, s[0:3], s33 offset:228 ; 4-byte Folded Spill
.LBB6_6936:                             ;   in Loop: Header=BB6_5473 Depth=4
	s_or_b64 exec, exec, s[30:31]
.LBB6_6937:                             ;   in Loop: Header=BB6_5473 Depth=4
	s_or_b64 exec, exec, s[28:29]
	v_mov_b32_e32 v32, v9
	v_cmp_ne_u16_sdwa s[62:63], v9, v33 src0_sel:BYTE_0 src1_sel:DWORD
	v_mov_b32_e32 v0, 0
	s_and_saveexec_b64 s[28:29], s[62:63]
	s_cbranch_execz .LBB6_6945
; %bb.6938:                             ;   in Loop: Header=BB6_5473 Depth=4
	v_cmp_ne_u16_sdwa s[62:63], v9, s97 src0_sel:BYTE_0 src1_sel:DWORD
	v_bfrev_b32_e32 v0, 1
	s_and_saveexec_b64 s[30:31], s[62:63]
	s_cbranch_execz .LBB6_6944
; %bb.6939:                             ;   in Loop: Header=BB6_5473 Depth=4
	v_and_b32_e32 v0, 0x7c, v9
	v_and_b32_e32 v1, 3, v9
	v_cmp_ne_u32_e32 vcc, s86, v0
                                        ; implicit-def: $vgpr0
	s_and_saveexec_b64 s[62:63], vcc
	s_xor_b64 s[34:35], exec, s[62:63]
	s_cbranch_execz .LBB6_6941
; %bb.6940:                             ;   in Loop: Header=BB6_5473 Depth=4
	v_ffbh_u32_e32 v2, v1
	v_min_u32_e32 v2, 32, v2
	v_bfe_u32 v0, v9, 2, 5
	v_subrev_u32_e32 v7, 29, v2
	v_lshlrev_b64 v[13:14], v7, v[32:33]
	v_sub_u32_e32 v2, 30, v2
	v_cmp_eq_u32_e32 vcc, 0, v0
	v_cndmask_b32_e32 v0, v0, v2, vcc
	v_lshlrev_b32_e32 v2, 24, v9
	v_and_b32_e32 v7, 3, v13
	v_and_b32_e32 v2, 0x80000000, v2
	v_cndmask_b32_e32 v1, v1, v7, vcc
	v_lshl_add_u32 v0, v0, 23, v2
	v_lshl_or_b32 v0, v1, 21, v0
	v_add_u32_e32 v0, 0x38000000, v0
                                        ; implicit-def: $vgpr1
.LBB6_6941:                             ;   in Loop: Header=BB6_5473 Depth=4
	s_andn2_saveexec_b64 s[34:35], s[34:35]
; %bb.6942:                             ;   in Loop: Header=BB6_5473 Depth=4
	v_mov_b32_e32 v0, -1
	v_cmp_gt_i16_sdwa vcc, sext(v9), v0 src0_sel:BYTE_0 src1_sel:DWORD
	v_mov_b32_e32 v0, 0xff800000
	v_mov_b32_e32 v2, 0x7f800000
	v_cndmask_b32_e32 v0, v0, v2, vcc
	v_cmp_eq_u32_e32 vcc, 0, v1
	v_mov_b32_e32 v1, 0x7f800001
	v_cndmask_b32_e32 v0, v1, v0, vcc
; %bb.6943:                             ;   in Loop: Header=BB6_5473 Depth=4
	s_or_b64 exec, exec, s[34:35]
.LBB6_6944:                             ;   in Loop: Header=BB6_5473 Depth=4
	s_or_b64 exec, exec, s[30:31]
.LBB6_6945:                             ;   in Loop: Header=BB6_5473 Depth=4
	s_or_b64 exec, exec, s[28:29]
	v_mul_f32_e32 v2, v12, v0
	v_and_b32_e32 v13, 0x7f800000, v2
	v_mov_b32_e32 v14, v33
	v_cmp_ne_u64_e32 vcc, s[76:77], v[13:14]
	v_and_b32_e32 v0, 0x7fffff, v2
	v_mov_b32_e32 v1, v33
                                        ; implicit-def: $vgpr34
	s_and_saveexec_b64 s[28:29], vcc
	s_xor_b64 s[30:31], exec, s[28:29]
	s_cbranch_execz .LBB6_6959
; %bb.6946:                             ;   in Loop: Header=BB6_5473 Depth=4
	v_and_b32_e32 v13, 0x7fffffff, v2
	v_mov_b32_e32 v14, v33
	v_cmp_gt_u64_e32 vcc, s[78:79], v[13:14]
	v_and_b32_sdwa v7, v2, s97 dst_sel:DWORD dst_unused:UNUSED_PAD src0_sel:BYTE_3 src1_sel:DWORD
                                        ; implicit-def: $vgpr34
	s_and_saveexec_b64 s[28:29], vcc
	s_xor_b64 s[34:35], exec, s[28:29]
	s_cbranch_execz .LBB6_6956
; %bb.6947:                             ;   in Loop: Header=BB6_5473 Depth=4
	v_mov_b32_e32 v34, 0
	v_cmp_ne_u32_e32 vcc, 0, v2
	s_and_saveexec_b64 s[36:37], vcc
	s_cbranch_execz .LBB6_6955
; %bb.6948:                             ;   in Loop: Header=BB6_5473 Depth=4
	v_bfe_u32 v13, v2, 23, 8
	v_cmp_gt_u32_e64 s[28:29], s47, v13
	v_sub_u32_e32 v2, 0x71, v13
	v_cmp_eq_u32_e32 vcc, 0, v13
	v_cndmask_b32_e64 v2, 0, v2, s[28:29]
	v_mov_b32_e32 v14, 0x70
	v_cndmask_b32_e32 v14, v2, v14, vcc
	v_or_b32_e32 v15, 0x800000, v0
	v_add_u32_e32 v2, 21, v14
	v_cndmask_b32_e32 v0, v15, v0, vcc
	v_lshlrev_b64 v[15:16], v2, -1
	v_add_u32_e32 v2, 20, v14
	v_bfi_b32 v15, v15, 0, v0
	v_lshlrev_b64 v[17:18], v2, 1
	v_lshrrev_b64 v[0:1], v14, v[0:1]
	v_bfi_b32 v16, v16, 0, 0
	v_cmp_eq_u64_e64 s[28:29], v[15:16], v[17:18]
	v_mov_b32_e32 v2, v1
	v_mov_b32_e32 v1, v0
	s_and_saveexec_b64 s[38:39], s[28:29]
; %bb.6949:                             ;   in Loop: Header=BB6_5473 Depth=4
	v_bfe_u32 v1, v0, 21, 1
	v_add_co_u32_e64 v1, s[28:29], v0, v1
	v_add_co_u32_e64 v1, s[28:29], -1, v1
; %bb.6950:                             ;   in Loop: Header=BB6_5473 Depth=4
	s_or_b64 exec, exec, s[38:39]
	v_add_u32_e32 v2, 0xffffff81, v13
	v_mov_b32_e32 v13, 0xffffff82
	v_cndmask_b32_e32 v2, v2, v13, vcc
	v_lshrrev_b32_e32 v13, 23, v0
	v_add3_u32 v14, v14, v2, v13
	v_add_u32_e32 v13, 14, v14
	v_and_b32_e32 v1, 0x1fffff, v1
	v_add_u32_e32 v0, v1, v0
	v_mov_b32_e32 v1, v33
	v_cmp_ne_u32_e32 vcc, 0, v13
                                        ; implicit-def: $vgpr2
	s_and_saveexec_b64 s[28:29], vcc
	s_xor_b64 s[28:29], exec, s[28:29]
; %bb.6951:                             ;   in Loop: Header=BB6_5473 Depth=4
	v_cmp_lt_u64_e32 vcc, s[88:89], v[0:1]
	v_add_u32_e32 v2, 15, v14
	v_cndmask_b32_e32 v2, v13, v2, vcc
	v_cndmask_b32_e64 v13, 0, 1, vcc
	v_lshrrev_b64 v[0:1], v13, v[0:1]
; %bb.6952:                             ;   in Loop: Header=BB6_5473 Depth=4
	s_andn2_saveexec_b64 s[28:29], s[28:29]
; %bb.6953:                             ;   in Loop: Header=BB6_5473 Depth=4
	v_bfe_u32 v2, v0, 23, 1
; %bb.6954:                             ;   in Loop: Header=BB6_5473 Depth=4
	s_or_b64 exec, exec, s[28:29]
	v_lshrrev_b64 v[0:1], 21, v[0:1]
	v_cmp_gt_i32_e32 vcc, 32, v2
	v_cndmask_b32_e32 v1, 0, v1, vcc
	v_cndmask_b32_e32 v0, 3, v0, vcc
	v_cmp_eq_u64_e64 s[28:29], 0, v[0:1]
	v_min_i32_e32 v1, 31, v2
	v_lshlrev_b32_e32 v1, 2, v1
	v_cmp_eq_u32_e32 vcc, 0, v2
	v_and_b32_e32 v1, 0xfc, v1
	v_and_or_b32 v0, v0, 3, v1
	s_and_b64 s[28:29], vcc, s[28:29]
	v_cndmask_b32_e64 v0, v0, 0, s[28:29]
	v_or_b32_e32 v34, v0, v7
.LBB6_6955:                             ;   in Loop: Header=BB6_5473 Depth=4
	s_or_b64 exec, exec, s[36:37]
                                        ; implicit-def: $vgpr7
.LBB6_6956:                             ;   in Loop: Header=BB6_5473 Depth=4
	s_andn2_saveexec_b64 s[28:29], s[34:35]
; %bb.6957:                             ;   in Loop: Header=BB6_5473 Depth=4
	v_or_b32_e32 v34, 0x7b, v7
; %bb.6958:                             ;   in Loop: Header=BB6_5473 Depth=4
	s_or_b64 exec, exec, s[28:29]
                                        ; implicit-def: $vgpr2
                                        ; implicit-def: $vgpr0_vgpr1
.LBB6_6959:                             ;   in Loop: Header=BB6_5473 Depth=4
	s_andn2_saveexec_b64 s[28:29], s[30:31]
	s_cbranch_execz .LBB6_6965
; %bb.6960:                             ;   in Loop: Header=BB6_5473 Depth=4
	v_cmp_ne_u64_e32 vcc, 0, v[0:1]
                                        ; implicit-def: $vgpr34
	s_and_saveexec_b64 s[62:63], vcc
	s_xor_b64 vcc, exec, s[62:63]
; %bb.6961:                             ;   in Loop: Header=BB6_5473 Depth=4
	v_or_b32_sdwa v34, v2, s44 dst_sel:DWORD dst_unused:UNUSED_PAD src0_sel:BYTE_3 src1_sel:DWORD
                                        ; implicit-def: $vgpr2
; %bb.6962:                             ;   in Loop: Header=BB6_5473 Depth=4
	s_andn2_saveexec_b64 s[30:31], vcc
; %bb.6963:                             ;   in Loop: Header=BB6_5473 Depth=4
	v_cmp_lt_i32_e32 vcc, -1, v2
	v_bfrev_b32_e32 v0, 0.5
	v_mov_b32_e32 v1, 0x7c
	v_cndmask_b32_e32 v34, v0, v1, vcc
; %bb.6964:                             ;   in Loop: Header=BB6_5473 Depth=4
	s_or_b64 exec, exec, s[30:31]
.LBB6_6965:                             ;   in Loop: Header=BB6_5473 Depth=4
	s_or_b64 exec, exec, s[28:29]
	v_lshrrev_b16_e32 v0, 8, v32
	v_cmp_ne_u16_e32 vcc, 0, v0
	v_mov_b32_e32 v1, 0
	s_and_saveexec_b64 s[28:29], vcc
	s_cbranch_execz .LBB6_6973
; %bb.6966:                             ;   in Loop: Header=BB6_5473 Depth=4
	v_cmp_ne_u16_e32 vcc, s97, v0
	v_bfrev_b32_e32 v1, 1
	s_and_saveexec_b64 s[30:31], vcc
	s_cbranch_execz .LBB6_6972
; %bb.6967:                             ;   in Loop: Header=BB6_5473 Depth=4
	v_and_b32_e32 v1, 0x7c, v0
	v_and_b32_e32 v2, 3, v0
	v_cmp_ne_u32_e32 vcc, s86, v1
                                        ; implicit-def: $vgpr1
	s_and_saveexec_b64 s[62:63], vcc
	s_xor_b64 s[34:35], exec, s[62:63]
	s_cbranch_execz .LBB6_6969
; %bb.6968:                             ;   in Loop: Header=BB6_5473 Depth=4
	v_ffbh_u32_e32 v13, v2
	v_min_u32_e32 v13, 32, v13
	v_mov_b32_e32 v1, v33
	v_subrev_u32_e32 v14, 29, v13
	v_bfe_u32 v7, v0, 2, 5
	v_lshlrev_b64 v[0:1], v14, v[0:1]
	v_cmp_eq_u32_e32 vcc, 0, v7
	v_and_b32_e32 v0, 3, v0
	v_sub_u32_e32 v1, 30, v13
	v_cndmask_b32_e32 v0, v2, v0, vcc
	v_lshlrev_b32_e32 v2, 16, v32
	v_cndmask_b32_e32 v1, v7, v1, vcc
	v_and_b32_e32 v2, 0x80000000, v2
	v_lshl_add_u32 v1, v1, 23, v2
	v_lshl_or_b32 v0, v0, 21, v1
	v_add_u32_e32 v1, 0x38000000, v0
                                        ; implicit-def: $vgpr2
.LBB6_6969:                             ;   in Loop: Header=BB6_5473 Depth=4
	s_andn2_saveexec_b64 s[34:35], s[34:35]
; %bb.6970:                             ;   in Loop: Header=BB6_5473 Depth=4
	v_cmp_lt_i16_e32 vcc, -1, v32
	v_mov_b32_e32 v0, 0xff800000
	v_mov_b32_e32 v1, 0x7f800000
	v_cndmask_b32_e32 v0, v0, v1, vcc
	v_cmp_eq_u32_e32 vcc, 0, v2
	v_mov_b32_e32 v1, 0x7f800001
	v_cndmask_b32_e32 v1, v1, v0, vcc
; %bb.6971:                             ;   in Loop: Header=BB6_5473 Depth=4
	s_or_b64 exec, exec, s[34:35]
.LBB6_6972:                             ;   in Loop: Header=BB6_5473 Depth=4
	s_or_b64 exec, exec, s[30:31]
.LBB6_6973:                             ;   in Loop: Header=BB6_5473 Depth=4
	s_or_b64 exec, exec, s[28:29]
	v_mul_f32_e32 v0, v12, v1
	v_and_b32_e32 v1, 0x7f800000, v0
	v_mov_b32_e32 v2, v33
	v_cmp_ne_u64_e32 vcc, s[76:77], v[1:2]
	v_and_b32_e32 v32, 0x7fffff, v0
                                        ; implicit-def: $vgpr1
                                        ; kill: killed $vgpr1
	s_and_saveexec_b64 s[28:29], vcc
	s_xor_b64 s[30:31], exec, s[28:29]
	s_cbranch_execz .LBB6_6987
; %bb.6974:                             ;   in Loop: Header=BB6_5473 Depth=4
	v_and_b32_e32 v1, 0x7fffffff, v0
	v_mov_b32_e32 v2, v33
	v_cmp_gt_u64_e32 vcc, s[78:79], v[1:2]
	v_and_b32_sdwa v7, v0, s97 dst_sel:DWORD dst_unused:UNUSED_PAD src0_sel:BYTE_3 src1_sel:DWORD
                                        ; implicit-def: $vgpr1
                                        ; kill: killed $vgpr1
	s_and_saveexec_b64 s[28:29], vcc
	s_xor_b64 s[34:35], exec, s[28:29]
	s_cbranch_execz .LBB6_6984
; %bb.6975:                             ;   in Loop: Header=BB6_5473 Depth=4
	v_mov_b32_e32 v1, 0
	v_cmp_ne_u32_e32 vcc, 0, v0
	buffer_store_dword v1, off, s[0:3], s33 offset:156 ; 4-byte Folded Spill
	s_and_saveexec_b64 s[36:37], vcc
	s_cbranch_execz .LBB6_6983
; %bb.6976:                             ;   in Loop: Header=BB6_5473 Depth=4
	v_bfe_u32 v13, v0, 23, 8
	v_cmp_gt_u32_e64 s[28:29], s47, v13
	v_sub_u32_e32 v0, 0x71, v13
	v_cmp_eq_u32_e32 vcc, 0, v13
	v_cndmask_b32_e64 v0, 0, v0, s[28:29]
	v_mov_b32_e32 v2, 0x70
	v_cndmask_b32_e32 v14, v0, v2, vcc
	v_add_u32_e32 v2, 21, v14
	v_or_b32_e32 v1, 0x800000, v32
	v_lshlrev_b64 v[15:16], v2, -1
	v_cndmask_b32_e32 v0, v1, v32, vcc
	v_mov_b32_e32 v1, v33
	v_add_u32_e32 v2, 20, v14
	v_bfi_b32 v15, v15, 0, v0
	v_lshlrev_b64 v[17:18], v2, 1
	v_lshrrev_b64 v[0:1], v14, v[0:1]
	v_bfi_b32 v16, v16, 0, 0
	v_cmp_eq_u64_e64 s[28:29], v[15:16], v[17:18]
	v_mov_b32_e32 v2, v1
	v_mov_b32_e32 v1, v0
	s_and_saveexec_b64 s[38:39], s[28:29]
; %bb.6977:                             ;   in Loop: Header=BB6_5473 Depth=4
	v_bfe_u32 v1, v0, 21, 1
	v_add_co_u32_e64 v1, s[28:29], v0, v1
	v_add_co_u32_e64 v1, s[28:29], -1, v1
; %bb.6978:                             ;   in Loop: Header=BB6_5473 Depth=4
	s_or_b64 exec, exec, s[38:39]
	v_add_u32_e32 v2, 0xffffff81, v13
	v_mov_b32_e32 v13, 0xffffff82
	v_cndmask_b32_e32 v2, v2, v13, vcc
	v_lshrrev_b32_e32 v13, 23, v0
	v_add3_u32 v14, v14, v2, v13
	v_add_u32_e32 v13, 14, v14
	v_and_b32_e32 v1, 0x1fffff, v1
	v_add_u32_e32 v32, v1, v0
	v_cmp_ne_u32_e32 vcc, 0, v13
                                        ; implicit-def: $vgpr0_vgpr1
                                        ; implicit-def: $vgpr2
	s_and_saveexec_b64 s[28:29], vcc
	s_xor_b64 s[28:29], exec, s[28:29]
; %bb.6979:                             ;   in Loop: Header=BB6_5473 Depth=4
	v_cmp_lt_u64_e32 vcc, s[88:89], v[32:33]
	v_add_u32_e32 v0, 15, v14
	v_cndmask_b32_e32 v2, v13, v0, vcc
	v_cndmask_b32_e64 v0, 0, 1, vcc
	v_lshrrev_b64 v[0:1], v0, v[32:33]
; %bb.6980:                             ;   in Loop: Header=BB6_5473 Depth=4
	s_andn2_saveexec_b64 s[28:29], s[28:29]
; %bb.6981:                             ;   in Loop: Header=BB6_5473 Depth=4
	v_mov_b32_e32 v0, v32
	v_mov_b32_e32 v1, v33
	v_bfe_u32 v2, v32, 23, 1
; %bb.6982:                             ;   in Loop: Header=BB6_5473 Depth=4
	s_or_b64 exec, exec, s[28:29]
	v_lshrrev_b64 v[0:1], 21, v[0:1]
	v_cmp_gt_i32_e32 vcc, 32, v2
	v_cndmask_b32_e32 v1, 0, v1, vcc
	v_cndmask_b32_e32 v0, 3, v0, vcc
	v_cmp_eq_u64_e64 s[28:29], 0, v[0:1]
	v_min_i32_e32 v1, 31, v2
	v_lshlrev_b32_e32 v1, 2, v1
	v_cmp_eq_u32_e32 vcc, 0, v2
	v_and_b32_e32 v1, 0xfc, v1
	v_and_or_b32 v0, v0, 3, v1
	s_and_b64 s[28:29], vcc, s[28:29]
	v_cndmask_b32_e64 v0, v0, 0, s[28:29]
	v_or_b32_e32 v0, v0, v7
	buffer_store_dword v0, off, s[0:3], s33 offset:156 ; 4-byte Folded Spill
.LBB6_6983:                             ;   in Loop: Header=BB6_5473 Depth=4
	s_or_b64 exec, exec, s[36:37]
                                        ; implicit-def: $vgpr7
.LBB6_6984:                             ;   in Loop: Header=BB6_5473 Depth=4
	s_andn2_saveexec_b64 s[28:29], s[34:35]
	s_cbranch_execz .LBB6_6986
; %bb.6985:                             ;   in Loop: Header=BB6_5473 Depth=4
	v_or_b32_e32 v0, 0x7b, v7
	buffer_store_dword v0, off, s[0:3], s33 offset:156 ; 4-byte Folded Spill
.LBB6_6986:                             ;   in Loop: Header=BB6_5473 Depth=4
	s_or_b64 exec, exec, s[28:29]
                                        ; implicit-def: $vgpr0
.LBB6_6987:                             ;   in Loop: Header=BB6_5473 Depth=4
	s_andn2_saveexec_b64 s[28:29], s[30:31]
	s_cbranch_execz .LBB6_6993
; %bb.6988:                             ;   in Loop: Header=BB6_5473 Depth=4
	v_cmp_ne_u64_e32 vcc, 0, v[32:33]
                                        ; implicit-def: $vgpr1
                                        ; kill: killed $vgpr1
	s_and_saveexec_b64 s[62:63], vcc
	s_xor_b64 vcc, exec, s[62:63]
	s_cbranch_execz .LBB6_6990
; %bb.6989:                             ;   in Loop: Header=BB6_5473 Depth=4
	v_or_b32_sdwa v0, v0, s44 dst_sel:DWORD dst_unused:UNUSED_PAD src0_sel:BYTE_3 src1_sel:DWORD
	buffer_store_dword v0, off, s[0:3], s33 offset:156 ; 4-byte Folded Spill
                                        ; implicit-def: $vgpr0
.LBB6_6990:                             ;   in Loop: Header=BB6_5473 Depth=4
	s_andn2_saveexec_b64 s[30:31], vcc
	s_cbranch_execz .LBB6_6992
; %bb.6991:                             ;   in Loop: Header=BB6_5473 Depth=4
	v_cmp_lt_i32_e32 vcc, -1, v0
	v_bfrev_b32_e32 v0, 0.5
	v_mov_b32_e32 v1, 0x7c
	v_cndmask_b32_e32 v0, v0, v1, vcc
	buffer_store_dword v0, off, s[0:3], s33 offset:156 ; 4-byte Folded Spill
.LBB6_6992:                             ;   in Loop: Header=BB6_5473 Depth=4
	s_or_b64 exec, exec, s[30:31]
.LBB6_6993:                             ;   in Loop: Header=BB6_5473 Depth=4
	s_or_b64 exec, exec, s[28:29]
	v_lshrrev_b32_e32 v0, 16, v9
	v_cmp_ne_u16_sdwa s[62:63], v0, v33 src0_sel:BYTE_0 src1_sel:DWORD
	v_mov_b32_e32 v1, 0
	s_and_saveexec_b64 s[28:29], s[62:63]
	s_cbranch_execz .LBB6_7001
; %bb.6994:                             ;   in Loop: Header=BB6_5473 Depth=4
	v_cmp_ne_u16_sdwa s[62:63], v0, s97 src0_sel:BYTE_0 src1_sel:DWORD
	v_bfrev_b32_e32 v1, 1
	s_and_saveexec_b64 s[30:31], s[62:63]
	s_cbranch_execz .LBB6_7000
; %bb.6995:                             ;   in Loop: Header=BB6_5473 Depth=4
	v_and_b32_e32 v1, 0x7c0000, v9
	v_bfe_u32 v2, v9, 16, 2
	v_cmp_ne_u32_e32 vcc, s45, v1
                                        ; implicit-def: $vgpr1
	s_and_saveexec_b64 s[62:63], vcc
	s_xor_b64 s[34:35], exec, s[62:63]
	s_cbranch_execz .LBB6_6997
; %bb.6996:                             ;   in Loop: Header=BB6_5473 Depth=4
	v_ffbh_u32_e32 v1, v2
	v_min_u32_e32 v13, 32, v1
	v_subrev_u32_e32 v1, 29, v13
	v_lshlrev_b64 v[0:1], v1, v[0:1]
	v_bfe_u32 v7, v9, 18, 5
	v_and_b32_e32 v0, 3, v0
	v_cmp_eq_u32_e32 vcc, 0, v7
	v_sub_u32_e32 v1, 30, v13
	v_cndmask_b32_e32 v0, v2, v0, vcc
	v_lshlrev_b32_e32 v2, 8, v9
	v_cndmask_b32_e32 v1, v7, v1, vcc
	v_and_b32_e32 v2, 0x80000000, v2
	v_lshl_add_u32 v1, v1, 23, v2
	v_lshl_or_b32 v0, v0, 21, v1
	v_add_u32_e32 v1, 0x38000000, v0
                                        ; implicit-def: $vgpr2
                                        ; implicit-def: $vgpr0
.LBB6_6997:                             ;   in Loop: Header=BB6_5473 Depth=4
	s_andn2_saveexec_b64 s[34:35], s[34:35]
; %bb.6998:                             ;   in Loop: Header=BB6_5473 Depth=4
	v_mov_b32_e32 v1, -1
	v_cmp_gt_i16_sdwa vcc, sext(v0), v1 src0_sel:BYTE_0 src1_sel:DWORD
	v_mov_b32_e32 v0, 0xff800000
	v_mov_b32_e32 v1, 0x7f800000
	v_cndmask_b32_e32 v0, v0, v1, vcc
	v_cmp_eq_u32_e32 vcc, 0, v2
	v_mov_b32_e32 v1, 0x7f800001
	v_cndmask_b32_e32 v1, v1, v0, vcc
; %bb.6999:                             ;   in Loop: Header=BB6_5473 Depth=4
	s_or_b64 exec, exec, s[34:35]
.LBB6_7000:                             ;   in Loop: Header=BB6_5473 Depth=4
	s_or_b64 exec, exec, s[30:31]
.LBB6_7001:                             ;   in Loop: Header=BB6_5473 Depth=4
	s_or_b64 exec, exec, s[28:29]
	v_mul_f32_e32 v0, v12, v1
	v_and_b32_e32 v1, 0x7f800000, v0
	v_mov_b32_e32 v2, v33
	v_cmp_ne_u64_e32 vcc, s[76:77], v[1:2]
	v_and_b32_e32 v32, 0x7fffff, v0
                                        ; implicit-def: $vgpr1
                                        ; kill: killed $vgpr1
	s_and_saveexec_b64 s[28:29], vcc
	s_xor_b64 s[30:31], exec, s[28:29]
	s_cbranch_execz .LBB6_7015
; %bb.7002:                             ;   in Loop: Header=BB6_5473 Depth=4
	v_and_b32_e32 v1, 0x7fffffff, v0
	v_mov_b32_e32 v2, v33
	v_cmp_gt_u64_e32 vcc, s[78:79], v[1:2]
	v_and_b32_sdwa v7, v0, s97 dst_sel:DWORD dst_unused:UNUSED_PAD src0_sel:BYTE_3 src1_sel:DWORD
                                        ; implicit-def: $vgpr1
                                        ; kill: killed $vgpr1
	s_and_saveexec_b64 s[28:29], vcc
	s_xor_b64 s[34:35], exec, s[28:29]
	s_cbranch_execz .LBB6_7012
; %bb.7003:                             ;   in Loop: Header=BB6_5473 Depth=4
	v_mov_b32_e32 v1, 0
	v_cmp_ne_u32_e32 vcc, 0, v0
	buffer_store_dword v1, off, s[0:3], s33 offset:172 ; 4-byte Folded Spill
	s_and_saveexec_b64 s[36:37], vcc
	s_cbranch_execz .LBB6_7011
; %bb.7004:                             ;   in Loop: Header=BB6_5473 Depth=4
	v_bfe_u32 v13, v0, 23, 8
	v_cmp_gt_u32_e64 s[28:29], s47, v13
	v_sub_u32_e32 v0, 0x71, v13
	v_cmp_eq_u32_e32 vcc, 0, v13
	v_cndmask_b32_e64 v0, 0, v0, s[28:29]
	v_mov_b32_e32 v2, 0x70
	v_cndmask_b32_e32 v14, v0, v2, vcc
	v_add_u32_e32 v2, 21, v14
	v_or_b32_e32 v1, 0x800000, v32
	v_lshlrev_b64 v[15:16], v2, -1
	v_cndmask_b32_e32 v0, v1, v32, vcc
	v_mov_b32_e32 v1, v33
	v_add_u32_e32 v2, 20, v14
	v_bfi_b32 v15, v15, 0, v0
	v_lshlrev_b64 v[17:18], v2, 1
	v_lshrrev_b64 v[0:1], v14, v[0:1]
	v_bfi_b32 v16, v16, 0, 0
	v_cmp_eq_u64_e64 s[28:29], v[15:16], v[17:18]
	v_mov_b32_e32 v2, v1
	v_mov_b32_e32 v1, v0
	s_and_saveexec_b64 s[38:39], s[28:29]
; %bb.7005:                             ;   in Loop: Header=BB6_5473 Depth=4
	v_bfe_u32 v1, v0, 21, 1
	v_add_co_u32_e64 v1, s[28:29], v0, v1
	v_add_co_u32_e64 v1, s[28:29], -1, v1
; %bb.7006:                             ;   in Loop: Header=BB6_5473 Depth=4
	s_or_b64 exec, exec, s[38:39]
	v_add_u32_e32 v2, 0xffffff81, v13
	v_mov_b32_e32 v13, 0xffffff82
	v_cndmask_b32_e32 v2, v2, v13, vcc
	v_lshrrev_b32_e32 v13, 23, v0
	v_add3_u32 v14, v14, v2, v13
	v_add_u32_e32 v13, 14, v14
	v_and_b32_e32 v1, 0x1fffff, v1
	v_add_u32_e32 v32, v1, v0
	v_cmp_ne_u32_e32 vcc, 0, v13
                                        ; implicit-def: $vgpr0_vgpr1
                                        ; implicit-def: $vgpr2
	s_and_saveexec_b64 s[28:29], vcc
	s_xor_b64 s[28:29], exec, s[28:29]
; %bb.7007:                             ;   in Loop: Header=BB6_5473 Depth=4
	v_cmp_lt_u64_e32 vcc, s[88:89], v[32:33]
	v_add_u32_e32 v0, 15, v14
	v_cndmask_b32_e32 v2, v13, v0, vcc
	v_cndmask_b32_e64 v0, 0, 1, vcc
	v_lshrrev_b64 v[0:1], v0, v[32:33]
; %bb.7008:                             ;   in Loop: Header=BB6_5473 Depth=4
	s_andn2_saveexec_b64 s[28:29], s[28:29]
; %bb.7009:                             ;   in Loop: Header=BB6_5473 Depth=4
	v_mov_b32_e32 v0, v32
	v_mov_b32_e32 v1, v33
	v_bfe_u32 v2, v32, 23, 1
; %bb.7010:                             ;   in Loop: Header=BB6_5473 Depth=4
	s_or_b64 exec, exec, s[28:29]
	v_lshrrev_b64 v[0:1], 21, v[0:1]
	v_cmp_gt_i32_e32 vcc, 32, v2
	v_cndmask_b32_e32 v1, 0, v1, vcc
	v_cndmask_b32_e32 v0, 3, v0, vcc
	v_cmp_eq_u64_e64 s[28:29], 0, v[0:1]
	v_min_i32_e32 v1, 31, v2
	v_lshlrev_b32_e32 v1, 2, v1
	v_cmp_eq_u32_e32 vcc, 0, v2
	v_and_b32_e32 v1, 0xfc, v1
	v_and_or_b32 v0, v0, 3, v1
	s_and_b64 s[28:29], vcc, s[28:29]
	v_cndmask_b32_e64 v0, v0, 0, s[28:29]
	v_or_b32_e32 v0, v0, v7
	buffer_store_dword v0, off, s[0:3], s33 offset:172 ; 4-byte Folded Spill
.LBB6_7011:                             ;   in Loop: Header=BB6_5473 Depth=4
	s_or_b64 exec, exec, s[36:37]
                                        ; implicit-def: $vgpr7
.LBB6_7012:                             ;   in Loop: Header=BB6_5473 Depth=4
	s_andn2_saveexec_b64 s[28:29], s[34:35]
	s_cbranch_execz .LBB6_7014
; %bb.7013:                             ;   in Loop: Header=BB6_5473 Depth=4
	v_or_b32_e32 v0, 0x7b, v7
	buffer_store_dword v0, off, s[0:3], s33 offset:172 ; 4-byte Folded Spill
.LBB6_7014:                             ;   in Loop: Header=BB6_5473 Depth=4
	s_or_b64 exec, exec, s[28:29]
                                        ; implicit-def: $vgpr0
.LBB6_7015:                             ;   in Loop: Header=BB6_5473 Depth=4
	s_andn2_saveexec_b64 s[28:29], s[30:31]
	s_cbranch_execz .LBB6_7021
; %bb.7016:                             ;   in Loop: Header=BB6_5473 Depth=4
	v_cmp_ne_u64_e32 vcc, 0, v[32:33]
                                        ; implicit-def: $vgpr1
                                        ; kill: killed $vgpr1
	s_and_saveexec_b64 s[62:63], vcc
	s_xor_b64 vcc, exec, s[62:63]
	s_cbranch_execz .LBB6_7018
; %bb.7017:                             ;   in Loop: Header=BB6_5473 Depth=4
	v_or_b32_sdwa v0, v0, s44 dst_sel:DWORD dst_unused:UNUSED_PAD src0_sel:BYTE_3 src1_sel:DWORD
	buffer_store_dword v0, off, s[0:3], s33 offset:172 ; 4-byte Folded Spill
                                        ; implicit-def: $vgpr0
.LBB6_7018:                             ;   in Loop: Header=BB6_5473 Depth=4
	s_andn2_saveexec_b64 s[30:31], vcc
	s_cbranch_execz .LBB6_7020
; %bb.7019:                             ;   in Loop: Header=BB6_5473 Depth=4
	v_cmp_lt_i32_e32 vcc, -1, v0
	v_bfrev_b32_e32 v0, 0.5
	v_mov_b32_e32 v1, 0x7c
	v_cndmask_b32_e32 v0, v0, v1, vcc
	buffer_store_dword v0, off, s[0:3], s33 offset:172 ; 4-byte Folded Spill
.LBB6_7020:                             ;   in Loop: Header=BB6_5473 Depth=4
	s_or_b64 exec, exec, s[30:31]
.LBB6_7021:                             ;   in Loop: Header=BB6_5473 Depth=4
	s_or_b64 exec, exec, s[28:29]
	v_cmp_lt_u64_e32 vcc, s[56:57], v[8:9]
	v_mov_b32_e32 v1, 0
	s_and_saveexec_b64 s[28:29], vcc
	s_cbranch_execz .LBB6_7029
; %bb.7022:                             ;   in Loop: Header=BB6_5473 Depth=4
	v_lshrrev_b32_e32 v0, 24, v9
	v_cmp_ne_u32_e32 vcc, s97, v0
	v_bfrev_b32_e32 v1, 1
	s_and_saveexec_b64 s[30:31], vcc
	s_cbranch_execz .LBB6_7028
; %bb.7023:                             ;   in Loop: Header=BB6_5473 Depth=4
	v_and_b32_e32 v1, 0x7c000000, v9
	v_bfe_u32 v2, v9, 24, 2
	v_cmp_ne_u32_e32 vcc, s68, v1
                                        ; implicit-def: $vgpr1
	s_and_saveexec_b64 s[62:63], vcc
	s_xor_b64 s[34:35], exec, s[62:63]
	s_cbranch_execz .LBB6_7025
; %bb.7024:                             ;   in Loop: Header=BB6_5473 Depth=4
	v_ffbh_u32_e32 v1, v2
	v_min_u32_e32 v13, 32, v1
	v_subrev_u32_e32 v1, 29, v13
	v_lshlrev_b64 v[0:1], v1, v[0:1]
	v_bfe_u32 v7, v9, 26, 5
	v_sub_u32_e32 v1, 30, v13
	v_and_b32_e32 v0, 3, v0
	v_cmp_eq_u32_e32 vcc, 0, v7
	v_cndmask_b32_e32 v1, v7, v1, vcc
	v_cndmask_b32_e32 v0, v2, v0, vcc
	v_and_b32_e32 v2, 0x80000000, v9
	v_lshl_add_u32 v1, v1, 23, v2
	v_lshl_or_b32 v0, v0, 21, v1
	v_add_u32_e32 v1, 0x38000000, v0
                                        ; implicit-def: $vgpr2
.LBB6_7025:                             ;   in Loop: Header=BB6_5473 Depth=4
	s_andn2_saveexec_b64 s[34:35], s[34:35]
; %bb.7026:                             ;   in Loop: Header=BB6_5473 Depth=4
	v_cmp_lt_i64_e32 vcc, -1, v[8:9]
	v_mov_b32_e32 v0, 0xff800000
	v_mov_b32_e32 v1, 0x7f800000
	v_cndmask_b32_e32 v0, v0, v1, vcc
	v_cmp_eq_u32_e32 vcc, 0, v2
	v_mov_b32_e32 v1, 0x7f800001
	v_cndmask_b32_e32 v1, v1, v0, vcc
; %bb.7027:                             ;   in Loop: Header=BB6_5473 Depth=4
	s_or_b64 exec, exec, s[34:35]
.LBB6_7028:                             ;   in Loop: Header=BB6_5473 Depth=4
	s_or_b64 exec, exec, s[30:31]
.LBB6_7029:                             ;   in Loop: Header=BB6_5473 Depth=4
	s_or_b64 exec, exec, s[28:29]
	v_mul_f32_e32 v0, v12, v1
	v_and_b32_e32 v1, 0x7f800000, v0
	v_mov_b32_e32 v2, v33
	v_cmp_ne_u64_e32 vcc, s[76:77], v[1:2]
	v_and_b32_e32 v32, 0x7fffff, v0
                                        ; implicit-def: $vgpr1
                                        ; kill: killed $vgpr1
	s_and_saveexec_b64 s[28:29], vcc
	s_xor_b64 s[30:31], exec, s[28:29]
	s_cbranch_execz .LBB6_7043
; %bb.7030:                             ;   in Loop: Header=BB6_5473 Depth=4
	v_and_b32_e32 v1, 0x7fffffff, v0
	v_mov_b32_e32 v2, v33
	v_cmp_gt_u64_e32 vcc, s[78:79], v[1:2]
	v_and_b32_sdwa v7, v0, s97 dst_sel:DWORD dst_unused:UNUSED_PAD src0_sel:BYTE_3 src1_sel:DWORD
                                        ; implicit-def: $vgpr1
                                        ; kill: killed $vgpr1
	s_and_saveexec_b64 s[28:29], vcc
	s_xor_b64 s[34:35], exec, s[28:29]
	s_cbranch_execz .LBB6_7040
; %bb.7031:                             ;   in Loop: Header=BB6_5473 Depth=4
	v_mov_b32_e32 v1, 0
	v_cmp_ne_u32_e32 vcc, 0, v0
	buffer_store_dword v1, off, s[0:3], s33 offset:196 ; 4-byte Folded Spill
	s_and_saveexec_b64 s[36:37], vcc
	s_cbranch_execz .LBB6_7039
; %bb.7032:                             ;   in Loop: Header=BB6_5473 Depth=4
	v_bfe_u32 v8, v0, 23, 8
	v_cmp_gt_u32_e64 s[28:29], s47, v8
	v_sub_u32_e32 v0, 0x71, v8
	v_cmp_eq_u32_e32 vcc, 0, v8
	v_cndmask_b32_e64 v0, 0, v0, s[28:29]
	v_mov_b32_e32 v2, 0x70
	v_cndmask_b32_e32 v9, v0, v2, vcc
	v_add_u32_e32 v2, 21, v9
	v_or_b32_e32 v1, 0x800000, v32
	v_lshlrev_b64 v[13:14], v2, -1
	v_cndmask_b32_e32 v0, v1, v32, vcc
	v_mov_b32_e32 v1, v33
	v_add_u32_e32 v2, 20, v9
	v_bfi_b32 v13, v13, 0, v0
	v_lshlrev_b64 v[15:16], v2, 1
	v_lshrrev_b64 v[0:1], v9, v[0:1]
	v_bfi_b32 v14, v14, 0, 0
	v_cmp_eq_u64_e64 s[28:29], v[13:14], v[15:16]
	v_mov_b32_e32 v2, v1
	v_mov_b32_e32 v1, v0
	s_and_saveexec_b64 s[38:39], s[28:29]
; %bb.7033:                             ;   in Loop: Header=BB6_5473 Depth=4
	v_bfe_u32 v1, v0, 21, 1
	v_add_co_u32_e64 v1, s[28:29], v0, v1
	v_add_co_u32_e64 v1, s[28:29], -1, v1
; %bb.7034:                             ;   in Loop: Header=BB6_5473 Depth=4
	s_or_b64 exec, exec, s[38:39]
	v_add_u32_e32 v2, 0xffffff81, v8
	v_mov_b32_e32 v8, 0xffffff82
	v_cndmask_b32_e32 v2, v2, v8, vcc
	v_lshrrev_b32_e32 v8, 23, v0
	v_add3_u32 v9, v9, v2, v8
	v_add_u32_e32 v8, 14, v9
	v_and_b32_e32 v1, 0x1fffff, v1
	v_add_u32_e32 v32, v1, v0
	v_cmp_ne_u32_e32 vcc, 0, v8
                                        ; implicit-def: $vgpr0_vgpr1
                                        ; implicit-def: $vgpr2
	s_and_saveexec_b64 s[28:29], vcc
	s_xor_b64 s[28:29], exec, s[28:29]
; %bb.7035:                             ;   in Loop: Header=BB6_5473 Depth=4
	v_cmp_lt_u64_e32 vcc, s[88:89], v[32:33]
	v_add_u32_e32 v0, 15, v9
	v_cndmask_b32_e32 v2, v8, v0, vcc
	v_cndmask_b32_e64 v0, 0, 1, vcc
	v_lshrrev_b64 v[0:1], v0, v[32:33]
; %bb.7036:                             ;   in Loop: Header=BB6_5473 Depth=4
	s_andn2_saveexec_b64 s[28:29], s[28:29]
; %bb.7037:                             ;   in Loop: Header=BB6_5473 Depth=4
	v_mov_b32_e32 v0, v32
	v_mov_b32_e32 v1, v33
	v_bfe_u32 v2, v32, 23, 1
; %bb.7038:                             ;   in Loop: Header=BB6_5473 Depth=4
	s_or_b64 exec, exec, s[28:29]
	v_lshrrev_b64 v[0:1], 21, v[0:1]
	v_cmp_gt_i32_e32 vcc, 32, v2
	v_cndmask_b32_e32 v1, 0, v1, vcc
	v_cndmask_b32_e32 v0, 3, v0, vcc
	v_cmp_eq_u64_e64 s[28:29], 0, v[0:1]
	v_min_i32_e32 v1, 31, v2
	v_lshlrev_b32_e32 v1, 2, v1
	v_cmp_eq_u32_e32 vcc, 0, v2
	v_and_b32_e32 v1, 0xfc, v1
	v_and_or_b32 v0, v0, 3, v1
	s_and_b64 s[28:29], vcc, s[28:29]
	v_cndmask_b32_e64 v0, v0, 0, s[28:29]
	v_or_b32_e32 v0, v0, v7
	buffer_store_dword v0, off, s[0:3], s33 offset:196 ; 4-byte Folded Spill
.LBB6_7039:                             ;   in Loop: Header=BB6_5473 Depth=4
	s_or_b64 exec, exec, s[36:37]
                                        ; implicit-def: $vgpr7
.LBB6_7040:                             ;   in Loop: Header=BB6_5473 Depth=4
	s_andn2_saveexec_b64 s[28:29], s[34:35]
	s_cbranch_execz .LBB6_7042
; %bb.7041:                             ;   in Loop: Header=BB6_5473 Depth=4
	v_or_b32_e32 v0, 0x7b, v7
	buffer_store_dword v0, off, s[0:3], s33 offset:196 ; 4-byte Folded Spill
.LBB6_7042:                             ;   in Loop: Header=BB6_5473 Depth=4
	s_or_b64 exec, exec, s[28:29]
                                        ; implicit-def: $vgpr0
.LBB6_7043:                             ;   in Loop: Header=BB6_5473 Depth=4
	s_andn2_saveexec_b64 s[28:29], s[30:31]
	s_cbranch_execz .LBB6_7049
; %bb.7044:                             ;   in Loop: Header=BB6_5473 Depth=4
	v_cmp_ne_u64_e32 vcc, 0, v[32:33]
                                        ; implicit-def: $vgpr1
                                        ; kill: killed $vgpr1
	s_and_saveexec_b64 s[62:63], vcc
	s_xor_b64 vcc, exec, s[62:63]
	s_cbranch_execz .LBB6_7046
; %bb.7045:                             ;   in Loop: Header=BB6_5473 Depth=4
	v_or_b32_sdwa v0, v0, s44 dst_sel:DWORD dst_unused:UNUSED_PAD src0_sel:BYTE_3 src1_sel:DWORD
	buffer_store_dword v0, off, s[0:3], s33 offset:196 ; 4-byte Folded Spill
                                        ; implicit-def: $vgpr0
.LBB6_7046:                             ;   in Loop: Header=BB6_5473 Depth=4
	s_andn2_saveexec_b64 s[30:31], vcc
	s_cbranch_execz .LBB6_7048
; %bb.7047:                             ;   in Loop: Header=BB6_5473 Depth=4
	v_cmp_lt_i32_e32 vcc, -1, v0
	v_bfrev_b32_e32 v0, 0.5
	v_mov_b32_e32 v1, 0x7c
	v_cndmask_b32_e32 v0, v0, v1, vcc
	buffer_store_dword v0, off, s[0:3], s33 offset:196 ; 4-byte Folded Spill
.LBB6_7048:                             ;   in Loop: Header=BB6_5473 Depth=4
	s_or_b64 exec, exec, s[30:31]
.LBB6_7049:                             ;   in Loop: Header=BB6_5473 Depth=4
	s_or_b64 exec, exec, s[28:29]
	v_cmp_ne_u16_sdwa s[62:63], v10, v33 src0_sel:BYTE_0 src1_sel:DWORD
	v_mov_b32_e32 v0, 0
	s_and_saveexec_b64 s[28:29], s[62:63]
	s_cbranch_execz .LBB6_7057
; %bb.7050:                             ;   in Loop: Header=BB6_5473 Depth=4
	v_cmp_ne_u16_sdwa s[62:63], sext(v10), s46 src0_sel:BYTE_0 src1_sel:DWORD
	v_bfrev_b32_e32 v0, 1
	s_and_saveexec_b64 s[30:31], s[62:63]
	s_cbranch_execz .LBB6_7056
; %bb.7051:                             ;   in Loop: Header=BB6_5473 Depth=4
	v_and_b32_e32 v0, 0x7c, v10
	v_and_b32_e32 v1, 3, v10
	v_cmp_ne_u32_e32 vcc, s86, v0
                                        ; implicit-def: $vgpr0
	s_and_saveexec_b64 s[62:63], vcc
	s_xor_b64 s[34:35], exec, s[62:63]
	s_cbranch_execz .LBB6_7053
; %bb.7052:                             ;   in Loop: Header=BB6_5473 Depth=4
	v_ffbh_u32_e32 v2, v1
	v_min_u32_e32 v2, 32, v2
	v_bfe_u32 v0, v10, 2, 5
	v_subrev_u32_e32 v7, 29, v2
	v_lshlrev_b64 v[7:8], v7, v[10:11]
	v_sub_u32_e32 v2, 30, v2
	v_cmp_eq_u32_e32 vcc, 0, v0
	v_cndmask_b32_e32 v0, v0, v2, vcc
	v_lshlrev_b32_e32 v2, 24, v10
	v_and_b32_e32 v7, 3, v7
	v_and_b32_e32 v2, 0x80000000, v2
	v_cndmask_b32_e32 v1, v1, v7, vcc
	v_lshl_add_u32 v0, v0, 23, v2
	v_lshl_or_b32 v0, v1, 21, v0
	v_add_u32_e32 v0, 0x38000000, v0
                                        ; implicit-def: $vgpr1
.LBB6_7053:                             ;   in Loop: Header=BB6_5473 Depth=4
	s_andn2_saveexec_b64 s[34:35], s[34:35]
; %bb.7054:                             ;   in Loop: Header=BB6_5473 Depth=4
	v_mov_b32_e32 v0, -1
	v_cmp_gt_i16_sdwa vcc, sext(v10), v0 src0_sel:BYTE_0 src1_sel:DWORD
	v_mov_b32_e32 v0, 0xff800000
	v_mov_b32_e32 v2, 0x7f800000
	v_cndmask_b32_e32 v0, v0, v2, vcc
	v_cmp_eq_u32_e32 vcc, 0, v1
	v_mov_b32_e32 v1, 0x7f800001
	v_cndmask_b32_e32 v0, v1, v0, vcc
; %bb.7055:                             ;   in Loop: Header=BB6_5473 Depth=4
	s_or_b64 exec, exec, s[34:35]
.LBB6_7056:                             ;   in Loop: Header=BB6_5473 Depth=4
	s_or_b64 exec, exec, s[30:31]
.LBB6_7057:                             ;   in Loop: Header=BB6_5473 Depth=4
	s_or_b64 exec, exec, s[28:29]
	v_mul_f32_e32 v0, v12, v0
	v_and_b32_e32 v1, 0x7f800000, v0
	v_mov_b32_e32 v2, v33
	v_cmp_ne_u64_e32 vcc, s[76:77], v[1:2]
	v_and_b32_e32 v32, 0x7fffff, v0
                                        ; implicit-def: $vgpr25
	s_and_saveexec_b64 s[28:29], vcc
	s_xor_b64 s[30:31], exec, s[28:29]
	s_cbranch_execz .LBB6_7071
; %bb.7058:                             ;   in Loop: Header=BB6_5473 Depth=4
	v_and_b32_e32 v1, 0x7fffffff, v0
	v_mov_b32_e32 v2, v33
	v_cmp_gt_u64_e32 vcc, s[78:79], v[1:2]
	v_and_b32_sdwa v7, v0, s97 dst_sel:DWORD dst_unused:UNUSED_PAD src0_sel:BYTE_3 src1_sel:DWORD
                                        ; implicit-def: $vgpr25
	s_and_saveexec_b64 s[28:29], vcc
	s_xor_b64 s[34:35], exec, s[28:29]
	s_cbranch_execz .LBB6_7068
; %bb.7059:                             ;   in Loop: Header=BB6_5473 Depth=4
	v_mov_b32_e32 v25, 0
	v_cmp_ne_u32_e32 vcc, 0, v0
	s_and_saveexec_b64 s[36:37], vcc
	s_cbranch_execz .LBB6_7067
; %bb.7060:                             ;   in Loop: Header=BB6_5473 Depth=4
	v_bfe_u32 v8, v0, 23, 8
	v_cmp_gt_u32_e64 s[28:29], s47, v8
	v_sub_u32_e32 v0, 0x71, v8
	v_cmp_eq_u32_e32 vcc, 0, v8
	v_cndmask_b32_e64 v0, 0, v0, s[28:29]
	v_mov_b32_e32 v2, 0x70
	v_cndmask_b32_e32 v9, v0, v2, vcc
	v_add_u32_e32 v2, 21, v9
	v_or_b32_e32 v1, 0x800000, v32
	v_lshlrev_b64 v[13:14], v2, -1
	v_cndmask_b32_e32 v0, v1, v32, vcc
	v_mov_b32_e32 v1, v33
	v_add_u32_e32 v2, 20, v9
	v_bfi_b32 v13, v13, 0, v0
	v_lshlrev_b64 v[15:16], v2, 1
	v_lshrrev_b64 v[0:1], v9, v[0:1]
	v_bfi_b32 v14, v14, 0, 0
	v_cmp_eq_u64_e64 s[28:29], v[13:14], v[15:16]
	v_mov_b32_e32 v2, v1
	v_mov_b32_e32 v1, v0
	s_and_saveexec_b64 s[38:39], s[28:29]
; %bb.7061:                             ;   in Loop: Header=BB6_5473 Depth=4
	v_bfe_u32 v1, v0, 21, 1
	v_add_co_u32_e64 v1, s[28:29], v0, v1
	v_add_co_u32_e64 v1, s[28:29], -1, v1
; %bb.7062:                             ;   in Loop: Header=BB6_5473 Depth=4
	s_or_b64 exec, exec, s[38:39]
	v_add_u32_e32 v2, 0xffffff81, v8
	v_mov_b32_e32 v8, 0xffffff82
	v_cndmask_b32_e32 v2, v2, v8, vcc
	v_lshrrev_b32_e32 v8, 23, v0
	v_add3_u32 v9, v9, v2, v8
	v_add_u32_e32 v8, 14, v9
	v_and_b32_e32 v1, 0x1fffff, v1
	v_add_u32_e32 v32, v1, v0
	v_cmp_ne_u32_e32 vcc, 0, v8
                                        ; implicit-def: $vgpr0_vgpr1
                                        ; implicit-def: $vgpr2
	s_and_saveexec_b64 s[28:29], vcc
	s_xor_b64 s[28:29], exec, s[28:29]
; %bb.7063:                             ;   in Loop: Header=BB6_5473 Depth=4
	v_cmp_lt_u64_e32 vcc, s[88:89], v[32:33]
	v_add_u32_e32 v0, 15, v9
	v_cndmask_b32_e32 v2, v8, v0, vcc
	v_cndmask_b32_e64 v0, 0, 1, vcc
	v_lshrrev_b64 v[0:1], v0, v[32:33]
; %bb.7064:                             ;   in Loop: Header=BB6_5473 Depth=4
	s_andn2_saveexec_b64 s[28:29], s[28:29]
; %bb.7065:                             ;   in Loop: Header=BB6_5473 Depth=4
	v_mov_b32_e32 v0, v32
	v_mov_b32_e32 v1, v33
	v_bfe_u32 v2, v32, 23, 1
; %bb.7066:                             ;   in Loop: Header=BB6_5473 Depth=4
	s_or_b64 exec, exec, s[28:29]
	v_lshrrev_b64 v[0:1], 21, v[0:1]
	v_cmp_gt_i32_e32 vcc, 32, v2
	v_cndmask_b32_e32 v1, 0, v1, vcc
	v_cndmask_b32_e32 v0, 3, v0, vcc
	v_cmp_eq_u64_e64 s[28:29], 0, v[0:1]
	v_min_i32_e32 v1, 31, v2
	v_lshlrev_b32_e32 v1, 2, v1
	v_cmp_eq_u32_e32 vcc, 0, v2
	v_and_b32_e32 v1, 0xfc, v1
	v_and_or_b32 v0, v0, 3, v1
	s_and_b64 s[28:29], vcc, s[28:29]
	v_cndmask_b32_e64 v0, v0, 0, s[28:29]
	v_or_b32_e32 v25, v0, v7
.LBB6_7067:                             ;   in Loop: Header=BB6_5473 Depth=4
	s_or_b64 exec, exec, s[36:37]
                                        ; implicit-def: $vgpr7
.LBB6_7068:                             ;   in Loop: Header=BB6_5473 Depth=4
	s_andn2_saveexec_b64 s[28:29], s[34:35]
; %bb.7069:                             ;   in Loop: Header=BB6_5473 Depth=4
	v_or_b32_e32 v25, 0x7b, v7
; %bb.7070:                             ;   in Loop: Header=BB6_5473 Depth=4
	s_or_b64 exec, exec, s[28:29]
                                        ; implicit-def: $vgpr0
.LBB6_7071:                             ;   in Loop: Header=BB6_5473 Depth=4
	s_andn2_saveexec_b64 s[28:29], s[30:31]
	s_cbranch_execz .LBB6_7077
; %bb.7072:                             ;   in Loop: Header=BB6_5473 Depth=4
	v_cmp_ne_u64_e32 vcc, 0, v[32:33]
                                        ; implicit-def: $vgpr25
	s_and_saveexec_b64 s[62:63], vcc
	s_xor_b64 vcc, exec, s[62:63]
; %bb.7073:                             ;   in Loop: Header=BB6_5473 Depth=4
	v_or_b32_sdwa v25, v0, s44 dst_sel:DWORD dst_unused:UNUSED_PAD src0_sel:BYTE_3 src1_sel:DWORD
                                        ; implicit-def: $vgpr0
; %bb.7074:                             ;   in Loop: Header=BB6_5473 Depth=4
	s_andn2_saveexec_b64 s[30:31], vcc
; %bb.7075:                             ;   in Loop: Header=BB6_5473 Depth=4
	v_cmp_lt_i32_e32 vcc, -1, v0
	v_bfrev_b32_e32 v0, 0.5
	v_mov_b32_e32 v1, 0x7c
	v_cndmask_b32_e32 v25, v0, v1, vcc
; %bb.7076:                             ;   in Loop: Header=BB6_5473 Depth=4
	s_or_b64 exec, exec, s[30:31]
.LBB6_7077:                             ;   in Loop: Header=BB6_5473 Depth=4
	s_or_b64 exec, exec, s[28:29]
	v_lshrrev_b16_e32 v0, 8, v10
	v_cmp_ne_u16_e32 vcc, 0, v0
	v_mov_b32_e32 v1, 0
	s_and_saveexec_b64 s[28:29], vcc
	s_cbranch_execz .LBB6_7085
; %bb.7078:                             ;   in Loop: Header=BB6_5473 Depth=4
	v_cmp_ne_u16_e32 vcc, s97, v0
	v_bfrev_b32_e32 v1, 1
	s_and_saveexec_b64 s[30:31], vcc
	s_cbranch_execz .LBB6_7084
; %bb.7079:                             ;   in Loop: Header=BB6_5473 Depth=4
	v_and_b32_e32 v1, 0x7c, v0
	v_and_b32_e32 v2, 3, v0
	v_cmp_ne_u32_e32 vcc, s86, v1
                                        ; implicit-def: $vgpr1
	s_and_saveexec_b64 s[62:63], vcc
	s_xor_b64 s[34:35], exec, s[62:63]
	s_cbranch_execz .LBB6_7081
; %bb.7080:                             ;   in Loop: Header=BB6_5473 Depth=4
	v_ffbh_u32_e32 v8, v2
	v_min_u32_e32 v8, 32, v8
	v_mov_b32_e32 v1, v33
	v_subrev_u32_e32 v9, 29, v8
	v_bfe_u32 v7, v0, 2, 5
	v_lshlrev_b64 v[0:1], v9, v[0:1]
	v_cmp_eq_u32_e32 vcc, 0, v7
	v_and_b32_e32 v0, 3, v0
	v_sub_u32_e32 v1, 30, v8
	v_cndmask_b32_e32 v0, v2, v0, vcc
	v_lshlrev_b32_e32 v2, 16, v10
	v_cndmask_b32_e32 v1, v7, v1, vcc
	v_and_b32_e32 v2, 0x80000000, v2
	v_lshl_add_u32 v1, v1, 23, v2
	v_lshl_or_b32 v0, v0, 21, v1
	v_add_u32_e32 v1, 0x38000000, v0
                                        ; implicit-def: $vgpr2
.LBB6_7081:                             ;   in Loop: Header=BB6_5473 Depth=4
	s_andn2_saveexec_b64 s[34:35], s[34:35]
; %bb.7082:                             ;   in Loop: Header=BB6_5473 Depth=4
	v_cmp_lt_i16_e32 vcc, -1, v10
	v_mov_b32_e32 v0, 0xff800000
	v_mov_b32_e32 v1, 0x7f800000
	v_cndmask_b32_e32 v0, v0, v1, vcc
	v_cmp_eq_u32_e32 vcc, 0, v2
	v_mov_b32_e32 v1, 0x7f800001
	v_cndmask_b32_e32 v1, v1, v0, vcc
; %bb.7083:                             ;   in Loop: Header=BB6_5473 Depth=4
	s_or_b64 exec, exec, s[34:35]
.LBB6_7084:                             ;   in Loop: Header=BB6_5473 Depth=4
	s_or_b64 exec, exec, s[30:31]
.LBB6_7085:                             ;   in Loop: Header=BB6_5473 Depth=4
	s_or_b64 exec, exec, s[28:29]
	v_mul_f32_e32 v0, v12, v1
	v_and_b32_e32 v1, 0x7f800000, v0
	v_mov_b32_e32 v2, v33
	v_cmp_ne_u64_e32 vcc, s[76:77], v[1:2]
	v_and_b32_e32 v32, 0x7fffff, v0
                                        ; implicit-def: $vgpr1
                                        ; kill: killed $vgpr1
	s_and_saveexec_b64 s[28:29], vcc
	s_xor_b64 s[30:31], exec, s[28:29]
	s_cbranch_execz .LBB6_7099
; %bb.7086:                             ;   in Loop: Header=BB6_5473 Depth=4
	v_and_b32_e32 v1, 0x7fffffff, v0
	v_mov_b32_e32 v2, v33
	v_cmp_gt_u64_e32 vcc, s[78:79], v[1:2]
	v_and_b32_sdwa v7, v0, s97 dst_sel:DWORD dst_unused:UNUSED_PAD src0_sel:BYTE_3 src1_sel:DWORD
                                        ; implicit-def: $vgpr1
                                        ; kill: killed $vgpr1
	s_and_saveexec_b64 s[28:29], vcc
	s_xor_b64 s[34:35], exec, s[28:29]
	s_cbranch_execz .LBB6_7096
; %bb.7087:                             ;   in Loop: Header=BB6_5473 Depth=4
	v_mov_b32_e32 v1, 0
	v_cmp_ne_u32_e32 vcc, 0, v0
	buffer_store_dword v1, off, s[0:3], s33 offset:124 ; 4-byte Folded Spill
	s_and_saveexec_b64 s[36:37], vcc
	s_cbranch_execz .LBB6_7095
; %bb.7088:                             ;   in Loop: Header=BB6_5473 Depth=4
	v_bfe_u32 v8, v0, 23, 8
	v_cmp_gt_u32_e64 s[28:29], s47, v8
	v_sub_u32_e32 v0, 0x71, v8
	v_cmp_eq_u32_e32 vcc, 0, v8
	v_cndmask_b32_e64 v0, 0, v0, s[28:29]
	v_mov_b32_e32 v2, 0x70
	v_cndmask_b32_e32 v9, v0, v2, vcc
	v_add_u32_e32 v2, 21, v9
	v_or_b32_e32 v1, 0x800000, v32
	v_lshlrev_b64 v[13:14], v2, -1
	v_cndmask_b32_e32 v0, v1, v32, vcc
	v_mov_b32_e32 v1, v33
	v_add_u32_e32 v2, 20, v9
	v_bfi_b32 v13, v13, 0, v0
	v_lshlrev_b64 v[15:16], v2, 1
	v_lshrrev_b64 v[0:1], v9, v[0:1]
	v_bfi_b32 v14, v14, 0, 0
	v_cmp_eq_u64_e64 s[28:29], v[13:14], v[15:16]
	v_mov_b32_e32 v2, v1
	v_mov_b32_e32 v1, v0
	s_and_saveexec_b64 s[38:39], s[28:29]
; %bb.7089:                             ;   in Loop: Header=BB6_5473 Depth=4
	v_bfe_u32 v1, v0, 21, 1
	v_add_co_u32_e64 v1, s[28:29], v0, v1
	v_add_co_u32_e64 v1, s[28:29], -1, v1
; %bb.7090:                             ;   in Loop: Header=BB6_5473 Depth=4
	s_or_b64 exec, exec, s[38:39]
	v_add_u32_e32 v2, 0xffffff81, v8
	v_mov_b32_e32 v8, 0xffffff82
	v_cndmask_b32_e32 v2, v2, v8, vcc
	v_lshrrev_b32_e32 v8, 23, v0
	v_add3_u32 v9, v9, v2, v8
	v_add_u32_e32 v8, 14, v9
	v_and_b32_e32 v1, 0x1fffff, v1
	v_add_u32_e32 v32, v1, v0
	v_cmp_ne_u32_e32 vcc, 0, v8
                                        ; implicit-def: $vgpr0_vgpr1
                                        ; implicit-def: $vgpr2
	s_and_saveexec_b64 s[28:29], vcc
	s_xor_b64 s[28:29], exec, s[28:29]
; %bb.7091:                             ;   in Loop: Header=BB6_5473 Depth=4
	v_cmp_lt_u64_e32 vcc, s[88:89], v[32:33]
	v_add_u32_e32 v0, 15, v9
	v_cndmask_b32_e32 v2, v8, v0, vcc
	v_cndmask_b32_e64 v0, 0, 1, vcc
	v_lshrrev_b64 v[0:1], v0, v[32:33]
; %bb.7092:                             ;   in Loop: Header=BB6_5473 Depth=4
	s_andn2_saveexec_b64 s[28:29], s[28:29]
; %bb.7093:                             ;   in Loop: Header=BB6_5473 Depth=4
	v_mov_b32_e32 v0, v32
	v_mov_b32_e32 v1, v33
	v_bfe_u32 v2, v32, 23, 1
; %bb.7094:                             ;   in Loop: Header=BB6_5473 Depth=4
	s_or_b64 exec, exec, s[28:29]
	v_lshrrev_b64 v[0:1], 21, v[0:1]
	v_cmp_gt_i32_e32 vcc, 32, v2
	v_cndmask_b32_e32 v1, 0, v1, vcc
	v_cndmask_b32_e32 v0, 3, v0, vcc
	v_cmp_eq_u64_e64 s[28:29], 0, v[0:1]
	v_min_i32_e32 v1, 31, v2
	v_lshlrev_b32_e32 v1, 2, v1
	v_cmp_eq_u32_e32 vcc, 0, v2
	v_and_b32_e32 v1, 0xfc, v1
	v_and_or_b32 v0, v0, 3, v1
	s_and_b64 s[28:29], vcc, s[28:29]
	v_cndmask_b32_e64 v0, v0, 0, s[28:29]
	v_or_b32_e32 v0, v0, v7
	buffer_store_dword v0, off, s[0:3], s33 offset:124 ; 4-byte Folded Spill
.LBB6_7095:                             ;   in Loop: Header=BB6_5473 Depth=4
	s_or_b64 exec, exec, s[36:37]
                                        ; implicit-def: $vgpr7
.LBB6_7096:                             ;   in Loop: Header=BB6_5473 Depth=4
	s_andn2_saveexec_b64 s[28:29], s[34:35]
	s_cbranch_execz .LBB6_7098
; %bb.7097:                             ;   in Loop: Header=BB6_5473 Depth=4
	v_or_b32_e32 v0, 0x7b, v7
	buffer_store_dword v0, off, s[0:3], s33 offset:124 ; 4-byte Folded Spill
.LBB6_7098:                             ;   in Loop: Header=BB6_5473 Depth=4
	s_or_b64 exec, exec, s[28:29]
                                        ; implicit-def: $vgpr0
.LBB6_7099:                             ;   in Loop: Header=BB6_5473 Depth=4
	s_andn2_saveexec_b64 s[28:29], s[30:31]
	s_cbranch_execz .LBB6_7105
; %bb.7100:                             ;   in Loop: Header=BB6_5473 Depth=4
	v_cmp_ne_u64_e32 vcc, 0, v[32:33]
                                        ; implicit-def: $vgpr1
                                        ; kill: killed $vgpr1
	s_and_saveexec_b64 s[62:63], vcc
	s_xor_b64 vcc, exec, s[62:63]
	s_cbranch_execz .LBB6_7102
; %bb.7101:                             ;   in Loop: Header=BB6_5473 Depth=4
	v_or_b32_sdwa v0, v0, s44 dst_sel:DWORD dst_unused:UNUSED_PAD src0_sel:BYTE_3 src1_sel:DWORD
	buffer_store_dword v0, off, s[0:3], s33 offset:124 ; 4-byte Folded Spill
                                        ; implicit-def: $vgpr0
.LBB6_7102:                             ;   in Loop: Header=BB6_5473 Depth=4
	s_andn2_saveexec_b64 s[30:31], vcc
	s_cbranch_execz .LBB6_7104
; %bb.7103:                             ;   in Loop: Header=BB6_5473 Depth=4
	v_cmp_lt_i32_e32 vcc, -1, v0
	v_bfrev_b32_e32 v0, 0.5
	v_mov_b32_e32 v1, 0x7c
	v_cndmask_b32_e32 v0, v0, v1, vcc
	buffer_store_dword v0, off, s[0:3], s33 offset:124 ; 4-byte Folded Spill
.LBB6_7104:                             ;   in Loop: Header=BB6_5473 Depth=4
	s_or_b64 exec, exec, s[30:31]
.LBB6_7105:                             ;   in Loop: Header=BB6_5473 Depth=4
	s_or_b64 exec, exec, s[28:29]
	v_lshrrev_b32_e32 v0, 16, v10
	v_cmp_ne_u16_sdwa s[62:63], v0, v33 src0_sel:BYTE_0 src1_sel:DWORD
	v_mov_b32_e32 v1, 0
	s_and_saveexec_b64 s[28:29], s[62:63]
	s_cbranch_execz .LBB6_7113
; %bb.7106:                             ;   in Loop: Header=BB6_5473 Depth=4
	v_cmp_ne_u16_sdwa s[62:63], v0, s97 src0_sel:BYTE_0 src1_sel:DWORD
	v_bfrev_b32_e32 v1, 1
	s_and_saveexec_b64 s[30:31], s[62:63]
	s_cbranch_execz .LBB6_7112
; %bb.7107:                             ;   in Loop: Header=BB6_5473 Depth=4
	v_and_b32_e32 v1, 0x7c0000, v10
	v_bfe_u32 v2, v10, 16, 2
	v_cmp_ne_u32_e32 vcc, s45, v1
                                        ; implicit-def: $vgpr1
	s_and_saveexec_b64 s[62:63], vcc
	s_xor_b64 s[34:35], exec, s[62:63]
	s_cbranch_execz .LBB6_7109
; %bb.7108:                             ;   in Loop: Header=BB6_5473 Depth=4
	v_ffbh_u32_e32 v1, v2
	v_min_u32_e32 v8, 32, v1
	v_subrev_u32_e32 v1, 29, v8
	v_lshlrev_b64 v[0:1], v1, v[0:1]
	v_bfe_u32 v7, v10, 18, 5
	v_and_b32_e32 v0, 3, v0
	v_cmp_eq_u32_e32 vcc, 0, v7
	v_sub_u32_e32 v1, 30, v8
	v_cndmask_b32_e32 v0, v2, v0, vcc
	v_lshlrev_b32_e32 v2, 8, v10
	v_cndmask_b32_e32 v1, v7, v1, vcc
	v_and_b32_e32 v2, 0x80000000, v2
	v_lshl_add_u32 v1, v1, 23, v2
	v_lshl_or_b32 v0, v0, 21, v1
	v_add_u32_e32 v1, 0x38000000, v0
                                        ; implicit-def: $vgpr2
                                        ; implicit-def: $vgpr0
.LBB6_7109:                             ;   in Loop: Header=BB6_5473 Depth=4
	s_andn2_saveexec_b64 s[34:35], s[34:35]
; %bb.7110:                             ;   in Loop: Header=BB6_5473 Depth=4
	v_mov_b32_e32 v1, -1
	v_cmp_gt_i16_sdwa vcc, sext(v0), v1 src0_sel:BYTE_0 src1_sel:DWORD
	v_mov_b32_e32 v0, 0xff800000
	v_mov_b32_e32 v1, 0x7f800000
	v_cndmask_b32_e32 v0, v0, v1, vcc
	v_cmp_eq_u32_e32 vcc, 0, v2
	v_mov_b32_e32 v1, 0x7f800001
	v_cndmask_b32_e32 v1, v1, v0, vcc
; %bb.7111:                             ;   in Loop: Header=BB6_5473 Depth=4
	s_or_b64 exec, exec, s[34:35]
.LBB6_7112:                             ;   in Loop: Header=BB6_5473 Depth=4
	s_or_b64 exec, exec, s[30:31]
.LBB6_7113:                             ;   in Loop: Header=BB6_5473 Depth=4
	s_or_b64 exec, exec, s[28:29]
	v_mul_f32_e32 v0, v12, v1
	v_and_b32_e32 v1, 0x7f800000, v0
	v_mov_b32_e32 v2, v33
	v_cmp_ne_u64_e32 vcc, s[76:77], v[1:2]
	v_and_b32_e32 v32, 0x7fffff, v0
                                        ; implicit-def: $vgpr1
                                        ; kill: killed $vgpr1
	s_and_saveexec_b64 s[28:29], vcc
	s_xor_b64 s[30:31], exec, s[28:29]
	s_cbranch_execz .LBB6_7127
; %bb.7114:                             ;   in Loop: Header=BB6_5473 Depth=4
	v_and_b32_e32 v1, 0x7fffffff, v0
	v_mov_b32_e32 v2, v33
	v_cmp_gt_u64_e32 vcc, s[78:79], v[1:2]
	v_and_b32_sdwa v7, v0, s97 dst_sel:DWORD dst_unused:UNUSED_PAD src0_sel:BYTE_3 src1_sel:DWORD
                                        ; implicit-def: $vgpr1
                                        ; kill: killed $vgpr1
	s_and_saveexec_b64 s[28:29], vcc
	s_xor_b64 s[34:35], exec, s[28:29]
	s_cbranch_execz .LBB6_7124
; %bb.7115:                             ;   in Loop: Header=BB6_5473 Depth=4
	v_mov_b32_e32 v1, 0
	v_cmp_ne_u32_e32 vcc, 0, v0
	buffer_store_dword v1, off, s[0:3], s33 offset:140 ; 4-byte Folded Spill
	s_and_saveexec_b64 s[36:37], vcc
	s_cbranch_execz .LBB6_7123
; %bb.7116:                             ;   in Loop: Header=BB6_5473 Depth=4
	v_bfe_u32 v8, v0, 23, 8
	v_cmp_gt_u32_e64 s[28:29], s47, v8
	v_sub_u32_e32 v0, 0x71, v8
	v_cmp_eq_u32_e32 vcc, 0, v8
	v_cndmask_b32_e64 v0, 0, v0, s[28:29]
	v_mov_b32_e32 v2, 0x70
	v_cndmask_b32_e32 v9, v0, v2, vcc
	v_add_u32_e32 v2, 21, v9
	v_or_b32_e32 v1, 0x800000, v32
	v_lshlrev_b64 v[13:14], v2, -1
	v_cndmask_b32_e32 v0, v1, v32, vcc
	v_mov_b32_e32 v1, v33
	v_add_u32_e32 v2, 20, v9
	v_bfi_b32 v13, v13, 0, v0
	v_lshlrev_b64 v[15:16], v2, 1
	v_lshrrev_b64 v[0:1], v9, v[0:1]
	v_bfi_b32 v14, v14, 0, 0
	v_cmp_eq_u64_e64 s[28:29], v[13:14], v[15:16]
	v_mov_b32_e32 v2, v1
	v_mov_b32_e32 v1, v0
	s_and_saveexec_b64 s[38:39], s[28:29]
; %bb.7117:                             ;   in Loop: Header=BB6_5473 Depth=4
	v_bfe_u32 v1, v0, 21, 1
	v_add_co_u32_e64 v1, s[28:29], v0, v1
	v_add_co_u32_e64 v1, s[28:29], -1, v1
; %bb.7118:                             ;   in Loop: Header=BB6_5473 Depth=4
	s_or_b64 exec, exec, s[38:39]
	v_add_u32_e32 v2, 0xffffff81, v8
	v_mov_b32_e32 v8, 0xffffff82
	v_cndmask_b32_e32 v2, v2, v8, vcc
	v_lshrrev_b32_e32 v8, 23, v0
	v_add3_u32 v9, v9, v2, v8
	v_add_u32_e32 v8, 14, v9
	v_and_b32_e32 v1, 0x1fffff, v1
	v_add_u32_e32 v32, v1, v0
	v_cmp_ne_u32_e32 vcc, 0, v8
                                        ; implicit-def: $vgpr0_vgpr1
                                        ; implicit-def: $vgpr2
	s_and_saveexec_b64 s[28:29], vcc
	s_xor_b64 s[28:29], exec, s[28:29]
; %bb.7119:                             ;   in Loop: Header=BB6_5473 Depth=4
	v_cmp_lt_u64_e32 vcc, s[88:89], v[32:33]
	v_add_u32_e32 v0, 15, v9
	v_cndmask_b32_e32 v2, v8, v0, vcc
	v_cndmask_b32_e64 v0, 0, 1, vcc
	v_lshrrev_b64 v[0:1], v0, v[32:33]
; %bb.7120:                             ;   in Loop: Header=BB6_5473 Depth=4
	s_andn2_saveexec_b64 s[28:29], s[28:29]
; %bb.7121:                             ;   in Loop: Header=BB6_5473 Depth=4
	v_mov_b32_e32 v0, v32
	v_mov_b32_e32 v1, v33
	v_bfe_u32 v2, v32, 23, 1
; %bb.7122:                             ;   in Loop: Header=BB6_5473 Depth=4
	s_or_b64 exec, exec, s[28:29]
	v_lshrrev_b64 v[0:1], 21, v[0:1]
	v_cmp_gt_i32_e32 vcc, 32, v2
	v_cndmask_b32_e32 v1, 0, v1, vcc
	v_cndmask_b32_e32 v0, 3, v0, vcc
	v_cmp_eq_u64_e64 s[28:29], 0, v[0:1]
	v_min_i32_e32 v1, 31, v2
	v_lshlrev_b32_e32 v1, 2, v1
	v_cmp_eq_u32_e32 vcc, 0, v2
	v_and_b32_e32 v1, 0xfc, v1
	v_and_or_b32 v0, v0, 3, v1
	s_and_b64 s[28:29], vcc, s[28:29]
	v_cndmask_b32_e64 v0, v0, 0, s[28:29]
	v_or_b32_e32 v0, v0, v7
	buffer_store_dword v0, off, s[0:3], s33 offset:140 ; 4-byte Folded Spill
.LBB6_7123:                             ;   in Loop: Header=BB6_5473 Depth=4
	s_or_b64 exec, exec, s[36:37]
                                        ; implicit-def: $vgpr7
.LBB6_7124:                             ;   in Loop: Header=BB6_5473 Depth=4
	s_andn2_saveexec_b64 s[28:29], s[34:35]
	s_cbranch_execz .LBB6_7126
; %bb.7125:                             ;   in Loop: Header=BB6_5473 Depth=4
	v_or_b32_e32 v0, 0x7b, v7
	buffer_store_dword v0, off, s[0:3], s33 offset:140 ; 4-byte Folded Spill
.LBB6_7126:                             ;   in Loop: Header=BB6_5473 Depth=4
	s_or_b64 exec, exec, s[28:29]
                                        ; implicit-def: $vgpr0
.LBB6_7127:                             ;   in Loop: Header=BB6_5473 Depth=4
	s_andn2_saveexec_b64 s[28:29], s[30:31]
	s_cbranch_execz .LBB6_7133
; %bb.7128:                             ;   in Loop: Header=BB6_5473 Depth=4
	v_cmp_ne_u64_e32 vcc, 0, v[32:33]
                                        ; implicit-def: $vgpr1
                                        ; kill: killed $vgpr1
	s_and_saveexec_b64 s[62:63], vcc
	s_xor_b64 vcc, exec, s[62:63]
	s_cbranch_execz .LBB6_7130
; %bb.7129:                             ;   in Loop: Header=BB6_5473 Depth=4
	v_or_b32_sdwa v0, v0, s44 dst_sel:DWORD dst_unused:UNUSED_PAD src0_sel:BYTE_3 src1_sel:DWORD
	buffer_store_dword v0, off, s[0:3], s33 offset:140 ; 4-byte Folded Spill
                                        ; implicit-def: $vgpr0
.LBB6_7130:                             ;   in Loop: Header=BB6_5473 Depth=4
	s_andn2_saveexec_b64 s[30:31], vcc
	s_cbranch_execz .LBB6_7132
; %bb.7131:                             ;   in Loop: Header=BB6_5473 Depth=4
	v_cmp_lt_i32_e32 vcc, -1, v0
	v_bfrev_b32_e32 v0, 0.5
	v_mov_b32_e32 v1, 0x7c
	v_cndmask_b32_e32 v0, v0, v1, vcc
	buffer_store_dword v0, off, s[0:3], s33 offset:140 ; 4-byte Folded Spill
.LBB6_7132:                             ;   in Loop: Header=BB6_5473 Depth=4
	s_or_b64 exec, exec, s[30:31]
.LBB6_7133:                             ;   in Loop: Header=BB6_5473 Depth=4
	s_or_b64 exec, exec, s[28:29]
	v_cmp_lt_u32_e32 vcc, s57, v10
	v_mov_b32_e32 v1, 0
	s_and_saveexec_b64 s[28:29], vcc
	s_cbranch_execz .LBB6_7141
; %bb.7134:                             ;   in Loop: Header=BB6_5473 Depth=4
	v_lshrrev_b32_e32 v0, 24, v10
	v_cmp_ne_u32_e32 vcc, s97, v0
	v_bfrev_b32_e32 v1, 1
	s_and_saveexec_b64 s[30:31], vcc
	s_cbranch_execz .LBB6_7140
; %bb.7135:                             ;   in Loop: Header=BB6_5473 Depth=4
	v_and_b32_e32 v1, 0x7c000000, v10
	v_bfe_u32 v2, v10, 24, 2
	v_cmp_ne_u32_e32 vcc, s68, v1
                                        ; implicit-def: $vgpr1
	s_and_saveexec_b64 s[62:63], vcc
	s_xor_b64 s[34:35], exec, s[62:63]
	s_cbranch_execz .LBB6_7137
; %bb.7136:                             ;   in Loop: Header=BB6_5473 Depth=4
	v_ffbh_u32_e32 v1, v2
	v_min_u32_e32 v8, 32, v1
	v_subrev_u32_e32 v1, 29, v8
	v_lshlrev_b64 v[0:1], v1, v[0:1]
	v_bfe_u32 v7, v10, 26, 5
	v_sub_u32_e32 v1, 30, v8
	v_and_b32_e32 v0, 3, v0
	v_cmp_eq_u32_e32 vcc, 0, v7
	v_cndmask_b32_e32 v1, v7, v1, vcc
	v_cndmask_b32_e32 v0, v2, v0, vcc
	v_and_b32_e32 v2, 0x80000000, v10
	v_lshl_add_u32 v1, v1, 23, v2
	v_lshl_or_b32 v0, v0, 21, v1
	v_add_u32_e32 v1, 0x38000000, v0
                                        ; implicit-def: $vgpr2
.LBB6_7137:                             ;   in Loop: Header=BB6_5473 Depth=4
	s_andn2_saveexec_b64 s[34:35], s[34:35]
; %bb.7138:                             ;   in Loop: Header=BB6_5473 Depth=4
	v_cmp_lt_i32_e32 vcc, -1, v10
	v_mov_b32_e32 v0, 0xff800000
	v_mov_b32_e32 v1, 0x7f800000
	v_cndmask_b32_e32 v0, v0, v1, vcc
	v_cmp_eq_u32_e32 vcc, 0, v2
	v_mov_b32_e32 v1, 0x7f800001
	v_cndmask_b32_e32 v1, v1, v0, vcc
; %bb.7139:                             ;   in Loop: Header=BB6_5473 Depth=4
	s_or_b64 exec, exec, s[34:35]
.LBB6_7140:                             ;   in Loop: Header=BB6_5473 Depth=4
	s_or_b64 exec, exec, s[30:31]
.LBB6_7141:                             ;   in Loop: Header=BB6_5473 Depth=4
	s_or_b64 exec, exec, s[28:29]
	v_mul_f32_e32 v0, v12, v1
	v_and_b32_e32 v1, 0x7f800000, v0
	v_mov_b32_e32 v2, v33
	v_cmp_ne_u64_e32 vcc, s[76:77], v[1:2]
	v_and_b32_e32 v32, 0x7fffff, v0
                                        ; implicit-def: $vgpr1
                                        ; kill: killed $vgpr1
	s_and_saveexec_b64 s[28:29], vcc
	s_xor_b64 s[30:31], exec, s[28:29]
	s_cbranch_execz .LBB6_7155
; %bb.7142:                             ;   in Loop: Header=BB6_5473 Depth=4
	v_and_b32_e32 v1, 0x7fffffff, v0
	v_mov_b32_e32 v2, v33
	v_cmp_gt_u64_e32 vcc, s[78:79], v[1:2]
	v_and_b32_sdwa v7, v0, s97 dst_sel:DWORD dst_unused:UNUSED_PAD src0_sel:BYTE_3 src1_sel:DWORD
                                        ; implicit-def: $vgpr1
                                        ; kill: killed $vgpr1
	s_and_saveexec_b64 s[28:29], vcc
	s_xor_b64 s[34:35], exec, s[28:29]
	s_cbranch_execz .LBB6_7152
; %bb.7143:                             ;   in Loop: Header=BB6_5473 Depth=4
	v_mov_b32_e32 v1, 0
	v_cmp_ne_u32_e32 vcc, 0, v0
	buffer_store_dword v1, off, s[0:3], s33 offset:164 ; 4-byte Folded Spill
	s_and_saveexec_b64 s[36:37], vcc
	s_cbranch_execz .LBB6_7151
; %bb.7144:                             ;   in Loop: Header=BB6_5473 Depth=4
	v_bfe_u32 v8, v0, 23, 8
	v_cmp_gt_u32_e64 s[28:29], s47, v8
	v_sub_u32_e32 v0, 0x71, v8
	v_cmp_eq_u32_e32 vcc, 0, v8
	v_cndmask_b32_e64 v0, 0, v0, s[28:29]
	v_mov_b32_e32 v2, 0x70
	v_cndmask_b32_e32 v9, v0, v2, vcc
	v_add_u32_e32 v2, 21, v9
	v_or_b32_e32 v1, 0x800000, v32
	v_lshlrev_b64 v[13:14], v2, -1
	v_cndmask_b32_e32 v0, v1, v32, vcc
	v_mov_b32_e32 v1, v33
	v_add_u32_e32 v2, 20, v9
	v_bfi_b32 v13, v13, 0, v0
	v_lshlrev_b64 v[15:16], v2, 1
	v_lshrrev_b64 v[0:1], v9, v[0:1]
	v_bfi_b32 v14, v14, 0, 0
	v_cmp_eq_u64_e64 s[28:29], v[13:14], v[15:16]
	v_mov_b32_e32 v2, v1
	v_mov_b32_e32 v1, v0
	s_and_saveexec_b64 s[38:39], s[28:29]
; %bb.7145:                             ;   in Loop: Header=BB6_5473 Depth=4
	v_bfe_u32 v1, v0, 21, 1
	v_add_co_u32_e64 v1, s[28:29], v0, v1
	v_add_co_u32_e64 v1, s[28:29], -1, v1
; %bb.7146:                             ;   in Loop: Header=BB6_5473 Depth=4
	s_or_b64 exec, exec, s[38:39]
	v_add_u32_e32 v2, 0xffffff81, v8
	v_mov_b32_e32 v8, 0xffffff82
	v_cndmask_b32_e32 v2, v2, v8, vcc
	v_lshrrev_b32_e32 v8, 23, v0
	v_add3_u32 v9, v9, v2, v8
	v_add_u32_e32 v8, 14, v9
	v_and_b32_e32 v1, 0x1fffff, v1
	v_add_u32_e32 v32, v1, v0
	v_cmp_ne_u32_e32 vcc, 0, v8
                                        ; implicit-def: $vgpr0_vgpr1
                                        ; implicit-def: $vgpr2
	s_and_saveexec_b64 s[28:29], vcc
	s_xor_b64 s[28:29], exec, s[28:29]
; %bb.7147:                             ;   in Loop: Header=BB6_5473 Depth=4
	v_cmp_lt_u64_e32 vcc, s[88:89], v[32:33]
	v_add_u32_e32 v0, 15, v9
	v_cndmask_b32_e32 v2, v8, v0, vcc
	v_cndmask_b32_e64 v0, 0, 1, vcc
	v_lshrrev_b64 v[0:1], v0, v[32:33]
; %bb.7148:                             ;   in Loop: Header=BB6_5473 Depth=4
	s_andn2_saveexec_b64 s[28:29], s[28:29]
; %bb.7149:                             ;   in Loop: Header=BB6_5473 Depth=4
	v_mov_b32_e32 v0, v32
	v_mov_b32_e32 v1, v33
	v_bfe_u32 v2, v32, 23, 1
; %bb.7150:                             ;   in Loop: Header=BB6_5473 Depth=4
	s_or_b64 exec, exec, s[28:29]
	v_lshrrev_b64 v[0:1], 21, v[0:1]
	v_cmp_gt_i32_e32 vcc, 32, v2
	v_cndmask_b32_e32 v1, 0, v1, vcc
	v_cndmask_b32_e32 v0, 3, v0, vcc
	v_cmp_eq_u64_e64 s[28:29], 0, v[0:1]
	v_min_i32_e32 v1, 31, v2
	v_lshlrev_b32_e32 v1, 2, v1
	v_cmp_eq_u32_e32 vcc, 0, v2
	v_and_b32_e32 v1, 0xfc, v1
	v_and_or_b32 v0, v0, 3, v1
	s_and_b64 s[28:29], vcc, s[28:29]
	v_cndmask_b32_e64 v0, v0, 0, s[28:29]
	v_or_b32_e32 v0, v0, v7
	buffer_store_dword v0, off, s[0:3], s33 offset:164 ; 4-byte Folded Spill
.LBB6_7151:                             ;   in Loop: Header=BB6_5473 Depth=4
	s_or_b64 exec, exec, s[36:37]
                                        ; implicit-def: $vgpr7
.LBB6_7152:                             ;   in Loop: Header=BB6_5473 Depth=4
	s_andn2_saveexec_b64 s[28:29], s[34:35]
	s_cbranch_execz .LBB6_7154
; %bb.7153:                             ;   in Loop: Header=BB6_5473 Depth=4
	v_or_b32_e32 v0, 0x7b, v7
	buffer_store_dword v0, off, s[0:3], s33 offset:164 ; 4-byte Folded Spill
.LBB6_7154:                             ;   in Loop: Header=BB6_5473 Depth=4
	s_or_b64 exec, exec, s[28:29]
                                        ; implicit-def: $vgpr0
.LBB6_7155:                             ;   in Loop: Header=BB6_5473 Depth=4
	s_andn2_saveexec_b64 s[28:29], s[30:31]
	s_cbranch_execz .LBB6_7161
; %bb.7156:                             ;   in Loop: Header=BB6_5473 Depth=4
	v_cmp_ne_u64_e32 vcc, 0, v[32:33]
                                        ; implicit-def: $vgpr1
                                        ; kill: killed $vgpr1
	s_and_saveexec_b64 s[62:63], vcc
	s_xor_b64 vcc, exec, s[62:63]
	s_cbranch_execz .LBB6_7158
; %bb.7157:                             ;   in Loop: Header=BB6_5473 Depth=4
	v_or_b32_sdwa v0, v0, s44 dst_sel:DWORD dst_unused:UNUSED_PAD src0_sel:BYTE_3 src1_sel:DWORD
	buffer_store_dword v0, off, s[0:3], s33 offset:164 ; 4-byte Folded Spill
                                        ; implicit-def: $vgpr0
.LBB6_7158:                             ;   in Loop: Header=BB6_5473 Depth=4
	s_andn2_saveexec_b64 s[30:31], vcc
	s_cbranch_execz .LBB6_7160
; %bb.7159:                             ;   in Loop: Header=BB6_5473 Depth=4
	v_cmp_lt_i32_e32 vcc, -1, v0
	v_bfrev_b32_e32 v0, 0.5
	v_mov_b32_e32 v1, 0x7c
	v_cndmask_b32_e32 v0, v0, v1, vcc
	buffer_store_dword v0, off, s[0:3], s33 offset:164 ; 4-byte Folded Spill
.LBB6_7160:                             ;   in Loop: Header=BB6_5473 Depth=4
	s_or_b64 exec, exec, s[30:31]
.LBB6_7161:                             ;   in Loop: Header=BB6_5473 Depth=4
	s_or_b64 exec, exec, s[28:29]
	v_mov_b32_e32 v32, v11
	v_cmp_ne_u16_sdwa s[62:63], v11, v33 src0_sel:BYTE_0 src1_sel:DWORD
	v_mov_b32_e32 v0, 0
	s_and_saveexec_b64 s[28:29], s[62:63]
	s_cbranch_execz .LBB6_7169
; %bb.7162:                             ;   in Loop: Header=BB6_5473 Depth=4
	v_cmp_ne_u16_sdwa s[62:63], v11, s97 src0_sel:BYTE_0 src1_sel:DWORD
	v_bfrev_b32_e32 v0, 1
	s_and_saveexec_b64 s[30:31], s[62:63]
	s_cbranch_execz .LBB6_7168
; %bb.7163:                             ;   in Loop: Header=BB6_5473 Depth=4
	v_and_b32_e32 v0, 0x7c, v11
	v_and_b32_e32 v1, 3, v11
	v_cmp_ne_u32_e32 vcc, s86, v0
                                        ; implicit-def: $vgpr0
	s_and_saveexec_b64 s[62:63], vcc
	s_xor_b64 s[34:35], exec, s[62:63]
	s_cbranch_execz .LBB6_7165
; %bb.7164:                             ;   in Loop: Header=BB6_5473 Depth=4
	v_ffbh_u32_e32 v2, v1
	v_min_u32_e32 v2, 32, v2
	v_bfe_u32 v0, v11, 2, 5
	v_subrev_u32_e32 v7, 29, v2
	v_lshlrev_b64 v[7:8], v7, v[32:33]
	v_sub_u32_e32 v2, 30, v2
	v_cmp_eq_u32_e32 vcc, 0, v0
	v_cndmask_b32_e32 v0, v0, v2, vcc
	v_lshlrev_b32_e32 v2, 24, v11
	v_and_b32_e32 v7, 3, v7
	v_and_b32_e32 v2, 0x80000000, v2
	v_cndmask_b32_e32 v1, v1, v7, vcc
	v_lshl_add_u32 v0, v0, 23, v2
	v_lshl_or_b32 v0, v1, 21, v0
	v_add_u32_e32 v0, 0x38000000, v0
                                        ; implicit-def: $vgpr1
.LBB6_7165:                             ;   in Loop: Header=BB6_5473 Depth=4
	s_andn2_saveexec_b64 s[34:35], s[34:35]
; %bb.7166:                             ;   in Loop: Header=BB6_5473 Depth=4
	v_mov_b32_e32 v0, -1
	v_cmp_gt_i16_sdwa vcc, sext(v11), v0 src0_sel:BYTE_0 src1_sel:DWORD
	v_mov_b32_e32 v0, 0xff800000
	v_mov_b32_e32 v2, 0x7f800000
	v_cndmask_b32_e32 v0, v0, v2, vcc
	v_cmp_eq_u32_e32 vcc, 0, v1
	v_mov_b32_e32 v1, 0x7f800001
	v_cndmask_b32_e32 v0, v1, v0, vcc
; %bb.7167:                             ;   in Loop: Header=BB6_5473 Depth=4
	s_or_b64 exec, exec, s[34:35]
.LBB6_7168:                             ;   in Loop: Header=BB6_5473 Depth=4
	s_or_b64 exec, exec, s[30:31]
.LBB6_7169:                             ;   in Loop: Header=BB6_5473 Depth=4
	s_or_b64 exec, exec, s[28:29]
	v_mul_f32_e32 v2, v12, v0
	v_and_b32_e32 v7, 0x7f800000, v2
	v_mov_b32_e32 v8, v33
	v_cmp_ne_u64_e32 vcc, s[76:77], v[7:8]
	v_and_b32_e32 v0, 0x7fffff, v2
	v_mov_b32_e32 v1, v33
                                        ; implicit-def: $vgpr7
	s_and_saveexec_b64 s[28:29], vcc
	s_xor_b64 s[30:31], exec, s[28:29]
	s_cbranch_execz .LBB6_7183
; %bb.7170:                             ;   in Loop: Header=BB6_5473 Depth=4
	v_and_b32_e32 v7, 0x7fffffff, v2
	v_mov_b32_e32 v8, v33
	v_cmp_gt_u64_e32 vcc, s[78:79], v[7:8]
	v_and_b32_sdwa v8, v2, s97 dst_sel:DWORD dst_unused:UNUSED_PAD src0_sel:BYTE_3 src1_sel:DWORD
                                        ; implicit-def: $vgpr7
	s_and_saveexec_b64 s[28:29], vcc
	s_xor_b64 s[34:35], exec, s[28:29]
	s_cbranch_execz .LBB6_7180
; %bb.7171:                             ;   in Loop: Header=BB6_5473 Depth=4
	v_mov_b32_e32 v7, 0
	v_cmp_ne_u32_e32 vcc, 0, v2
	s_and_saveexec_b64 s[36:37], vcc
	s_cbranch_execz .LBB6_7179
; %bb.7172:                             ;   in Loop: Header=BB6_5473 Depth=4
	v_bfe_u32 v7, v2, 23, 8
	v_cmp_gt_u32_e64 s[28:29], s47, v7
	v_sub_u32_e32 v2, 0x71, v7
	v_cmp_eq_u32_e32 vcc, 0, v7
	v_cndmask_b32_e64 v2, 0, v2, s[28:29]
	v_mov_b32_e32 v9, 0x70
	v_cndmask_b32_e32 v9, v2, v9, vcc
	v_or_b32_e32 v13, 0x800000, v0
	v_add_u32_e32 v2, 21, v9
	v_cndmask_b32_e32 v0, v13, v0, vcc
	v_lshlrev_b64 v[13:14], v2, -1
	v_add_u32_e32 v2, 20, v9
	v_bfi_b32 v13, v13, 0, v0
	v_lshlrev_b64 v[15:16], v2, 1
	v_lshrrev_b64 v[0:1], v9, v[0:1]
	v_bfi_b32 v14, v14, 0, 0
	v_cmp_eq_u64_e64 s[28:29], v[13:14], v[15:16]
	v_mov_b32_e32 v2, v1
	v_mov_b32_e32 v1, v0
	s_and_saveexec_b64 s[38:39], s[28:29]
; %bb.7173:                             ;   in Loop: Header=BB6_5473 Depth=4
	v_bfe_u32 v1, v0, 21, 1
	v_add_co_u32_e64 v1, s[28:29], v0, v1
	v_add_co_u32_e64 v1, s[28:29], -1, v1
; %bb.7174:                             ;   in Loop: Header=BB6_5473 Depth=4
	s_or_b64 exec, exec, s[38:39]
	v_add_u32_e32 v2, 0xffffff81, v7
	v_mov_b32_e32 v7, 0xffffff82
	v_cndmask_b32_e32 v2, v2, v7, vcc
	v_lshrrev_b32_e32 v7, 23, v0
	v_add3_u32 v9, v9, v2, v7
	v_add_u32_e32 v7, 14, v9
	v_and_b32_e32 v1, 0x1fffff, v1
	v_add_u32_e32 v0, v1, v0
	v_mov_b32_e32 v1, v33
	v_cmp_ne_u32_e32 vcc, 0, v7
                                        ; implicit-def: $vgpr2
	s_and_saveexec_b64 s[28:29], vcc
	s_xor_b64 s[28:29], exec, s[28:29]
; %bb.7175:                             ;   in Loop: Header=BB6_5473 Depth=4
	v_cmp_lt_u64_e32 vcc, s[88:89], v[0:1]
	v_add_u32_e32 v2, 15, v9
	v_cndmask_b32_e32 v2, v7, v2, vcc
	v_cndmask_b32_e64 v7, 0, 1, vcc
	v_lshrrev_b64 v[0:1], v7, v[0:1]
; %bb.7176:                             ;   in Loop: Header=BB6_5473 Depth=4
	s_andn2_saveexec_b64 s[28:29], s[28:29]
; %bb.7177:                             ;   in Loop: Header=BB6_5473 Depth=4
	v_bfe_u32 v2, v0, 23, 1
; %bb.7178:                             ;   in Loop: Header=BB6_5473 Depth=4
	s_or_b64 exec, exec, s[28:29]
	v_lshrrev_b64 v[0:1], 21, v[0:1]
	v_cmp_gt_i32_e32 vcc, 32, v2
	v_cndmask_b32_e32 v1, 0, v1, vcc
	v_cndmask_b32_e32 v0, 3, v0, vcc
	v_cmp_eq_u64_e64 s[28:29], 0, v[0:1]
	v_min_i32_e32 v1, 31, v2
	v_lshlrev_b32_e32 v1, 2, v1
	v_cmp_eq_u32_e32 vcc, 0, v2
	v_and_b32_e32 v1, 0xfc, v1
	v_and_or_b32 v0, v0, 3, v1
	s_and_b64 s[28:29], vcc, s[28:29]
	v_cndmask_b32_e64 v0, v0, 0, s[28:29]
	v_or_b32_e32 v7, v0, v8
.LBB6_7179:                             ;   in Loop: Header=BB6_5473 Depth=4
	s_or_b64 exec, exec, s[36:37]
                                        ; implicit-def: $vgpr8
.LBB6_7180:                             ;   in Loop: Header=BB6_5473 Depth=4
	s_andn2_saveexec_b64 s[28:29], s[34:35]
; %bb.7181:                             ;   in Loop: Header=BB6_5473 Depth=4
	v_or_b32_e32 v7, 0x7b, v8
; %bb.7182:                             ;   in Loop: Header=BB6_5473 Depth=4
	s_or_b64 exec, exec, s[28:29]
                                        ; implicit-def: $vgpr2
                                        ; implicit-def: $vgpr0_vgpr1
.LBB6_7183:                             ;   in Loop: Header=BB6_5473 Depth=4
	s_andn2_saveexec_b64 s[28:29], s[30:31]
	s_cbranch_execz .LBB6_7189
; %bb.7184:                             ;   in Loop: Header=BB6_5473 Depth=4
	v_cmp_ne_u64_e32 vcc, 0, v[0:1]
                                        ; implicit-def: $vgpr7
	s_and_saveexec_b64 s[62:63], vcc
	s_xor_b64 vcc, exec, s[62:63]
; %bb.7185:                             ;   in Loop: Header=BB6_5473 Depth=4
	v_or_b32_sdwa v7, v2, s44 dst_sel:DWORD dst_unused:UNUSED_PAD src0_sel:BYTE_3 src1_sel:DWORD
                                        ; implicit-def: $vgpr2
; %bb.7186:                             ;   in Loop: Header=BB6_5473 Depth=4
	s_andn2_saveexec_b64 s[30:31], vcc
; %bb.7187:                             ;   in Loop: Header=BB6_5473 Depth=4
	v_cmp_lt_i32_e32 vcc, -1, v2
	v_bfrev_b32_e32 v0, 0.5
	v_mov_b32_e32 v1, 0x7c
	v_cndmask_b32_e32 v7, v0, v1, vcc
; %bb.7188:                             ;   in Loop: Header=BB6_5473 Depth=4
	s_or_b64 exec, exec, s[30:31]
.LBB6_7189:                             ;   in Loop: Header=BB6_5473 Depth=4
	s_or_b64 exec, exec, s[28:29]
	v_lshrrev_b16_e32 v0, 8, v32
	v_cmp_ne_u16_e32 vcc, 0, v0
	v_mov_b32_e32 v1, 0
	s_and_saveexec_b64 s[28:29], vcc
	s_cbranch_execz .LBB6_7197
; %bb.7190:                             ;   in Loop: Header=BB6_5473 Depth=4
	v_cmp_ne_u16_e32 vcc, s97, v0
	v_bfrev_b32_e32 v1, 1
	s_and_saveexec_b64 s[30:31], vcc
	s_cbranch_execz .LBB6_7196
; %bb.7191:                             ;   in Loop: Header=BB6_5473 Depth=4
	v_and_b32_e32 v1, 0x7c, v0
	v_and_b32_e32 v2, 3, v0
	v_cmp_ne_u32_e32 vcc, s86, v1
                                        ; implicit-def: $vgpr1
	s_and_saveexec_b64 s[62:63], vcc
	s_xor_b64 s[34:35], exec, s[62:63]
	s_cbranch_execz .LBB6_7193
; %bb.7192:                             ;   in Loop: Header=BB6_5473 Depth=4
	v_ffbh_u32_e32 v9, v2
	v_min_u32_e32 v9, 32, v9
	v_mov_b32_e32 v1, v33
	v_subrev_u32_e32 v13, 29, v9
	v_bfe_u32 v8, v0, 2, 5
	v_lshlrev_b64 v[0:1], v13, v[0:1]
	v_cmp_eq_u32_e32 vcc, 0, v8
	v_and_b32_e32 v0, 3, v0
	v_sub_u32_e32 v1, 30, v9
	v_cndmask_b32_e32 v0, v2, v0, vcc
	v_lshlrev_b32_e32 v2, 16, v32
	v_cndmask_b32_e32 v1, v8, v1, vcc
	v_and_b32_e32 v2, 0x80000000, v2
	v_lshl_add_u32 v1, v1, 23, v2
	v_lshl_or_b32 v0, v0, 21, v1
	v_add_u32_e32 v1, 0x38000000, v0
                                        ; implicit-def: $vgpr2
.LBB6_7193:                             ;   in Loop: Header=BB6_5473 Depth=4
	s_andn2_saveexec_b64 s[34:35], s[34:35]
; %bb.7194:                             ;   in Loop: Header=BB6_5473 Depth=4
	v_cmp_lt_i16_e32 vcc, -1, v32
	v_mov_b32_e32 v0, 0xff800000
	v_mov_b32_e32 v1, 0x7f800000
	v_cndmask_b32_e32 v0, v0, v1, vcc
	v_cmp_eq_u32_e32 vcc, 0, v2
	v_mov_b32_e32 v1, 0x7f800001
	v_cndmask_b32_e32 v1, v1, v0, vcc
; %bb.7195:                             ;   in Loop: Header=BB6_5473 Depth=4
	s_or_b64 exec, exec, s[34:35]
.LBB6_7196:                             ;   in Loop: Header=BB6_5473 Depth=4
	s_or_b64 exec, exec, s[30:31]
.LBB6_7197:                             ;   in Loop: Header=BB6_5473 Depth=4
	s_or_b64 exec, exec, s[28:29]
	v_mul_f32_e32 v0, v12, v1
	v_and_b32_e32 v1, 0x7f800000, v0
	v_mov_b32_e32 v2, v33
	v_cmp_ne_u64_e32 vcc, s[76:77], v[1:2]
	v_and_b32_e32 v32, 0x7fffff, v0
                                        ; implicit-def: $vgpr1
                                        ; kill: killed $vgpr1
	s_and_saveexec_b64 s[28:29], vcc
	s_xor_b64 s[30:31], exec, s[28:29]
	s_cbranch_execz .LBB6_7211
; %bb.7198:                             ;   in Loop: Header=BB6_5473 Depth=4
	v_and_b32_e32 v1, 0x7fffffff, v0
	v_mov_b32_e32 v2, v33
	v_cmp_gt_u64_e32 vcc, s[78:79], v[1:2]
	v_and_b32_sdwa v8, v0, s97 dst_sel:DWORD dst_unused:UNUSED_PAD src0_sel:BYTE_3 src1_sel:DWORD
                                        ; implicit-def: $vgpr1
                                        ; kill: killed $vgpr1
	s_and_saveexec_b64 s[28:29], vcc
	s_xor_b64 s[34:35], exec, s[28:29]
	s_cbranch_execz .LBB6_7208
; %bb.7199:                             ;   in Loop: Header=BB6_5473 Depth=4
	v_mov_b32_e32 v1, 0
	v_cmp_ne_u32_e32 vcc, 0, v0
	buffer_store_dword v1, off, s[0:3], s33 offset:100 ; 4-byte Folded Spill
	s_and_saveexec_b64 s[36:37], vcc
	s_cbranch_execz .LBB6_7207
; %bb.7200:                             ;   in Loop: Header=BB6_5473 Depth=4
	v_bfe_u32 v9, v0, 23, 8
	v_cmp_gt_u32_e64 s[28:29], s47, v9
	v_sub_u32_e32 v0, 0x71, v9
	v_cmp_eq_u32_e32 vcc, 0, v9
	v_cndmask_b32_e64 v0, 0, v0, s[28:29]
	v_mov_b32_e32 v2, 0x70
	v_cndmask_b32_e32 v13, v0, v2, vcc
	v_add_u32_e32 v2, 21, v13
	v_or_b32_e32 v1, 0x800000, v32
	v_lshlrev_b64 v[14:15], v2, -1
	v_cndmask_b32_e32 v0, v1, v32, vcc
	v_mov_b32_e32 v1, v33
	v_add_u32_e32 v2, 20, v13
	v_bfi_b32 v14, v14, 0, v0
	v_lshlrev_b64 v[16:17], v2, 1
	v_lshrrev_b64 v[0:1], v13, v[0:1]
	v_bfi_b32 v15, v15, 0, 0
	v_cmp_eq_u64_e64 s[28:29], v[14:15], v[16:17]
	v_mov_b32_e32 v2, v1
	v_mov_b32_e32 v1, v0
	s_and_saveexec_b64 s[38:39], s[28:29]
; %bb.7201:                             ;   in Loop: Header=BB6_5473 Depth=4
	v_bfe_u32 v1, v0, 21, 1
	v_add_co_u32_e64 v1, s[28:29], v0, v1
	v_add_co_u32_e64 v1, s[28:29], -1, v1
; %bb.7202:                             ;   in Loop: Header=BB6_5473 Depth=4
	s_or_b64 exec, exec, s[38:39]
	v_add_u32_e32 v2, 0xffffff81, v9
	v_mov_b32_e32 v9, 0xffffff82
	v_cndmask_b32_e32 v2, v2, v9, vcc
	v_lshrrev_b32_e32 v9, 23, v0
	v_add3_u32 v13, v13, v2, v9
	v_add_u32_e32 v9, 14, v13
	v_and_b32_e32 v1, 0x1fffff, v1
	v_add_u32_e32 v32, v1, v0
	v_cmp_ne_u32_e32 vcc, 0, v9
                                        ; implicit-def: $vgpr0_vgpr1
                                        ; implicit-def: $vgpr2
	s_and_saveexec_b64 s[28:29], vcc
	s_xor_b64 s[28:29], exec, s[28:29]
; %bb.7203:                             ;   in Loop: Header=BB6_5473 Depth=4
	v_cmp_lt_u64_e32 vcc, s[88:89], v[32:33]
	v_add_u32_e32 v0, 15, v13
	v_cndmask_b32_e32 v2, v9, v0, vcc
	v_cndmask_b32_e64 v0, 0, 1, vcc
	v_lshrrev_b64 v[0:1], v0, v[32:33]
; %bb.7204:                             ;   in Loop: Header=BB6_5473 Depth=4
	s_andn2_saveexec_b64 s[28:29], s[28:29]
; %bb.7205:                             ;   in Loop: Header=BB6_5473 Depth=4
	v_mov_b32_e32 v0, v32
	v_mov_b32_e32 v1, v33
	v_bfe_u32 v2, v32, 23, 1
; %bb.7206:                             ;   in Loop: Header=BB6_5473 Depth=4
	s_or_b64 exec, exec, s[28:29]
	v_lshrrev_b64 v[0:1], 21, v[0:1]
	v_cmp_gt_i32_e32 vcc, 32, v2
	v_cndmask_b32_e32 v1, 0, v1, vcc
	v_cndmask_b32_e32 v0, 3, v0, vcc
	v_cmp_eq_u64_e64 s[28:29], 0, v[0:1]
	v_min_i32_e32 v1, 31, v2
	v_lshlrev_b32_e32 v1, 2, v1
	v_cmp_eq_u32_e32 vcc, 0, v2
	v_and_b32_e32 v1, 0xfc, v1
	v_and_or_b32 v0, v0, 3, v1
	s_and_b64 s[28:29], vcc, s[28:29]
	v_cndmask_b32_e64 v0, v0, 0, s[28:29]
	v_or_b32_e32 v0, v0, v8
	buffer_store_dword v0, off, s[0:3], s33 offset:100 ; 4-byte Folded Spill
.LBB6_7207:                             ;   in Loop: Header=BB6_5473 Depth=4
	s_or_b64 exec, exec, s[36:37]
                                        ; implicit-def: $vgpr8
.LBB6_7208:                             ;   in Loop: Header=BB6_5473 Depth=4
	s_andn2_saveexec_b64 s[28:29], s[34:35]
	s_cbranch_execz .LBB6_7210
; %bb.7209:                             ;   in Loop: Header=BB6_5473 Depth=4
	v_or_b32_e32 v0, 0x7b, v8
	buffer_store_dword v0, off, s[0:3], s33 offset:100 ; 4-byte Folded Spill
.LBB6_7210:                             ;   in Loop: Header=BB6_5473 Depth=4
	s_or_b64 exec, exec, s[28:29]
                                        ; implicit-def: $vgpr0
.LBB6_7211:                             ;   in Loop: Header=BB6_5473 Depth=4
	s_andn2_saveexec_b64 s[28:29], s[30:31]
	s_cbranch_execz .LBB6_7217
; %bb.7212:                             ;   in Loop: Header=BB6_5473 Depth=4
	v_cmp_ne_u64_e32 vcc, 0, v[32:33]
                                        ; implicit-def: $vgpr1
                                        ; kill: killed $vgpr1
	s_and_saveexec_b64 s[62:63], vcc
	s_xor_b64 vcc, exec, s[62:63]
	s_cbranch_execz .LBB6_7214
; %bb.7213:                             ;   in Loop: Header=BB6_5473 Depth=4
	v_or_b32_sdwa v0, v0, s44 dst_sel:DWORD dst_unused:UNUSED_PAD src0_sel:BYTE_3 src1_sel:DWORD
	buffer_store_dword v0, off, s[0:3], s33 offset:100 ; 4-byte Folded Spill
                                        ; implicit-def: $vgpr0
.LBB6_7214:                             ;   in Loop: Header=BB6_5473 Depth=4
	s_andn2_saveexec_b64 s[30:31], vcc
	s_cbranch_execz .LBB6_7216
; %bb.7215:                             ;   in Loop: Header=BB6_5473 Depth=4
	v_cmp_lt_i32_e32 vcc, -1, v0
	v_bfrev_b32_e32 v0, 0.5
	v_mov_b32_e32 v1, 0x7c
	v_cndmask_b32_e32 v0, v0, v1, vcc
	buffer_store_dword v0, off, s[0:3], s33 offset:100 ; 4-byte Folded Spill
.LBB6_7216:                             ;   in Loop: Header=BB6_5473 Depth=4
	s_or_b64 exec, exec, s[30:31]
.LBB6_7217:                             ;   in Loop: Header=BB6_5473 Depth=4
	s_or_b64 exec, exec, s[28:29]
	v_lshrrev_b32_e32 v0, 16, v11
	v_cmp_ne_u16_sdwa s[62:63], v0, v33 src0_sel:BYTE_0 src1_sel:DWORD
	v_mov_b32_e32 v1, 0
	s_and_saveexec_b64 s[28:29], s[62:63]
	s_cbranch_execz .LBB6_7225
; %bb.7218:                             ;   in Loop: Header=BB6_5473 Depth=4
	v_cmp_ne_u16_sdwa s[62:63], v0, s97 src0_sel:BYTE_0 src1_sel:DWORD
	v_bfrev_b32_e32 v1, 1
	s_and_saveexec_b64 s[30:31], s[62:63]
	s_cbranch_execz .LBB6_7224
; %bb.7219:                             ;   in Loop: Header=BB6_5473 Depth=4
	v_and_b32_e32 v1, 0x7c0000, v11
	v_bfe_u32 v2, v11, 16, 2
	v_cmp_ne_u32_e32 vcc, s45, v1
                                        ; implicit-def: $vgpr1
	s_and_saveexec_b64 s[62:63], vcc
	s_xor_b64 s[34:35], exec, s[62:63]
	s_cbranch_execz .LBB6_7221
; %bb.7220:                             ;   in Loop: Header=BB6_5473 Depth=4
	v_ffbh_u32_e32 v1, v2
	v_min_u32_e32 v9, 32, v1
	v_subrev_u32_e32 v1, 29, v9
	v_lshlrev_b64 v[0:1], v1, v[0:1]
	v_bfe_u32 v8, v11, 18, 5
	v_and_b32_e32 v0, 3, v0
	v_cmp_eq_u32_e32 vcc, 0, v8
	v_sub_u32_e32 v1, 30, v9
	v_cndmask_b32_e32 v0, v2, v0, vcc
	v_lshlrev_b32_e32 v2, 8, v11
	v_cndmask_b32_e32 v1, v8, v1, vcc
	v_and_b32_e32 v2, 0x80000000, v2
	v_lshl_add_u32 v1, v1, 23, v2
	v_lshl_or_b32 v0, v0, 21, v1
	v_add_u32_e32 v1, 0x38000000, v0
                                        ; implicit-def: $vgpr2
                                        ; implicit-def: $vgpr0
.LBB6_7221:                             ;   in Loop: Header=BB6_5473 Depth=4
	s_andn2_saveexec_b64 s[34:35], s[34:35]
; %bb.7222:                             ;   in Loop: Header=BB6_5473 Depth=4
	v_mov_b32_e32 v1, -1
	v_cmp_gt_i16_sdwa vcc, sext(v0), v1 src0_sel:BYTE_0 src1_sel:DWORD
	v_mov_b32_e32 v0, 0xff800000
	v_mov_b32_e32 v1, 0x7f800000
	v_cndmask_b32_e32 v0, v0, v1, vcc
	v_cmp_eq_u32_e32 vcc, 0, v2
	v_mov_b32_e32 v1, 0x7f800001
	v_cndmask_b32_e32 v1, v1, v0, vcc
; %bb.7223:                             ;   in Loop: Header=BB6_5473 Depth=4
	s_or_b64 exec, exec, s[34:35]
.LBB6_7224:                             ;   in Loop: Header=BB6_5473 Depth=4
	s_or_b64 exec, exec, s[30:31]
.LBB6_7225:                             ;   in Loop: Header=BB6_5473 Depth=4
	s_or_b64 exec, exec, s[28:29]
	v_mul_f32_e32 v0, v12, v1
	v_and_b32_e32 v1, 0x7f800000, v0
	v_mov_b32_e32 v2, v33
	v_cmp_ne_u64_e32 vcc, s[76:77], v[1:2]
	v_and_b32_e32 v32, 0x7fffff, v0
                                        ; implicit-def: $vgpr1
                                        ; kill: killed $vgpr1
	s_and_saveexec_b64 s[28:29], vcc
	s_xor_b64 s[30:31], exec, s[28:29]
	s_cbranch_execz .LBB6_7239
; %bb.7226:                             ;   in Loop: Header=BB6_5473 Depth=4
	v_and_b32_e32 v1, 0x7fffffff, v0
	v_mov_b32_e32 v2, v33
	v_cmp_gt_u64_e32 vcc, s[78:79], v[1:2]
	v_and_b32_sdwa v8, v0, s97 dst_sel:DWORD dst_unused:UNUSED_PAD src0_sel:BYTE_3 src1_sel:DWORD
                                        ; implicit-def: $vgpr1
                                        ; kill: killed $vgpr1
	s_and_saveexec_b64 s[28:29], vcc
	s_xor_b64 s[34:35], exec, s[28:29]
	s_cbranch_execz .LBB6_7236
; %bb.7227:                             ;   in Loop: Header=BB6_5473 Depth=4
	v_mov_b32_e32 v1, 0
	v_cmp_ne_u32_e32 vcc, 0, v0
	buffer_store_dword v1, off, s[0:3], s33 offset:116 ; 4-byte Folded Spill
	s_and_saveexec_b64 s[36:37], vcc
	s_cbranch_execz .LBB6_7235
; %bb.7228:                             ;   in Loop: Header=BB6_5473 Depth=4
	v_bfe_u32 v9, v0, 23, 8
	v_cmp_gt_u32_e64 s[28:29], s47, v9
	v_sub_u32_e32 v0, 0x71, v9
	v_cmp_eq_u32_e32 vcc, 0, v9
	v_cndmask_b32_e64 v0, 0, v0, s[28:29]
	v_mov_b32_e32 v2, 0x70
	v_cndmask_b32_e32 v13, v0, v2, vcc
	v_add_u32_e32 v2, 21, v13
	v_or_b32_e32 v1, 0x800000, v32
	v_lshlrev_b64 v[14:15], v2, -1
	v_cndmask_b32_e32 v0, v1, v32, vcc
	v_mov_b32_e32 v1, v33
	v_add_u32_e32 v2, 20, v13
	v_bfi_b32 v14, v14, 0, v0
	v_lshlrev_b64 v[16:17], v2, 1
	v_lshrrev_b64 v[0:1], v13, v[0:1]
	v_bfi_b32 v15, v15, 0, 0
	v_cmp_eq_u64_e64 s[28:29], v[14:15], v[16:17]
	v_mov_b32_e32 v2, v1
	v_mov_b32_e32 v1, v0
	s_and_saveexec_b64 s[38:39], s[28:29]
; %bb.7229:                             ;   in Loop: Header=BB6_5473 Depth=4
	v_bfe_u32 v1, v0, 21, 1
	v_add_co_u32_e64 v1, s[28:29], v0, v1
	v_add_co_u32_e64 v1, s[28:29], -1, v1
; %bb.7230:                             ;   in Loop: Header=BB6_5473 Depth=4
	s_or_b64 exec, exec, s[38:39]
	v_add_u32_e32 v2, 0xffffff81, v9
	v_mov_b32_e32 v9, 0xffffff82
	v_cndmask_b32_e32 v2, v2, v9, vcc
	v_lshrrev_b32_e32 v9, 23, v0
	v_add3_u32 v13, v13, v2, v9
	v_add_u32_e32 v9, 14, v13
	v_and_b32_e32 v1, 0x1fffff, v1
	v_add_u32_e32 v32, v1, v0
	v_cmp_ne_u32_e32 vcc, 0, v9
                                        ; implicit-def: $vgpr0_vgpr1
                                        ; implicit-def: $vgpr2
	s_and_saveexec_b64 s[28:29], vcc
	s_xor_b64 s[28:29], exec, s[28:29]
; %bb.7231:                             ;   in Loop: Header=BB6_5473 Depth=4
	v_cmp_lt_u64_e32 vcc, s[88:89], v[32:33]
	v_add_u32_e32 v0, 15, v13
	v_cndmask_b32_e32 v2, v9, v0, vcc
	v_cndmask_b32_e64 v0, 0, 1, vcc
	v_lshrrev_b64 v[0:1], v0, v[32:33]
; %bb.7232:                             ;   in Loop: Header=BB6_5473 Depth=4
	s_andn2_saveexec_b64 s[28:29], s[28:29]
; %bb.7233:                             ;   in Loop: Header=BB6_5473 Depth=4
	v_mov_b32_e32 v0, v32
	v_mov_b32_e32 v1, v33
	v_bfe_u32 v2, v32, 23, 1
; %bb.7234:                             ;   in Loop: Header=BB6_5473 Depth=4
	s_or_b64 exec, exec, s[28:29]
	v_lshrrev_b64 v[0:1], 21, v[0:1]
	v_cmp_gt_i32_e32 vcc, 32, v2
	v_cndmask_b32_e32 v1, 0, v1, vcc
	v_cndmask_b32_e32 v0, 3, v0, vcc
	v_cmp_eq_u64_e64 s[28:29], 0, v[0:1]
	v_min_i32_e32 v1, 31, v2
	v_lshlrev_b32_e32 v1, 2, v1
	v_cmp_eq_u32_e32 vcc, 0, v2
	v_and_b32_e32 v1, 0xfc, v1
	v_and_or_b32 v0, v0, 3, v1
	s_and_b64 s[28:29], vcc, s[28:29]
	v_cndmask_b32_e64 v0, v0, 0, s[28:29]
	v_or_b32_e32 v0, v0, v8
	buffer_store_dword v0, off, s[0:3], s33 offset:116 ; 4-byte Folded Spill
.LBB6_7235:                             ;   in Loop: Header=BB6_5473 Depth=4
	s_or_b64 exec, exec, s[36:37]
                                        ; implicit-def: $vgpr8
.LBB6_7236:                             ;   in Loop: Header=BB6_5473 Depth=4
	s_andn2_saveexec_b64 s[28:29], s[34:35]
	s_cbranch_execz .LBB6_7238
; %bb.7237:                             ;   in Loop: Header=BB6_5473 Depth=4
	v_or_b32_e32 v0, 0x7b, v8
	buffer_store_dword v0, off, s[0:3], s33 offset:116 ; 4-byte Folded Spill
.LBB6_7238:                             ;   in Loop: Header=BB6_5473 Depth=4
	s_or_b64 exec, exec, s[28:29]
                                        ; implicit-def: $vgpr0
.LBB6_7239:                             ;   in Loop: Header=BB6_5473 Depth=4
	s_andn2_saveexec_b64 s[28:29], s[30:31]
	s_cbranch_execz .LBB6_7245
; %bb.7240:                             ;   in Loop: Header=BB6_5473 Depth=4
	v_cmp_ne_u64_e32 vcc, 0, v[32:33]
                                        ; implicit-def: $vgpr1
                                        ; kill: killed $vgpr1
	s_and_saveexec_b64 s[62:63], vcc
	s_xor_b64 vcc, exec, s[62:63]
	s_cbranch_execz .LBB6_7242
; %bb.7241:                             ;   in Loop: Header=BB6_5473 Depth=4
	v_or_b32_sdwa v0, v0, s44 dst_sel:DWORD dst_unused:UNUSED_PAD src0_sel:BYTE_3 src1_sel:DWORD
	buffer_store_dword v0, off, s[0:3], s33 offset:116 ; 4-byte Folded Spill
                                        ; implicit-def: $vgpr0
.LBB6_7242:                             ;   in Loop: Header=BB6_5473 Depth=4
	s_andn2_saveexec_b64 s[30:31], vcc
	s_cbranch_execz .LBB6_7244
; %bb.7243:                             ;   in Loop: Header=BB6_5473 Depth=4
	v_cmp_lt_i32_e32 vcc, -1, v0
	v_bfrev_b32_e32 v0, 0.5
	v_mov_b32_e32 v1, 0x7c
	v_cndmask_b32_e32 v0, v0, v1, vcc
	buffer_store_dword v0, off, s[0:3], s33 offset:116 ; 4-byte Folded Spill
.LBB6_7244:                             ;   in Loop: Header=BB6_5473 Depth=4
	s_or_b64 exec, exec, s[30:31]
.LBB6_7245:                             ;   in Loop: Header=BB6_5473 Depth=4
	s_or_b64 exec, exec, s[28:29]
	v_cmp_lt_u64_e32 vcc, s[56:57], v[10:11]
	v_mov_b32_e32 v1, 0
	s_and_saveexec_b64 s[28:29], vcc
	s_cbranch_execz .LBB6_7253
; %bb.7246:                             ;   in Loop: Header=BB6_5473 Depth=4
	v_lshrrev_b32_e32 v0, 24, v11
	v_cmp_ne_u32_e32 vcc, s97, v0
	v_bfrev_b32_e32 v1, 1
	s_and_saveexec_b64 s[30:31], vcc
	s_cbranch_execz .LBB6_7252
; %bb.7247:                             ;   in Loop: Header=BB6_5473 Depth=4
	v_and_b32_e32 v1, 0x7c000000, v11
	v_bfe_u32 v2, v11, 24, 2
	v_cmp_ne_u32_e32 vcc, s68, v1
                                        ; implicit-def: $vgpr1
	s_and_saveexec_b64 s[62:63], vcc
	s_xor_b64 s[34:35], exec, s[62:63]
	s_cbranch_execz .LBB6_7249
; %bb.7248:                             ;   in Loop: Header=BB6_5473 Depth=4
	v_ffbh_u32_e32 v1, v2
	v_min_u32_e32 v9, 32, v1
	v_subrev_u32_e32 v1, 29, v9
	v_lshlrev_b64 v[0:1], v1, v[0:1]
	v_bfe_u32 v8, v11, 26, 5
	v_sub_u32_e32 v1, 30, v9
	v_and_b32_e32 v0, 3, v0
	v_cmp_eq_u32_e32 vcc, 0, v8
	v_cndmask_b32_e32 v1, v8, v1, vcc
	v_cndmask_b32_e32 v0, v2, v0, vcc
	v_and_b32_e32 v2, 0x80000000, v11
	v_lshl_add_u32 v1, v1, 23, v2
	v_lshl_or_b32 v0, v0, 21, v1
	v_add_u32_e32 v1, 0x38000000, v0
                                        ; implicit-def: $vgpr2
                                        ; implicit-def: $vgpr10_vgpr11
.LBB6_7249:                             ;   in Loop: Header=BB6_5473 Depth=4
	s_andn2_saveexec_b64 s[34:35], s[34:35]
; %bb.7250:                             ;   in Loop: Header=BB6_5473 Depth=4
	v_cmp_lt_i64_e32 vcc, -1, v[10:11]
	v_mov_b32_e32 v0, 0xff800000
	v_mov_b32_e32 v1, 0x7f800000
	v_cndmask_b32_e32 v0, v0, v1, vcc
	v_cmp_eq_u32_e32 vcc, 0, v2
	v_mov_b32_e32 v1, 0x7f800001
	v_cndmask_b32_e32 v1, v1, v0, vcc
; %bb.7251:                             ;   in Loop: Header=BB6_5473 Depth=4
	s_or_b64 exec, exec, s[34:35]
.LBB6_7252:                             ;   in Loop: Header=BB6_5473 Depth=4
	s_or_b64 exec, exec, s[30:31]
.LBB6_7253:                             ;   in Loop: Header=BB6_5473 Depth=4
	s_or_b64 exec, exec, s[28:29]
	v_mul_f32_e32 v0, v12, v1
	v_and_b32_e32 v1, 0x7f800000, v0
	v_mov_b32_e32 v2, v33
	v_cmp_ne_u64_e32 vcc, s[76:77], v[1:2]
	v_and_b32_e32 v32, 0x7fffff, v0
                                        ; implicit-def: $vgpr1
                                        ; kill: killed $vgpr1
	s_and_saveexec_b64 s[28:29], vcc
	s_xor_b64 s[30:31], exec, s[28:29]
	s_cbranch_execz .LBB6_7267
; %bb.7254:                             ;   in Loop: Header=BB6_5473 Depth=4
	v_and_b32_e32 v1, 0x7fffffff, v0
	v_mov_b32_e32 v2, v33
	v_cmp_gt_u64_e32 vcc, s[78:79], v[1:2]
	v_and_b32_sdwa v8, v0, s97 dst_sel:DWORD dst_unused:UNUSED_PAD src0_sel:BYTE_3 src1_sel:DWORD
                                        ; implicit-def: $vgpr1
                                        ; kill: killed $vgpr1
	s_and_saveexec_b64 s[28:29], vcc
	s_xor_b64 s[34:35], exec, s[28:29]
	s_cbranch_execz .LBB6_7264
; %bb.7255:                             ;   in Loop: Header=BB6_5473 Depth=4
	v_mov_b32_e32 v1, 0
	v_cmp_ne_u32_e32 vcc, 0, v0
	buffer_store_dword v1, off, s[0:3], s33 offset:148 ; 4-byte Folded Spill
	s_and_saveexec_b64 s[36:37], vcc
	s_cbranch_execz .LBB6_7263
; %bb.7256:                             ;   in Loop: Header=BB6_5473 Depth=4
	v_bfe_u32 v9, v0, 23, 8
	v_cmp_gt_u32_e64 s[28:29], s47, v9
	v_sub_u32_e32 v0, 0x71, v9
	v_cmp_eq_u32_e32 vcc, 0, v9
	v_cndmask_b32_e64 v0, 0, v0, s[28:29]
	v_mov_b32_e32 v2, 0x70
	v_cndmask_b32_e32 v10, v0, v2, vcc
	v_add_u32_e32 v2, 21, v10
	v_or_b32_e32 v1, 0x800000, v32
	v_lshlrev_b64 v[11:12], v2, -1
	v_cndmask_b32_e32 v0, v1, v32, vcc
	v_mov_b32_e32 v1, v33
	v_add_u32_e32 v2, 20, v10
	v_bfi_b32 v11, v11, 0, v0
	v_lshlrev_b64 v[13:14], v2, 1
	v_lshrrev_b64 v[0:1], v10, v[0:1]
	v_bfi_b32 v12, v12, 0, 0
	v_cmp_eq_u64_e64 s[28:29], v[11:12], v[13:14]
	v_mov_b32_e32 v2, v1
	v_mov_b32_e32 v1, v0
	s_and_saveexec_b64 s[38:39], s[28:29]
; %bb.7257:                             ;   in Loop: Header=BB6_5473 Depth=4
	v_bfe_u32 v1, v0, 21, 1
	v_add_co_u32_e64 v1, s[28:29], v0, v1
	v_add_co_u32_e64 v1, s[28:29], -1, v1
; %bb.7258:                             ;   in Loop: Header=BB6_5473 Depth=4
	s_or_b64 exec, exec, s[38:39]
	v_add_u32_e32 v2, 0xffffff81, v9
	v_mov_b32_e32 v9, 0xffffff82
	v_cndmask_b32_e32 v2, v2, v9, vcc
	v_lshrrev_b32_e32 v9, 23, v0
	v_add3_u32 v10, v10, v2, v9
	v_add_u32_e32 v9, 14, v10
	v_and_b32_e32 v1, 0x1fffff, v1
	v_add_u32_e32 v32, v1, v0
	v_cmp_ne_u32_e32 vcc, 0, v9
                                        ; implicit-def: $vgpr0_vgpr1
                                        ; implicit-def: $vgpr2
	s_and_saveexec_b64 s[28:29], vcc
	s_xor_b64 s[28:29], exec, s[28:29]
; %bb.7259:                             ;   in Loop: Header=BB6_5473 Depth=4
	v_cmp_lt_u64_e32 vcc, s[88:89], v[32:33]
	v_add_u32_e32 v0, 15, v10
	v_cndmask_b32_e32 v2, v9, v0, vcc
	v_cndmask_b32_e64 v0, 0, 1, vcc
	v_lshrrev_b64 v[0:1], v0, v[32:33]
; %bb.7260:                             ;   in Loop: Header=BB6_5473 Depth=4
	s_andn2_saveexec_b64 s[28:29], s[28:29]
; %bb.7261:                             ;   in Loop: Header=BB6_5473 Depth=4
	v_mov_b32_e32 v0, v32
	v_mov_b32_e32 v1, v33
	v_bfe_u32 v2, v32, 23, 1
; %bb.7262:                             ;   in Loop: Header=BB6_5473 Depth=4
	s_or_b64 exec, exec, s[28:29]
	v_lshrrev_b64 v[0:1], 21, v[0:1]
	v_cmp_gt_i32_e32 vcc, 32, v2
	v_cndmask_b32_e32 v1, 0, v1, vcc
	v_cndmask_b32_e32 v0, 3, v0, vcc
	v_cmp_eq_u64_e64 s[28:29], 0, v[0:1]
	v_min_i32_e32 v1, 31, v2
	v_lshlrev_b32_e32 v1, 2, v1
	v_cmp_eq_u32_e32 vcc, 0, v2
	v_and_b32_e32 v1, 0xfc, v1
	v_and_or_b32 v0, v0, 3, v1
	s_and_b64 s[28:29], vcc, s[28:29]
	v_cndmask_b32_e64 v0, v0, 0, s[28:29]
	v_or_b32_e32 v0, v0, v8
	buffer_store_dword v0, off, s[0:3], s33 offset:148 ; 4-byte Folded Spill
.LBB6_7263:                             ;   in Loop: Header=BB6_5473 Depth=4
	s_or_b64 exec, exec, s[36:37]
                                        ; implicit-def: $vgpr8
.LBB6_7264:                             ;   in Loop: Header=BB6_5473 Depth=4
	s_andn2_saveexec_b64 s[28:29], s[34:35]
	s_cbranch_execz .LBB6_7266
; %bb.7265:                             ;   in Loop: Header=BB6_5473 Depth=4
	v_or_b32_e32 v0, 0x7b, v8
	buffer_store_dword v0, off, s[0:3], s33 offset:148 ; 4-byte Folded Spill
.LBB6_7266:                             ;   in Loop: Header=BB6_5473 Depth=4
	s_or_b64 exec, exec, s[28:29]
                                        ; implicit-def: $vgpr0
.LBB6_7267:                             ;   in Loop: Header=BB6_5473 Depth=4
	s_andn2_saveexec_b64 s[28:29], s[30:31]
	s_cbranch_execz .LBB6_7273
; %bb.7268:                             ;   in Loop: Header=BB6_5473 Depth=4
	v_cmp_ne_u64_e32 vcc, 0, v[32:33]
                                        ; implicit-def: $vgpr1
                                        ; kill: killed $vgpr1
	s_and_saveexec_b64 s[62:63], vcc
	s_xor_b64 vcc, exec, s[62:63]
	s_cbranch_execz .LBB6_7270
; %bb.7269:                             ;   in Loop: Header=BB6_5473 Depth=4
	v_or_b32_sdwa v0, v0, s44 dst_sel:DWORD dst_unused:UNUSED_PAD src0_sel:BYTE_3 src1_sel:DWORD
	buffer_store_dword v0, off, s[0:3], s33 offset:148 ; 4-byte Folded Spill
                                        ; implicit-def: $vgpr0
.LBB6_7270:                             ;   in Loop: Header=BB6_5473 Depth=4
	s_andn2_saveexec_b64 s[30:31], vcc
	s_cbranch_execz .LBB6_7272
; %bb.7271:                             ;   in Loop: Header=BB6_5473 Depth=4
	v_cmp_lt_i32_e32 vcc, -1, v0
	v_bfrev_b32_e32 v0, 0.5
	v_mov_b32_e32 v1, 0x7c
	v_cndmask_b32_e32 v0, v0, v1, vcc
	buffer_store_dword v0, off, s[0:3], s33 offset:148 ; 4-byte Folded Spill
.LBB6_7272:                             ;   in Loop: Header=BB6_5473 Depth=4
	s_or_b64 exec, exec, s[30:31]
.LBB6_7273:                             ;   in Loop: Header=BB6_5473 Depth=4
	s_or_b64 exec, exec, s[28:29]
	global_load_dwordx4 v[20:23], v[60:61], off glc slc
	global_load_dwordx4 v[16:19], v[60:61], off offset:1024 glc slc
	global_load_dwordx4 v[12:15], v[60:61], off offset:2048 glc slc
	;; [unrolled: 1-line block ×3, first 2 shown]
	v_lshl_or_b32 v51, v51, 8, v30
	v_lshlrev_b32_e32 v0, 16, v40
	v_lshlrev_b32_e32 v1, 24, v41
	v_or3_b32 v32, v0, v1, v51
	v_cmp_ne_u32_e32 vcc, 0, v30
	v_mov_b32_e32 v0, 0
	v_mov_b32_e32 v1, 0
	s_and_saveexec_b64 s[30:31], vcc
	s_cbranch_execz .LBB6_7281
; %bb.7274:                             ;   in Loop: Header=BB6_5473 Depth=4
	v_cmp_ne_u32_e32 vcc, s97, v30
	v_bfrev_b32_e32 v1, 1
	s_and_saveexec_b64 s[34:35], vcc
	s_cbranch_execz .LBB6_7280
; %bb.7275:                             ;   in Loop: Header=BB6_5473 Depth=4
	v_and_b32_e32 v1, 0x7c, v30
	v_and_b32_e32 v2, 3, v30
	v_cmp_ne_u32_e32 vcc, s86, v1
                                        ; implicit-def: $vgpr1
	s_and_saveexec_b64 s[28:29], vcc
	s_xor_b64 s[28:29], exec, s[28:29]
	s_cbranch_execz .LBB6_7277
; %bb.7276:                             ;   in Loop: Header=BB6_5473 Depth=4
	v_ffbh_u32_e32 v40, v2
	v_min_u32_e32 v45, 32, v40
	v_subrev_u32_e32 v40, 29, v45
	v_bfe_u32 v1, v30, 2, 5
	v_lshlrev_b64 v[40:41], v40, v[32:33]
	v_sub_u32_e32 v41, 30, v45
	v_cmp_eq_u32_e32 vcc, 0, v1
	v_lshlrev_b32_e32 v30, 24, v30
	v_and_b32_e32 v40, 3, v40
	v_cndmask_b32_e32 v1, v1, v41, vcc
	v_and_b32_e32 v30, 0x80000000, v30
	v_cndmask_b32_e32 v2, v2, v40, vcc
	v_lshl_add_u32 v1, v1, 23, v30
	v_lshl_or_b32 v1, v2, 21, v1
	v_add_u32_e32 v1, 0x38000000, v1
                                        ; implicit-def: $vgpr2
                                        ; implicit-def: $vgpr30
.LBB6_7277:                             ;   in Loop: Header=BB6_5473 Depth=4
	s_andn2_saveexec_b64 s[36:37], s[28:29]
; %bb.7278:                             ;   in Loop: Header=BB6_5473 Depth=4
	v_and_b32_e32 v1, 0x80, v30
	v_cmp_eq_u32_e32 vcc, 0, v2
	v_cmp_eq_u32_e64 s[28:29], 0, v1
	v_mov_b32_e32 v1, 0xff800000
	v_mov_b32_e32 v2, 0x7f800000
	v_cndmask_b32_e64 v1, v1, v2, s[28:29]
	v_mov_b32_e32 v2, 0x7f800001
	v_cndmask_b32_e32 v1, v2, v1, vcc
; %bb.7279:                             ;   in Loop: Header=BB6_5473 Depth=4
	s_or_b64 exec, exec, s[36:37]
.LBB6_7280:                             ;   in Loop: Header=BB6_5473 Depth=4
	s_or_b64 exec, exec, s[34:35]
.LBB6_7281:                             ;   in Loop: Header=BB6_5473 Depth=4
	s_or_b64 exec, exec, s[30:31]
	s_waitcnt vmcnt(3)
	v_cmp_ne_u16_sdwa s[62:63], v20, v33 src0_sel:BYTE_0 src1_sel:DWORD
	s_and_saveexec_b64 s[28:29], s[62:63]
	s_cbranch_execz .LBB6_7289
; %bb.7282:                             ;   in Loop: Header=BB6_5473 Depth=4
	v_cmp_ne_u16_sdwa s[62:63], sext(v20), s46 src0_sel:BYTE_0 src1_sel:DWORD
	v_bfrev_b32_e32 v0, 1
	s_and_saveexec_b64 s[30:31], s[62:63]
	s_cbranch_execz .LBB6_7288
; %bb.7283:                             ;   in Loop: Header=BB6_5473 Depth=4
	v_and_b32_e32 v0, 0x7c, v20
	v_and_b32_e32 v2, 3, v20
	v_cmp_ne_u32_e32 vcc, s86, v0
                                        ; implicit-def: $vgpr0
	s_and_saveexec_b64 s[62:63], vcc
	s_xor_b64 s[34:35], exec, s[62:63]
	s_cbranch_execz .LBB6_7285
; %bb.7284:                             ;   in Loop: Header=BB6_5473 Depth=4
	v_ffbh_u32_e32 v30, v2
	v_min_u32_e32 v30, 32, v30
	v_bfe_u32 v0, v20, 2, 5
	v_subrev_u32_e32 v40, 29, v30
	v_lshlrev_b64 v[40:41], v40, v[20:21]
	v_sub_u32_e32 v30, 30, v30
	v_cmp_eq_u32_e32 vcc, 0, v0
	v_cndmask_b32_e32 v0, v0, v30, vcc
	v_lshlrev_b32_e32 v30, 24, v20
	v_and_b32_e32 v40, 3, v40
	v_and_b32_e32 v30, 0x80000000, v30
	v_cndmask_b32_e32 v2, v2, v40, vcc
	v_lshl_add_u32 v0, v0, 23, v30
	v_lshl_or_b32 v0, v2, 21, v0
	v_add_u32_e32 v0, 0x38000000, v0
                                        ; implicit-def: $vgpr2
.LBB6_7285:                             ;   in Loop: Header=BB6_5473 Depth=4
	s_andn2_saveexec_b64 s[34:35], s[34:35]
; %bb.7286:                             ;   in Loop: Header=BB6_5473 Depth=4
	v_mov_b32_e32 v0, -1
	v_cmp_gt_i16_sdwa vcc, sext(v20), v0 src0_sel:BYTE_0 src1_sel:DWORD
	v_mov_b32_e32 v0, 0xff800000
	v_mov_b32_e32 v30, 0x7f800000
	v_cndmask_b32_e32 v0, v0, v30, vcc
	v_cmp_eq_u32_e32 vcc, 0, v2
	v_mov_b32_e32 v2, 0x7f800001
	v_cndmask_b32_e32 v0, v2, v0, vcc
; %bb.7287:                             ;   in Loop: Header=BB6_5473 Depth=4
	s_or_b64 exec, exec, s[34:35]
.LBB6_7288:                             ;   in Loop: Header=BB6_5473 Depth=4
	s_or_b64 exec, exec, s[30:31]
.LBB6_7289:                             ;   in Loop: Header=BB6_5473 Depth=4
	s_or_b64 exec, exec, s[28:29]
	v_add_f32_e32 v2, v1, v0
	v_and_b32_e32 v40, 0x7f800000, v2
	v_mov_b32_e32 v41, v33
	v_cmp_ne_u64_e32 vcc, s[76:77], v[40:41]
	v_and_b32_e32 v0, 0x7fffff, v2
	v_mov_b32_e32 v1, v33
                                        ; implicit-def: $vgpr30
                                        ; kill: killed $vgpr30
	s_and_saveexec_b64 s[28:29], vcc
	s_xor_b64 s[30:31], exec, s[28:29]
	s_cbranch_execz .LBB6_7303
; %bb.7290:                             ;   in Loop: Header=BB6_5473 Depth=4
	v_and_b32_e32 v40, 0x7fffffff, v2
	v_mov_b32_e32 v41, v33
	v_cmp_gt_u64_e32 vcc, s[78:79], v[40:41]
	v_and_b32_sdwa v30, v2, s97 dst_sel:DWORD dst_unused:UNUSED_PAD src0_sel:BYTE_3 src1_sel:DWORD
                                        ; implicit-def: $vgpr40
                                        ; kill: killed $vgpr40
	s_and_saveexec_b64 s[28:29], vcc
	s_xor_b64 s[34:35], exec, s[28:29]
	s_cbranch_execz .LBB6_7300
; %bb.7291:                             ;   in Loop: Header=BB6_5473 Depth=4
	v_mov_b32_e32 v40, 0
	v_cmp_ne_u32_e32 vcc, 0, v2
	buffer_store_dword v40, off, s[0:3], s33 offset:84 ; 4-byte Folded Spill
	s_and_saveexec_b64 s[36:37], vcc
	s_cbranch_execz .LBB6_7299
; %bb.7292:                             ;   in Loop: Header=BB6_5473 Depth=4
	v_bfe_u32 v40, v2, 23, 8
	v_cmp_gt_u32_e64 s[28:29], s47, v40
	v_sub_u32_e32 v2, 0x71, v40
	v_cmp_eq_u32_e32 vcc, 0, v40
	v_cndmask_b32_e64 v2, 0, v2, s[28:29]
	v_mov_b32_e32 v41, 0x70
	v_cndmask_b32_e32 v41, v2, v41, vcc
	v_or_b32_e32 v45, 0x800000, v0
	v_add_u32_e32 v2, 21, v41
	v_mov_b32_e32 v24, v46
	v_cndmask_b32_e32 v0, v45, v0, vcc
	v_lshlrev_b64 v[45:46], v2, -1
	v_add_u32_e32 v2, 20, v41
	v_mov_b32_e32 v6, v57
	v_mov_b32_e32 v47, v56
	v_bfi_b32 v45, v45, 0, v0
	v_lshlrev_b64 v[56:57], v2, 1
	v_lshrrev_b64 v[0:1], v41, v[0:1]
	v_bfi_b32 v46, v46, 0, 0
	v_cmp_eq_u64_e64 s[28:29], v[45:46], v[56:57]
	v_mov_b32_e32 v2, v1
	v_mov_b32_e32 v1, v0
	s_and_saveexec_b64 s[38:39], s[28:29]
; %bb.7293:                             ;   in Loop: Header=BB6_5473 Depth=4
	v_bfe_u32 v1, v0, 21, 1
	v_add_co_u32_e64 v1, s[28:29], v0, v1
	v_add_co_u32_e64 v1, s[28:29], -1, v1
; %bb.7294:                             ;   in Loop: Header=BB6_5473 Depth=4
	s_or_b64 exec, exec, s[38:39]
	v_add_u32_e32 v2, 0xffffff81, v40
	v_mov_b32_e32 v40, 0xffffff82
	v_cndmask_b32_e32 v2, v2, v40, vcc
	v_lshrrev_b32_e32 v40, 23, v0
	v_add3_u32 v41, v41, v2, v40
	v_add_u32_e32 v40, 14, v41
	v_and_b32_e32 v1, 0x1fffff, v1
	v_add_u32_e32 v0, v1, v0
	v_mov_b32_e32 v1, v33
	v_cmp_ne_u32_e32 vcc, 0, v40
                                        ; implicit-def: $vgpr2
	s_and_saveexec_b64 s[28:29], vcc
	s_xor_b64 s[28:29], exec, s[28:29]
; %bb.7295:                             ;   in Loop: Header=BB6_5473 Depth=4
	v_cmp_lt_u64_e32 vcc, s[88:89], v[0:1]
	v_add_u32_e32 v2, 15, v41
	v_cndmask_b32_e32 v2, v40, v2, vcc
	v_cndmask_b32_e64 v40, 0, 1, vcc
	v_lshrrev_b64 v[0:1], v40, v[0:1]
; %bb.7296:                             ;   in Loop: Header=BB6_5473 Depth=4
	s_or_saveexec_b64 s[28:29], s[28:29]
	v_mov_b32_e32 v56, v47
	v_mov_b32_e32 v57, v6
	;; [unrolled: 1-line block ×3, first 2 shown]
	s_xor_b64 exec, exec, s[28:29]
; %bb.7297:                             ;   in Loop: Header=BB6_5473 Depth=4
	v_bfe_u32 v2, v0, 23, 1
; %bb.7298:                             ;   in Loop: Header=BB6_5473 Depth=4
	s_or_b64 exec, exec, s[28:29]
	v_lshrrev_b64 v[0:1], 21, v[0:1]
	v_cmp_gt_i32_e32 vcc, 32, v2
	v_cndmask_b32_e32 v1, 0, v1, vcc
	v_cndmask_b32_e32 v0, 3, v0, vcc
	v_cmp_eq_u64_e64 s[28:29], 0, v[0:1]
	v_min_i32_e32 v1, 31, v2
	v_lshlrev_b32_e32 v1, 2, v1
	v_cmp_eq_u32_e32 vcc, 0, v2
	v_and_b32_e32 v1, 0xfc, v1
	v_and_or_b32 v0, v0, 3, v1
	s_and_b64 s[28:29], vcc, s[28:29]
	v_cndmask_b32_e64 v0, v0, 0, s[28:29]
	v_or_b32_e32 v0, v0, v30
	buffer_store_dword v0, off, s[0:3], s33 offset:84 ; 4-byte Folded Spill
.LBB6_7299:                             ;   in Loop: Header=BB6_5473 Depth=4
	s_or_b64 exec, exec, s[36:37]
                                        ; implicit-def: $vgpr30
.LBB6_7300:                             ;   in Loop: Header=BB6_5473 Depth=4
	s_andn2_saveexec_b64 s[28:29], s[34:35]
	s_cbranch_execz .LBB6_7302
; %bb.7301:                             ;   in Loop: Header=BB6_5473 Depth=4
	v_or_b32_e32 v0, 0x7b, v30
	buffer_store_dword v0, off, s[0:3], s33 offset:84 ; 4-byte Folded Spill
.LBB6_7302:                             ;   in Loop: Header=BB6_5473 Depth=4
	s_or_b64 exec, exec, s[28:29]
                                        ; implicit-def: $vgpr2
                                        ; implicit-def: $vgpr0_vgpr1
.LBB6_7303:                             ;   in Loop: Header=BB6_5473 Depth=4
	s_andn2_saveexec_b64 s[28:29], s[30:31]
	s_cbranch_execz .LBB6_7309
; %bb.7304:                             ;   in Loop: Header=BB6_5473 Depth=4
	v_cmp_ne_u64_e32 vcc, 0, v[0:1]
                                        ; implicit-def: $vgpr0
                                        ; kill: killed $vgpr0
	s_and_saveexec_b64 s[62:63], vcc
	s_xor_b64 vcc, exec, s[62:63]
	s_cbranch_execz .LBB6_7306
; %bb.7305:                             ;   in Loop: Header=BB6_5473 Depth=4
	v_or_b32_sdwa v0, v2, s44 dst_sel:DWORD dst_unused:UNUSED_PAD src0_sel:BYTE_3 src1_sel:DWORD
	buffer_store_dword v0, off, s[0:3], s33 offset:84 ; 4-byte Folded Spill
                                        ; implicit-def: $vgpr2
.LBB6_7306:                             ;   in Loop: Header=BB6_5473 Depth=4
	s_andn2_saveexec_b64 s[30:31], vcc
	s_cbranch_execz .LBB6_7308
; %bb.7307:                             ;   in Loop: Header=BB6_5473 Depth=4
	v_cmp_lt_i32_e32 vcc, -1, v2
	v_bfrev_b32_e32 v0, 0.5
	v_mov_b32_e32 v1, 0x7c
	v_cndmask_b32_e32 v0, v0, v1, vcc
	buffer_store_dword v0, off, s[0:3], s33 offset:84 ; 4-byte Folded Spill
.LBB6_7308:                             ;   in Loop: Header=BB6_5473 Depth=4
	s_or_b64 exec, exec, s[30:31]
.LBB6_7309:                             ;   in Loop: Header=BB6_5473 Depth=4
	s_or_b64 exec, exec, s[28:29]
	v_lshrrev_b16_e32 v0, 8, v51
	v_cmp_ne_u16_e32 vcc, 0, v0
	v_mov_b32_e32 v2, 0
	v_mov_b32_e32 v30, 0
	s_and_saveexec_b64 s[28:29], vcc
	s_cbranch_execz .LBB6_7317
; %bb.7310:                             ;   in Loop: Header=BB6_5473 Depth=4
	v_cmp_ne_u16_e32 vcc, s97, v0
	v_bfrev_b32_e32 v30, 1
	s_and_saveexec_b64 s[30:31], vcc
	s_cbranch_execz .LBB6_7316
; %bb.7311:                             ;   in Loop: Header=BB6_5473 Depth=4
	v_and_b32_e32 v1, 0x7c, v0
	v_and_b32_e32 v40, 3, v0
	v_cmp_ne_u32_e32 vcc, s86, v1
                                        ; implicit-def: $vgpr30
	s_and_saveexec_b64 s[62:63], vcc
	s_xor_b64 s[34:35], exec, s[62:63]
	s_cbranch_execz .LBB6_7313
; %bb.7312:                             ;   in Loop: Header=BB6_5473 Depth=4
	v_ffbh_u32_e32 v41, v40
	v_min_u32_e32 v41, 32, v41
	v_mov_b32_e32 v1, v33
	v_subrev_u32_e32 v45, 29, v41
	v_bfe_u32 v30, v0, 2, 5
	v_lshlrev_b64 v[0:1], v45, v[0:1]
	v_sub_u32_e32 v1, 30, v41
	v_cmp_eq_u32_e32 vcc, 0, v30
	v_cndmask_b32_e32 v1, v30, v1, vcc
	v_lshlrev_b32_e32 v30, 16, v51
	v_and_b32_e32 v0, 3, v0
	v_and_b32_e32 v30, 0x80000000, v30
	v_cndmask_b32_e32 v0, v40, v0, vcc
	v_lshl_add_u32 v1, v1, 23, v30
	v_lshl_or_b32 v0, v0, 21, v1
	v_add_u32_e32 v30, 0x38000000, v0
                                        ; implicit-def: $vgpr40
                                        ; implicit-def: $vgpr51
.LBB6_7313:                             ;   in Loop: Header=BB6_5473 Depth=4
	s_andn2_saveexec_b64 s[34:35], s[34:35]
; %bb.7314:                             ;   in Loop: Header=BB6_5473 Depth=4
	v_cmp_lt_i16_e32 vcc, -1, v51
	v_mov_b32_e32 v0, 0xff800000
	v_mov_b32_e32 v1, 0x7f800000
	v_cndmask_b32_e32 v0, v0, v1, vcc
	v_cmp_eq_u32_e32 vcc, 0, v40
	v_mov_b32_e32 v1, 0x7f800001
	v_cndmask_b32_e32 v30, v1, v0, vcc
; %bb.7315:                             ;   in Loop: Header=BB6_5473 Depth=4
	s_or_b64 exec, exec, s[34:35]
.LBB6_7316:                             ;   in Loop: Header=BB6_5473 Depth=4
	s_or_b64 exec, exec, s[30:31]
.LBB6_7317:                             ;   in Loop: Header=BB6_5473 Depth=4
	s_or_b64 exec, exec, s[28:29]
	v_lshrrev_b16_e32 v0, 8, v20
	v_cmp_ne_u16_e32 vcc, 0, v0
	s_and_saveexec_b64 s[28:29], vcc
	s_cbranch_execz .LBB6_7325
; %bb.7318:                             ;   in Loop: Header=BB6_5473 Depth=4
	v_cmp_ne_u16_e32 vcc, s97, v0
	v_bfrev_b32_e32 v2, 1
	s_and_saveexec_b64 s[30:31], vcc
	s_cbranch_execz .LBB6_7324
; %bb.7319:                             ;   in Loop: Header=BB6_5473 Depth=4
	v_and_b32_e32 v1, 0x7c, v0
	v_and_b32_e32 v51, 3, v0
	v_cmp_ne_u32_e32 vcc, s86, v1
                                        ; implicit-def: $vgpr2
	s_and_saveexec_b64 s[62:63], vcc
	s_xor_b64 s[34:35], exec, s[62:63]
	s_cbranch_execz .LBB6_7321
; %bb.7320:                             ;   in Loop: Header=BB6_5473 Depth=4
	v_ffbh_u32_e32 v40, v51
	v_min_u32_e32 v40, 32, v40
	v_mov_b32_e32 v1, v33
	v_subrev_u32_e32 v41, 29, v40
	v_bfe_u32 v2, v0, 2, 5
	v_lshlrev_b64 v[0:1], v41, v[0:1]
	v_sub_u32_e32 v1, 30, v40
	v_cmp_eq_u32_e32 vcc, 0, v2
	v_cndmask_b32_e32 v1, v2, v1, vcc
	v_lshlrev_b32_e32 v2, 16, v20
	v_and_b32_e32 v0, 3, v0
	v_and_b32_e32 v2, 0x80000000, v2
	v_cndmask_b32_e32 v0, v51, v0, vcc
	v_lshl_add_u32 v1, v1, 23, v2
	v_lshl_or_b32 v0, v0, 21, v1
	v_add_u32_e32 v2, 0x38000000, v0
                                        ; implicit-def: $vgpr51
.LBB6_7321:                             ;   in Loop: Header=BB6_5473 Depth=4
	s_andn2_saveexec_b64 s[34:35], s[34:35]
; %bb.7322:                             ;   in Loop: Header=BB6_5473 Depth=4
	v_cmp_lt_i16_e32 vcc, -1, v20
	v_mov_b32_e32 v0, 0xff800000
	v_mov_b32_e32 v1, 0x7f800000
	v_cndmask_b32_e32 v0, v0, v1, vcc
	v_cmp_eq_u32_e32 vcc, 0, v51
	v_mov_b32_e32 v1, 0x7f800001
	v_cndmask_b32_e32 v2, v1, v0, vcc
; %bb.7323:                             ;   in Loop: Header=BB6_5473 Depth=4
	s_or_b64 exec, exec, s[34:35]
.LBB6_7324:                             ;   in Loop: Header=BB6_5473 Depth=4
	s_or_b64 exec, exec, s[30:31]
.LBB6_7325:                             ;   in Loop: Header=BB6_5473 Depth=4
	s_or_b64 exec, exec, s[28:29]
	v_add_f32_e32 v2, v30, v2
	v_and_b32_e32 v40, 0x7f800000, v2
	v_mov_b32_e32 v41, v33
	v_cmp_ne_u64_e32 vcc, s[76:77], v[40:41]
	v_and_b32_e32 v0, 0x7fffff, v2
	v_mov_b32_e32 v1, v33
                                        ; implicit-def: $vgpr30
                                        ; kill: killed $vgpr30
	s_and_saveexec_b64 s[28:29], vcc
	s_xor_b64 s[30:31], exec, s[28:29]
	s_cbranch_execz .LBB6_7339
; %bb.7326:                             ;   in Loop: Header=BB6_5473 Depth=4
	v_and_b32_e32 v40, 0x7fffffff, v2
	v_mov_b32_e32 v41, v33
	v_cmp_gt_u64_e32 vcc, s[78:79], v[40:41]
	v_and_b32_sdwa v30, v2, s97 dst_sel:DWORD dst_unused:UNUSED_PAD src0_sel:BYTE_3 src1_sel:DWORD
                                        ; implicit-def: $vgpr51
                                        ; kill: killed $vgpr51
	s_and_saveexec_b64 s[28:29], vcc
	s_xor_b64 s[34:35], exec, s[28:29]
	s_cbranch_execz .LBB6_7336
; %bb.7327:                             ;   in Loop: Header=BB6_5473 Depth=4
	v_mov_b32_e32 v51, 0
	v_cmp_ne_u32_e32 vcc, 0, v2
	buffer_store_dword v51, off, s[0:3], s33 offset:92 ; 4-byte Folded Spill
	s_and_saveexec_b64 s[36:37], vcc
	s_cbranch_execz .LBB6_7335
; %bb.7328:                             ;   in Loop: Header=BB6_5473 Depth=4
	v_bfe_u32 v51, v2, 23, 8
	v_cmp_gt_u32_e64 s[28:29], s47, v51
	v_sub_u32_e32 v2, 0x71, v51
	v_cmp_eq_u32_e32 vcc, 0, v51
	v_cndmask_b32_e64 v2, 0, v2, s[28:29]
	v_mov_b32_e32 v40, 0x70
	v_cndmask_b32_e32 v40, v2, v40, vcc
	v_add_u32_e32 v2, 21, v40
	v_mov_b32_e32 v24, v46
	v_or_b32_e32 v41, 0x800000, v0
	v_lshlrev_b64 v[45:46], v2, -1
	v_cndmask_b32_e32 v0, v41, v0, vcc
	v_add_u32_e32 v2, 20, v40
	v_mov_b32_e32 v6, v57
	v_mov_b32_e32 v47, v56
	v_bfi_b32 v45, v45, 0, v0
	v_lshlrev_b64 v[56:57], v2, 1
	v_lshrrev_b64 v[0:1], v40, v[0:1]
	v_bfi_b32 v46, v46, 0, 0
	v_cmp_eq_u64_e64 s[28:29], v[45:46], v[56:57]
	v_mov_b32_e32 v2, v1
	v_mov_b32_e32 v1, v0
	s_and_saveexec_b64 s[38:39], s[28:29]
; %bb.7329:                             ;   in Loop: Header=BB6_5473 Depth=4
	v_bfe_u32 v1, v0, 21, 1
	v_add_co_u32_e64 v1, s[28:29], v0, v1
	v_add_co_u32_e64 v1, s[28:29], -1, v1
; %bb.7330:                             ;   in Loop: Header=BB6_5473 Depth=4
	s_or_b64 exec, exec, s[38:39]
	v_add_u32_e32 v2, 0xffffff81, v51
	v_mov_b32_e32 v51, 0xffffff82
	v_cndmask_b32_e32 v2, v2, v51, vcc
	v_lshrrev_b32_e32 v51, 23, v0
	v_add3_u32 v40, v40, v2, v51
	v_add_u32_e32 v51, 14, v40
	v_and_b32_e32 v1, 0x1fffff, v1
	v_add_u32_e32 v0, v1, v0
	v_mov_b32_e32 v1, v33
	v_cmp_ne_u32_e32 vcc, 0, v51
                                        ; implicit-def: $vgpr2
	s_and_saveexec_b64 s[28:29], vcc
	s_xor_b64 s[28:29], exec, s[28:29]
; %bb.7331:                             ;   in Loop: Header=BB6_5473 Depth=4
	v_cmp_lt_u64_e32 vcc, s[88:89], v[0:1]
	v_add_u32_e32 v2, 15, v40
	v_cndmask_b32_e32 v2, v51, v2, vcc
	v_cndmask_b32_e64 v51, 0, 1, vcc
	v_lshrrev_b64 v[0:1], v51, v[0:1]
; %bb.7332:                             ;   in Loop: Header=BB6_5473 Depth=4
	s_or_saveexec_b64 s[28:29], s[28:29]
	v_mov_b32_e32 v56, v47
	v_mov_b32_e32 v57, v6
	v_mov_b32_e32 v46, v24
	s_xor_b64 exec, exec, s[28:29]
; %bb.7333:                             ;   in Loop: Header=BB6_5473 Depth=4
	v_bfe_u32 v2, v0, 23, 1
; %bb.7334:                             ;   in Loop: Header=BB6_5473 Depth=4
	s_or_b64 exec, exec, s[28:29]
	v_lshrrev_b64 v[0:1], 21, v[0:1]
	v_cmp_gt_i32_e32 vcc, 32, v2
	v_cndmask_b32_e32 v1, 0, v1, vcc
	v_cndmask_b32_e32 v0, 3, v0, vcc
	v_cmp_eq_u64_e64 s[28:29], 0, v[0:1]
	v_min_i32_e32 v1, 31, v2
	v_lshlrev_b32_e32 v1, 2, v1
	v_cmp_eq_u32_e32 vcc, 0, v2
	v_and_b32_e32 v1, 0xfc, v1
	v_and_or_b32 v0, v0, 3, v1
	s_and_b64 s[28:29], vcc, s[28:29]
	v_cndmask_b32_e64 v0, v0, 0, s[28:29]
	v_or_b32_e32 v0, v0, v30
	buffer_store_dword v0, off, s[0:3], s33 offset:92 ; 4-byte Folded Spill
.LBB6_7335:                             ;   in Loop: Header=BB6_5473 Depth=4
	s_or_b64 exec, exec, s[36:37]
                                        ; implicit-def: $vgpr30
.LBB6_7336:                             ;   in Loop: Header=BB6_5473 Depth=4
	s_andn2_saveexec_b64 s[28:29], s[34:35]
	s_cbranch_execz .LBB6_7338
; %bb.7337:                             ;   in Loop: Header=BB6_5473 Depth=4
	v_or_b32_e32 v0, 0x7b, v30
	buffer_store_dword v0, off, s[0:3], s33 offset:92 ; 4-byte Folded Spill
.LBB6_7338:                             ;   in Loop: Header=BB6_5473 Depth=4
	s_or_b64 exec, exec, s[28:29]
                                        ; implicit-def: $vgpr2
                                        ; implicit-def: $vgpr0_vgpr1
.LBB6_7339:                             ;   in Loop: Header=BB6_5473 Depth=4
	s_andn2_saveexec_b64 s[28:29], s[30:31]
	s_cbranch_execz .LBB6_7345
; %bb.7340:                             ;   in Loop: Header=BB6_5473 Depth=4
	v_cmp_ne_u64_e32 vcc, 0, v[0:1]
                                        ; implicit-def: $vgpr0
                                        ; kill: killed $vgpr0
	s_and_saveexec_b64 s[62:63], vcc
	s_xor_b64 vcc, exec, s[62:63]
	s_cbranch_execz .LBB6_7342
; %bb.7341:                             ;   in Loop: Header=BB6_5473 Depth=4
	v_or_b32_sdwa v0, v2, s44 dst_sel:DWORD dst_unused:UNUSED_PAD src0_sel:BYTE_3 src1_sel:DWORD
	buffer_store_dword v0, off, s[0:3], s33 offset:92 ; 4-byte Folded Spill
                                        ; implicit-def: $vgpr2
.LBB6_7342:                             ;   in Loop: Header=BB6_5473 Depth=4
	s_andn2_saveexec_b64 s[30:31], vcc
	s_cbranch_execz .LBB6_7344
; %bb.7343:                             ;   in Loop: Header=BB6_5473 Depth=4
	v_cmp_lt_i32_e32 vcc, -1, v2
	v_bfrev_b32_e32 v0, 0.5
	v_mov_b32_e32 v1, 0x7c
	v_cndmask_b32_e32 v0, v0, v1, vcc
	buffer_store_dword v0, off, s[0:3], s33 offset:92 ; 4-byte Folded Spill
.LBB6_7344:                             ;   in Loop: Header=BB6_5473 Depth=4
	s_or_b64 exec, exec, s[30:31]
.LBB6_7345:                             ;   in Loop: Header=BB6_5473 Depth=4
	s_or_b64 exec, exec, s[28:29]
	v_and_b32_sdwa v30, v32, s96 dst_sel:DWORD dst_unused:UNUSED_PAD src0_sel:WORD_1 src1_sel:DWORD
	v_lshrrev_b32_e32 v0, 16, v32
	v_cmp_ne_u16_e32 vcc, 0, v30
	v_mov_b32_e32 v1, 0
	v_mov_b32_e32 v2, 0
	s_and_saveexec_b64 s[28:29], vcc
	s_cbranch_execz .LBB6_7353
; %bb.7346:                             ;   in Loop: Header=BB6_5473 Depth=4
	v_cmp_ne_u16_e32 vcc, s97, v30
	v_bfrev_b32_e32 v2, 1
	s_and_saveexec_b64 s[30:31], vcc
	s_cbranch_execz .LBB6_7352
; %bb.7347:                             ;   in Loop: Header=BB6_5473 Depth=4
	v_and_b32_e32 v2, 0x7c0000, v32
	v_bfe_u32 v30, v32, 16, 2
	v_cmp_ne_u32_e32 vcc, s45, v2
                                        ; implicit-def: $vgpr2
	s_and_saveexec_b64 s[62:63], vcc
	s_xor_b64 s[34:35], exec, s[62:63]
	s_cbranch_execz .LBB6_7349
; %bb.7348:                             ;   in Loop: Header=BB6_5473 Depth=4
	v_ffbh_u32_e32 v51, v30
	v_min_u32_e32 v51, 32, v51
	v_subrev_u32_e32 v40, 29, v51
	v_lshlrev_b64 v[40:41], v40, v[0:1]
	v_bfe_u32 v2, v32, 18, 5
	v_sub_u32_e32 v0, 30, v51
	v_and_b32_e32 v51, 3, v40
	v_cmp_eq_u32_e32 vcc, 0, v2
	v_cndmask_b32_e32 v0, v2, v0, vcc
	v_cndmask_b32_e32 v2, v30, v51, vcc
	v_lshlrev_b32_e32 v30, 8, v32
	v_and_b32_e32 v30, 0x80000000, v30
	v_lshl_add_u32 v0, v0, 23, v30
	v_lshl_or_b32 v0, v2, 21, v0
	v_add_u32_e32 v2, 0x38000000, v0
                                        ; implicit-def: $vgpr30
                                        ; implicit-def: $vgpr0
.LBB6_7349:                             ;   in Loop: Header=BB6_5473 Depth=4
	s_andn2_saveexec_b64 s[34:35], s[34:35]
; %bb.7350:                             ;   in Loop: Header=BB6_5473 Depth=4
	v_mov_b32_e32 v2, -1
	v_cmp_gt_i16_sdwa vcc, sext(v0), v2 src0_sel:BYTE_0 src1_sel:DWORD
	v_mov_b32_e32 v0, 0xff800000
	v_mov_b32_e32 v2, 0x7f800000
	v_cndmask_b32_e32 v0, v0, v2, vcc
	v_cmp_eq_u32_e32 vcc, 0, v30
	v_mov_b32_e32 v2, 0x7f800001
	v_cndmask_b32_e32 v2, v2, v0, vcc
; %bb.7351:                             ;   in Loop: Header=BB6_5473 Depth=4
	s_or_b64 exec, exec, s[34:35]
.LBB6_7352:                             ;   in Loop: Header=BB6_5473 Depth=4
	s_or_b64 exec, exec, s[30:31]
.LBB6_7353:                             ;   in Loop: Header=BB6_5473 Depth=4
	s_or_b64 exec, exec, s[28:29]
	v_lshrrev_b32_e32 v0, 16, v20
	v_cmp_ne_u16_sdwa s[62:63], v0, v33 src0_sel:BYTE_0 src1_sel:DWORD
	s_and_saveexec_b64 s[28:29], s[62:63]
	s_cbranch_execz .LBB6_7361
; %bb.7354:                             ;   in Loop: Header=BB6_5473 Depth=4
	v_cmp_ne_u16_sdwa s[62:63], v0, s97 src0_sel:BYTE_0 src1_sel:DWORD
	v_bfrev_b32_e32 v1, 1
	s_and_saveexec_b64 s[30:31], s[62:63]
	s_cbranch_execz .LBB6_7360
; %bb.7355:                             ;   in Loop: Header=BB6_5473 Depth=4
	v_and_b32_e32 v1, 0x7c0000, v20
	v_bfe_u32 v30, v20, 16, 2
	v_cmp_ne_u32_e32 vcc, s45, v1
                                        ; implicit-def: $vgpr1
	s_and_saveexec_b64 s[62:63], vcc
	s_xor_b64 s[34:35], exec, s[62:63]
	s_cbranch_execz .LBB6_7357
; %bb.7356:                             ;   in Loop: Header=BB6_5473 Depth=4
	v_ffbh_u32_e32 v1, v30
	v_min_u32_e32 v40, 32, v1
	v_subrev_u32_e32 v1, 29, v40
	v_lshlrev_b64 v[0:1], v1, v[0:1]
	v_bfe_u32 v51, v20, 18, 5
	v_and_b32_e32 v0, 3, v0
	v_cmp_eq_u32_e32 vcc, 0, v51
	v_sub_u32_e32 v1, 30, v40
	v_cndmask_b32_e32 v0, v30, v0, vcc
	v_lshlrev_b32_e32 v30, 8, v20
	v_cndmask_b32_e32 v1, v51, v1, vcc
	v_and_b32_e32 v30, 0x80000000, v30
	v_lshl_add_u32 v1, v1, 23, v30
	v_lshl_or_b32 v0, v0, 21, v1
	v_add_u32_e32 v1, 0x38000000, v0
                                        ; implicit-def: $vgpr30
                                        ; implicit-def: $vgpr0
.LBB6_7357:                             ;   in Loop: Header=BB6_5473 Depth=4
	s_andn2_saveexec_b64 s[34:35], s[34:35]
; %bb.7358:                             ;   in Loop: Header=BB6_5473 Depth=4
	v_mov_b32_e32 v1, -1
	v_cmp_gt_i16_sdwa vcc, sext(v0), v1 src0_sel:BYTE_0 src1_sel:DWORD
	v_mov_b32_e32 v0, 0xff800000
	v_mov_b32_e32 v1, 0x7f800000
	v_cndmask_b32_e32 v0, v0, v1, vcc
	v_cmp_eq_u32_e32 vcc, 0, v30
	v_mov_b32_e32 v1, 0x7f800001
	v_cndmask_b32_e32 v1, v1, v0, vcc
; %bb.7359:                             ;   in Loop: Header=BB6_5473 Depth=4
	s_or_b64 exec, exec, s[34:35]
.LBB6_7360:                             ;   in Loop: Header=BB6_5473 Depth=4
	s_or_b64 exec, exec, s[30:31]
.LBB6_7361:                             ;   in Loop: Header=BB6_5473 Depth=4
	s_or_b64 exec, exec, s[28:29]
	v_add_f32_e32 v2, v2, v1
	v_and_b32_e32 v40, 0x7f800000, v2
	v_mov_b32_e32 v41, v33
	v_cmp_ne_u64_e32 vcc, s[76:77], v[40:41]
	v_and_b32_e32 v0, 0x7fffff, v2
	v_mov_b32_e32 v1, v33
                                        ; implicit-def: $vgpr30
                                        ; kill: killed $vgpr30
	s_and_saveexec_b64 s[28:29], vcc
	s_xor_b64 s[30:31], exec, s[28:29]
	s_cbranch_execz .LBB6_7375
; %bb.7362:                             ;   in Loop: Header=BB6_5473 Depth=4
	v_and_b32_e32 v40, 0x7fffffff, v2
	v_mov_b32_e32 v41, v33
	v_cmp_gt_u64_e32 vcc, s[78:79], v[40:41]
	v_and_b32_sdwa v30, v2, s97 dst_sel:DWORD dst_unused:UNUSED_PAD src0_sel:BYTE_3 src1_sel:DWORD
                                        ; implicit-def: $vgpr51
                                        ; kill: killed $vgpr51
	s_and_saveexec_b64 s[28:29], vcc
	s_xor_b64 s[34:35], exec, s[28:29]
	s_cbranch_execz .LBB6_7372
; %bb.7363:                             ;   in Loop: Header=BB6_5473 Depth=4
	v_mov_b32_e32 v51, 0
	v_cmp_ne_u32_e32 vcc, 0, v2
	buffer_store_dword v51, off, s[0:3], s33 offset:108 ; 4-byte Folded Spill
	s_and_saveexec_b64 s[36:37], vcc
	s_cbranch_execz .LBB6_7371
; %bb.7364:                             ;   in Loop: Header=BB6_5473 Depth=4
	v_bfe_u32 v51, v2, 23, 8
	v_cmp_gt_u32_e64 s[28:29], s47, v51
	v_sub_u32_e32 v2, 0x71, v51
	v_cmp_eq_u32_e32 vcc, 0, v51
	v_cndmask_b32_e64 v2, 0, v2, s[28:29]
	v_mov_b32_e32 v40, 0x70
	v_cndmask_b32_e32 v40, v2, v40, vcc
	v_add_u32_e32 v2, 21, v40
	v_mov_b32_e32 v24, v46
	v_or_b32_e32 v41, 0x800000, v0
	v_lshlrev_b64 v[45:46], v2, -1
	v_cndmask_b32_e32 v0, v41, v0, vcc
	v_add_u32_e32 v2, 20, v40
	v_mov_b32_e32 v6, v57
	v_mov_b32_e32 v47, v56
	v_bfi_b32 v45, v45, 0, v0
	v_lshlrev_b64 v[56:57], v2, 1
	v_lshrrev_b64 v[0:1], v40, v[0:1]
	v_bfi_b32 v46, v46, 0, 0
	v_cmp_eq_u64_e64 s[28:29], v[45:46], v[56:57]
	v_mov_b32_e32 v2, v1
	v_mov_b32_e32 v1, v0
	s_and_saveexec_b64 s[38:39], s[28:29]
; %bb.7365:                             ;   in Loop: Header=BB6_5473 Depth=4
	v_bfe_u32 v1, v0, 21, 1
	v_add_co_u32_e64 v1, s[28:29], v0, v1
	v_add_co_u32_e64 v1, s[28:29], -1, v1
; %bb.7366:                             ;   in Loop: Header=BB6_5473 Depth=4
	s_or_b64 exec, exec, s[38:39]
	v_add_u32_e32 v2, 0xffffff81, v51
	v_mov_b32_e32 v51, 0xffffff82
	v_cndmask_b32_e32 v2, v2, v51, vcc
	v_lshrrev_b32_e32 v51, 23, v0
	v_add3_u32 v40, v40, v2, v51
	v_add_u32_e32 v51, 14, v40
	v_and_b32_e32 v1, 0x1fffff, v1
	v_add_u32_e32 v0, v1, v0
	v_mov_b32_e32 v1, v33
	v_cmp_ne_u32_e32 vcc, 0, v51
                                        ; implicit-def: $vgpr2
	s_and_saveexec_b64 s[28:29], vcc
	s_xor_b64 s[28:29], exec, s[28:29]
; %bb.7367:                             ;   in Loop: Header=BB6_5473 Depth=4
	v_cmp_lt_u64_e32 vcc, s[88:89], v[0:1]
	v_add_u32_e32 v2, 15, v40
	v_cndmask_b32_e32 v2, v51, v2, vcc
	v_cndmask_b32_e64 v51, 0, 1, vcc
	v_lshrrev_b64 v[0:1], v51, v[0:1]
; %bb.7368:                             ;   in Loop: Header=BB6_5473 Depth=4
	s_or_saveexec_b64 s[28:29], s[28:29]
	v_mov_b32_e32 v56, v47
	v_mov_b32_e32 v57, v6
	;; [unrolled: 1-line block ×3, first 2 shown]
	s_xor_b64 exec, exec, s[28:29]
; %bb.7369:                             ;   in Loop: Header=BB6_5473 Depth=4
	v_bfe_u32 v2, v0, 23, 1
; %bb.7370:                             ;   in Loop: Header=BB6_5473 Depth=4
	s_or_b64 exec, exec, s[28:29]
	v_lshrrev_b64 v[0:1], 21, v[0:1]
	v_cmp_gt_i32_e32 vcc, 32, v2
	v_cndmask_b32_e32 v1, 0, v1, vcc
	v_cndmask_b32_e32 v0, 3, v0, vcc
	v_cmp_eq_u64_e64 s[28:29], 0, v[0:1]
	v_min_i32_e32 v1, 31, v2
	v_lshlrev_b32_e32 v1, 2, v1
	v_cmp_eq_u32_e32 vcc, 0, v2
	v_and_b32_e32 v1, 0xfc, v1
	v_and_or_b32 v0, v0, 3, v1
	s_and_b64 s[28:29], vcc, s[28:29]
	v_cndmask_b32_e64 v0, v0, 0, s[28:29]
	v_or_b32_e32 v0, v0, v30
	buffer_store_dword v0, off, s[0:3], s33 offset:108 ; 4-byte Folded Spill
.LBB6_7371:                             ;   in Loop: Header=BB6_5473 Depth=4
	s_or_b64 exec, exec, s[36:37]
                                        ; implicit-def: $vgpr30
.LBB6_7372:                             ;   in Loop: Header=BB6_5473 Depth=4
	s_andn2_saveexec_b64 s[28:29], s[34:35]
	s_cbranch_execz .LBB6_7374
; %bb.7373:                             ;   in Loop: Header=BB6_5473 Depth=4
	v_or_b32_e32 v0, 0x7b, v30
	buffer_store_dword v0, off, s[0:3], s33 offset:108 ; 4-byte Folded Spill
.LBB6_7374:                             ;   in Loop: Header=BB6_5473 Depth=4
	s_or_b64 exec, exec, s[28:29]
                                        ; implicit-def: $vgpr2
                                        ; implicit-def: $vgpr0_vgpr1
.LBB6_7375:                             ;   in Loop: Header=BB6_5473 Depth=4
	s_andn2_saveexec_b64 s[28:29], s[30:31]
	s_cbranch_execz .LBB6_7381
; %bb.7376:                             ;   in Loop: Header=BB6_5473 Depth=4
	v_cmp_ne_u64_e32 vcc, 0, v[0:1]
                                        ; implicit-def: $vgpr0
                                        ; kill: killed $vgpr0
	s_and_saveexec_b64 s[62:63], vcc
	s_xor_b64 vcc, exec, s[62:63]
	s_cbranch_execz .LBB6_7378
; %bb.7377:                             ;   in Loop: Header=BB6_5473 Depth=4
	v_or_b32_sdwa v0, v2, s44 dst_sel:DWORD dst_unused:UNUSED_PAD src0_sel:BYTE_3 src1_sel:DWORD
	buffer_store_dword v0, off, s[0:3], s33 offset:108 ; 4-byte Folded Spill
                                        ; implicit-def: $vgpr2
.LBB6_7378:                             ;   in Loop: Header=BB6_5473 Depth=4
	s_andn2_saveexec_b64 s[30:31], vcc
	s_cbranch_execz .LBB6_7380
; %bb.7379:                             ;   in Loop: Header=BB6_5473 Depth=4
	v_cmp_lt_i32_e32 vcc, -1, v2
	v_bfrev_b32_e32 v0, 0.5
	v_mov_b32_e32 v1, 0x7c
	v_cndmask_b32_e32 v0, v0, v1, vcc
	buffer_store_dword v0, off, s[0:3], s33 offset:108 ; 4-byte Folded Spill
.LBB6_7380:                             ;   in Loop: Header=BB6_5473 Depth=4
	s_or_b64 exec, exec, s[30:31]
.LBB6_7381:                             ;   in Loop: Header=BB6_5473 Depth=4
	s_or_b64 exec, exec, s[28:29]
	v_cmp_lt_u32_e32 vcc, s57, v32
	v_mov_b32_e32 v1, 0
	v_mov_b32_e32 v2, 0
	s_and_saveexec_b64 s[28:29], vcc
	s_cbranch_execz .LBB6_7389
; %bb.7382:                             ;   in Loop: Header=BB6_5473 Depth=4
	v_lshrrev_b32_e32 v0, 24, v32
	v_cmp_ne_u32_e32 vcc, s97, v0
	v_bfrev_b32_e32 v2, 1
	s_and_saveexec_b64 s[30:31], vcc
	s_cbranch_execz .LBB6_7388
; %bb.7383:                             ;   in Loop: Header=BB6_5473 Depth=4
	v_and_b32_e32 v2, 0x7c000000, v32
	v_bfe_u32 v30, v32, 24, 2
	v_cmp_ne_u32_e32 vcc, s68, v2
                                        ; implicit-def: $vgpr2
	s_and_saveexec_b64 s[62:63], vcc
	s_xor_b64 s[34:35], exec, s[62:63]
	s_cbranch_execz .LBB6_7385
; %bb.7384:                             ;   in Loop: Header=BB6_5473 Depth=4
	v_ffbh_u32_e32 v51, v30
	v_min_u32_e32 v51, 32, v51
	v_subrev_u32_e32 v40, 29, v51
	v_lshlrev_b64 v[40:41], v40, v[0:1]
	v_bfe_u32 v2, v32, 26, 5
	v_sub_u32_e32 v0, 30, v51
	v_and_b32_e32 v51, 3, v40
	v_cmp_eq_u32_e32 vcc, 0, v2
	v_cndmask_b32_e32 v0, v2, v0, vcc
	v_cndmask_b32_e32 v2, v30, v51, vcc
	v_and_b32_e32 v30, 0x80000000, v32
	v_lshl_add_u32 v0, v0, 23, v30
	v_lshl_or_b32 v0, v2, 21, v0
	v_add_u32_e32 v2, 0x38000000, v0
                                        ; implicit-def: $vgpr30
.LBB6_7385:                             ;   in Loop: Header=BB6_5473 Depth=4
	s_andn2_saveexec_b64 s[34:35], s[34:35]
; %bb.7386:                             ;   in Loop: Header=BB6_5473 Depth=4
	v_cmp_lt_i32_e32 vcc, -1, v32
	v_mov_b32_e32 v0, 0xff800000
	v_mov_b32_e32 v2, 0x7f800000
	v_cndmask_b32_e32 v0, v0, v2, vcc
	v_cmp_eq_u32_e32 vcc, 0, v30
	v_mov_b32_e32 v2, 0x7f800001
	v_cndmask_b32_e32 v2, v2, v0, vcc
; %bb.7387:                             ;   in Loop: Header=BB6_5473 Depth=4
	s_or_b64 exec, exec, s[34:35]
.LBB6_7388:                             ;   in Loop: Header=BB6_5473 Depth=4
	s_or_b64 exec, exec, s[30:31]
.LBB6_7389:                             ;   in Loop: Header=BB6_5473 Depth=4
	s_or_b64 exec, exec, s[28:29]
	v_cmp_lt_u32_e32 vcc, s57, v20
	s_and_saveexec_b64 s[28:29], vcc
	s_cbranch_execz .LBB6_7397
; %bb.7390:                             ;   in Loop: Header=BB6_5473 Depth=4
	v_lshrrev_b32_e32 v0, 24, v20
	v_cmp_ne_u32_e32 vcc, s97, v0
	v_bfrev_b32_e32 v1, 1
	s_and_saveexec_b64 s[30:31], vcc
	s_cbranch_execz .LBB6_7396
; %bb.7391:                             ;   in Loop: Header=BB6_5473 Depth=4
	v_and_b32_e32 v1, 0x7c000000, v20
	v_bfe_u32 v30, v20, 24, 2
	v_cmp_ne_u32_e32 vcc, s68, v1
                                        ; implicit-def: $vgpr1
	s_and_saveexec_b64 s[62:63], vcc
	s_xor_b64 s[34:35], exec, s[62:63]
	s_cbranch_execz .LBB6_7393
; %bb.7392:                             ;   in Loop: Header=BB6_5473 Depth=4
	v_ffbh_u32_e32 v1, v30
	v_min_u32_e32 v51, 32, v1
	v_subrev_u32_e32 v1, 29, v51
	v_lshlrev_b64 v[0:1], v1, v[0:1]
	v_bfe_u32 v32, v20, 26, 5
	v_sub_u32_e32 v1, 30, v51
	v_and_b32_e32 v0, 3, v0
	v_cmp_eq_u32_e32 vcc, 0, v32
	v_cndmask_b32_e32 v1, v32, v1, vcc
	v_cndmask_b32_e32 v0, v30, v0, vcc
	v_and_b32_e32 v30, 0x80000000, v20
	v_lshl_add_u32 v1, v1, 23, v30
	v_lshl_or_b32 v0, v0, 21, v1
	v_add_u32_e32 v1, 0x38000000, v0
                                        ; implicit-def: $vgpr30
.LBB6_7393:                             ;   in Loop: Header=BB6_5473 Depth=4
	s_andn2_saveexec_b64 s[34:35], s[34:35]
; %bb.7394:                             ;   in Loop: Header=BB6_5473 Depth=4
	v_cmp_lt_i32_e32 vcc, -1, v20
	v_mov_b32_e32 v0, 0xff800000
	v_mov_b32_e32 v1, 0x7f800000
	v_cndmask_b32_e32 v0, v0, v1, vcc
	v_cmp_eq_u32_e32 vcc, 0, v30
	v_mov_b32_e32 v1, 0x7f800001
	v_cndmask_b32_e32 v1, v1, v0, vcc
; %bb.7395:                             ;   in Loop: Header=BB6_5473 Depth=4
	s_or_b64 exec, exec, s[34:35]
.LBB6_7396:                             ;   in Loop: Header=BB6_5473 Depth=4
	s_or_b64 exec, exec, s[30:31]
.LBB6_7397:                             ;   in Loop: Header=BB6_5473 Depth=4
	s_or_b64 exec, exec, s[28:29]
	v_add_f32_e32 v0, v2, v1
	v_and_b32_e32 v1, 0x7f800000, v0
	v_mov_b32_e32 v2, v33
	v_cmp_ne_u64_e32 vcc, s[76:77], v[1:2]
	v_and_b32_e32 v32, 0x7fffff, v0
                                        ; implicit-def: $vgpr1
                                        ; kill: killed $vgpr1
	s_and_saveexec_b64 s[28:29], vcc
	s_xor_b64 s[30:31], exec, s[28:29]
	s_cbranch_execz .LBB6_7411
; %bb.7398:                             ;   in Loop: Header=BB6_5473 Depth=4
	v_and_b32_e32 v1, 0x7fffffff, v0
	v_mov_b32_e32 v2, v33
	v_cmp_gt_u64_e32 vcc, s[78:79], v[1:2]
	v_and_b32_sdwa v30, v0, s97 dst_sel:DWORD dst_unused:UNUSED_PAD src0_sel:BYTE_3 src1_sel:DWORD
                                        ; implicit-def: $vgpr1
                                        ; kill: killed $vgpr1
	s_and_saveexec_b64 s[28:29], vcc
	s_xor_b64 s[34:35], exec, s[28:29]
	s_cbranch_execz .LBB6_7408
; %bb.7399:                             ;   in Loop: Header=BB6_5473 Depth=4
	v_mov_b32_e32 v1, 0
	v_cmp_ne_u32_e32 vcc, 0, v0
	buffer_store_dword v1, off, s[0:3], s33 offset:132 ; 4-byte Folded Spill
	s_and_saveexec_b64 s[36:37], vcc
	s_cbranch_execz .LBB6_7407
; %bb.7400:                             ;   in Loop: Header=BB6_5473 Depth=4
	v_bfe_u32 v51, v0, 23, 8
	v_cmp_gt_u32_e64 s[28:29], s47, v51
	v_sub_u32_e32 v0, 0x71, v51
	v_cmp_eq_u32_e32 vcc, 0, v51
	v_cndmask_b32_e64 v0, 0, v0, s[28:29]
	v_mov_b32_e32 v2, 0x70
	v_cndmask_b32_e32 v40, v0, v2, vcc
	v_add_u32_e32 v2, 21, v40
	v_mov_b32_e32 v24, v46
	v_or_b32_e32 v1, 0x800000, v32
	v_lshlrev_b64 v[45:46], v2, -1
	v_cndmask_b32_e32 v0, v1, v32, vcc
	v_mov_b32_e32 v1, v33
	v_add_u32_e32 v2, 20, v40
	v_mov_b32_e32 v6, v57
	v_mov_b32_e32 v41, v56
	v_bfi_b32 v45, v45, 0, v0
	v_lshlrev_b64 v[56:57], v2, 1
	v_lshrrev_b64 v[0:1], v40, v[0:1]
	v_bfi_b32 v46, v46, 0, 0
	v_cmp_eq_u64_e64 s[28:29], v[45:46], v[56:57]
	v_mov_b32_e32 v2, v1
	v_mov_b32_e32 v1, v0
	s_and_saveexec_b64 s[38:39], s[28:29]
; %bb.7401:                             ;   in Loop: Header=BB6_5473 Depth=4
	v_bfe_u32 v1, v0, 21, 1
	v_add_co_u32_e64 v1, s[28:29], v0, v1
	v_add_co_u32_e64 v1, s[28:29], -1, v1
; %bb.7402:                             ;   in Loop: Header=BB6_5473 Depth=4
	s_or_b64 exec, exec, s[38:39]
	v_add_u32_e32 v2, 0xffffff81, v51
	v_mov_b32_e32 v32, 0xffffff82
	v_cndmask_b32_e32 v2, v2, v32, vcc
	v_lshrrev_b32_e32 v32, 23, v0
	v_add3_u32 v40, v40, v2, v32
	v_add_u32_e32 v51, 14, v40
	v_and_b32_e32 v1, 0x1fffff, v1
	v_add_u32_e32 v32, v1, v0
	v_cmp_ne_u32_e32 vcc, 0, v51
                                        ; implicit-def: $vgpr0_vgpr1
                                        ; implicit-def: $vgpr2
	s_and_saveexec_b64 s[28:29], vcc
	s_xor_b64 s[28:29], exec, s[28:29]
; %bb.7403:                             ;   in Loop: Header=BB6_5473 Depth=4
	v_cmp_lt_u64_e32 vcc, s[88:89], v[32:33]
	v_add_u32_e32 v0, 15, v40
	v_cndmask_b32_e32 v2, v51, v0, vcc
	v_cndmask_b32_e64 v0, 0, 1, vcc
	v_lshrrev_b64 v[0:1], v0, v[32:33]
; %bb.7404:                             ;   in Loop: Header=BB6_5473 Depth=4
	s_or_saveexec_b64 s[28:29], s[28:29]
	v_mov_b32_e32 v56, v41
	v_mov_b32_e32 v57, v6
	;; [unrolled: 1-line block ×3, first 2 shown]
	s_xor_b64 exec, exec, s[28:29]
; %bb.7405:                             ;   in Loop: Header=BB6_5473 Depth=4
	v_mov_b32_e32 v0, v32
	v_mov_b32_e32 v1, v33
	v_bfe_u32 v2, v32, 23, 1
; %bb.7406:                             ;   in Loop: Header=BB6_5473 Depth=4
	s_or_b64 exec, exec, s[28:29]
	v_lshrrev_b64 v[0:1], 21, v[0:1]
	v_cmp_gt_i32_e32 vcc, 32, v2
	v_cndmask_b32_e32 v1, 0, v1, vcc
	v_cndmask_b32_e32 v0, 3, v0, vcc
	v_cmp_eq_u64_e64 s[28:29], 0, v[0:1]
	v_min_i32_e32 v1, 31, v2
	v_lshlrev_b32_e32 v1, 2, v1
	v_cmp_eq_u32_e32 vcc, 0, v2
	v_and_b32_e32 v1, 0xfc, v1
	v_and_or_b32 v0, v0, 3, v1
	s_and_b64 s[28:29], vcc, s[28:29]
	v_cndmask_b32_e64 v0, v0, 0, s[28:29]
	v_or_b32_e32 v0, v0, v30
	buffer_store_dword v0, off, s[0:3], s33 offset:132 ; 4-byte Folded Spill
.LBB6_7407:                             ;   in Loop: Header=BB6_5473 Depth=4
	s_or_b64 exec, exec, s[36:37]
                                        ; implicit-def: $vgpr30
.LBB6_7408:                             ;   in Loop: Header=BB6_5473 Depth=4
	s_andn2_saveexec_b64 s[28:29], s[34:35]
	s_cbranch_execz .LBB6_7410
; %bb.7409:                             ;   in Loop: Header=BB6_5473 Depth=4
	v_or_b32_e32 v0, 0x7b, v30
	buffer_store_dword v0, off, s[0:3], s33 offset:132 ; 4-byte Folded Spill
.LBB6_7410:                             ;   in Loop: Header=BB6_5473 Depth=4
	s_or_b64 exec, exec, s[28:29]
                                        ; implicit-def: $vgpr0
.LBB6_7411:                             ;   in Loop: Header=BB6_5473 Depth=4
	s_andn2_saveexec_b64 s[28:29], s[30:31]
	s_cbranch_execz .LBB6_7417
; %bb.7412:                             ;   in Loop: Header=BB6_5473 Depth=4
	v_cmp_ne_u64_e32 vcc, 0, v[32:33]
                                        ; implicit-def: $vgpr1
                                        ; kill: killed $vgpr1
	s_and_saveexec_b64 s[62:63], vcc
	s_xor_b64 vcc, exec, s[62:63]
	s_cbranch_execz .LBB6_7414
; %bb.7413:                             ;   in Loop: Header=BB6_5473 Depth=4
	v_or_b32_sdwa v0, v0, s44 dst_sel:DWORD dst_unused:UNUSED_PAD src0_sel:BYTE_3 src1_sel:DWORD
	buffer_store_dword v0, off, s[0:3], s33 offset:132 ; 4-byte Folded Spill
                                        ; implicit-def: $vgpr0
.LBB6_7414:                             ;   in Loop: Header=BB6_5473 Depth=4
	s_andn2_saveexec_b64 s[30:31], vcc
	s_cbranch_execz .LBB6_7416
; %bb.7415:                             ;   in Loop: Header=BB6_5473 Depth=4
	v_cmp_lt_i32_e32 vcc, -1, v0
	v_bfrev_b32_e32 v0, 0.5
	v_mov_b32_e32 v1, 0x7c
	v_cndmask_b32_e32 v0, v0, v1, vcc
	buffer_store_dword v0, off, s[0:3], s33 offset:132 ; 4-byte Folded Spill
.LBB6_7416:                             ;   in Loop: Header=BB6_5473 Depth=4
	s_or_b64 exec, exec, s[30:31]
.LBB6_7417:                             ;   in Loop: Header=BB6_5473 Depth=4
	s_or_b64 exec, exec, s[28:29]
	v_lshl_or_b32 v30, v38, 8, v4
	v_lshlrev_b32_e32 v0, 16, v49
	v_lshlrev_b32_e32 v1, 24, v54
	v_or3_b32 v32, v0, v1, v30
	v_cmp_ne_u32_e32 vcc, 0, v4
	v_mov_b32_e32 v0, 0
	v_mov_b32_e32 v1, 0
	s_and_saveexec_b64 s[30:31], vcc
	s_cbranch_execz .LBB6_7425
; %bb.7418:                             ;   in Loop: Header=BB6_5473 Depth=4
	v_cmp_ne_u32_e32 vcc, s97, v4
	v_bfrev_b32_e32 v1, 1
	s_and_saveexec_b64 s[34:35], vcc
	s_cbranch_execz .LBB6_7424
; %bb.7419:                             ;   in Loop: Header=BB6_5473 Depth=4
	v_and_b32_e32 v1, 0x7c, v4
	v_and_b32_e32 v2, 3, v4
	v_cmp_ne_u32_e32 vcc, s86, v1
                                        ; implicit-def: $vgpr1
	s_and_saveexec_b64 s[28:29], vcc
	s_xor_b64 s[28:29], exec, s[28:29]
	s_cbranch_execz .LBB6_7421
; %bb.7420:                             ;   in Loop: Header=BB6_5473 Depth=4
	v_ffbh_u32_e32 v38, v2
	v_min_u32_e32 v38, 32, v38
	v_subrev_u32_e32 v49, 29, v38
	v_bfe_u32 v1, v4, 2, 5
	v_lshlrev_b64 v[40:41], v49, v[32:33]
	v_sub_u32_e32 v38, 30, v38
	v_cmp_eq_u32_e32 vcc, 0, v1
	v_lshlrev_b32_e32 v4, 24, v4
	v_and_b32_e32 v49, 3, v40
	v_cndmask_b32_e32 v1, v1, v38, vcc
	v_and_b32_e32 v4, 0x80000000, v4
	v_cndmask_b32_e32 v2, v2, v49, vcc
	v_lshl_add_u32 v1, v1, 23, v4
	v_lshl_or_b32 v1, v2, 21, v1
	v_add_u32_e32 v1, 0x38000000, v1
                                        ; implicit-def: $vgpr2
                                        ; implicit-def: $vgpr4
.LBB6_7421:                             ;   in Loop: Header=BB6_5473 Depth=4
	s_andn2_saveexec_b64 s[36:37], s[28:29]
; %bb.7422:                             ;   in Loop: Header=BB6_5473 Depth=4
	v_and_b32_e32 v1, 0x80, v4
	v_cmp_eq_u32_e32 vcc, 0, v2
	v_cmp_eq_u32_e64 s[28:29], 0, v1
	v_mov_b32_e32 v1, 0xff800000
	v_mov_b32_e32 v2, 0x7f800000
	v_cndmask_b32_e64 v1, v1, v2, s[28:29]
	v_mov_b32_e32 v2, 0x7f800001
	v_cndmask_b32_e32 v1, v2, v1, vcc
; %bb.7423:                             ;   in Loop: Header=BB6_5473 Depth=4
	s_or_b64 exec, exec, s[36:37]
.LBB6_7424:                             ;   in Loop: Header=BB6_5473 Depth=4
	s_or_b64 exec, exec, s[34:35]
.LBB6_7425:                             ;   in Loop: Header=BB6_5473 Depth=4
	s_or_b64 exec, exec, s[30:31]
	v_cmp_ne_u16_sdwa s[62:63], v21, v33 src0_sel:BYTE_0 src1_sel:DWORD
	s_and_saveexec_b64 s[28:29], s[62:63]
	s_cbranch_execz .LBB6_7433
; %bb.7426:                             ;   in Loop: Header=BB6_5473 Depth=4
	v_cmp_ne_u16_sdwa s[62:63], v21, s97 src0_sel:BYTE_0 src1_sel:DWORD
	v_bfrev_b32_e32 v0, 1
	s_and_saveexec_b64 s[30:31], s[62:63]
	s_cbranch_execz .LBB6_7432
; %bb.7427:                             ;   in Loop: Header=BB6_5473 Depth=4
	v_and_b32_e32 v0, 0x7c, v21
	v_and_b32_e32 v2, 3, v21
	v_cmp_ne_u32_e32 vcc, s86, v0
                                        ; implicit-def: $vgpr0
	s_and_saveexec_b64 s[62:63], vcc
	s_xor_b64 s[34:35], exec, s[62:63]
	s_cbranch_execz .LBB6_7429
; %bb.7428:                             ;   in Loop: Header=BB6_5473 Depth=4
	v_ffbh_u32_e32 v4, v2
	v_min_u32_e32 v4, 32, v4
	v_mov_b32_e32 v40, v21
	v_mov_b32_e32 v41, v33
	v_bfe_u32 v0, v21, 2, 5
	v_subrev_u32_e32 v38, 29, v4
	v_lshlrev_b64 v[40:41], v38, v[40:41]
	v_sub_u32_e32 v4, 30, v4
	v_cmp_eq_u32_e32 vcc, 0, v0
	v_cndmask_b32_e32 v0, v0, v4, vcc
	v_lshlrev_b32_e32 v4, 24, v21
	v_and_b32_e32 v38, 3, v40
	v_and_b32_e32 v4, 0x80000000, v4
	v_cndmask_b32_e32 v2, v2, v38, vcc
	v_lshl_add_u32 v0, v0, 23, v4
	v_lshl_or_b32 v0, v2, 21, v0
	v_add_u32_e32 v0, 0x38000000, v0
                                        ; implicit-def: $vgpr2
.LBB6_7429:                             ;   in Loop: Header=BB6_5473 Depth=4
	s_andn2_saveexec_b64 s[34:35], s[34:35]
; %bb.7430:                             ;   in Loop: Header=BB6_5473 Depth=4
	v_mov_b32_e32 v0, -1
	v_cmp_gt_i16_sdwa vcc, sext(v21), v0 src0_sel:BYTE_0 src1_sel:DWORD
	v_mov_b32_e32 v0, 0xff800000
	v_mov_b32_e32 v4, 0x7f800000
	v_cndmask_b32_e32 v0, v0, v4, vcc
	v_cmp_eq_u32_e32 vcc, 0, v2
	v_mov_b32_e32 v2, 0x7f800001
	v_cndmask_b32_e32 v0, v2, v0, vcc
; %bb.7431:                             ;   in Loop: Header=BB6_5473 Depth=4
	s_or_b64 exec, exec, s[34:35]
.LBB6_7432:                             ;   in Loop: Header=BB6_5473 Depth=4
	s_or_b64 exec, exec, s[30:31]
.LBB6_7433:                             ;   in Loop: Header=BB6_5473 Depth=4
	s_or_b64 exec, exec, s[28:29]
	v_add_f32_e32 v2, v1, v0
	v_and_b32_e32 v40, 0x7f800000, v2
	v_mov_b32_e32 v41, v33
	v_cmp_ne_u64_e32 vcc, s[76:77], v[40:41]
	v_and_b32_e32 v0, 0x7fffff, v2
	v_mov_b32_e32 v1, v33
                                        ; implicit-def: $vgpr4
                                        ; kill: killed $vgpr4
	s_and_saveexec_b64 s[28:29], vcc
	s_xor_b64 s[30:31], exec, s[28:29]
	s_cbranch_execz .LBB6_7447
; %bb.7434:                             ;   in Loop: Header=BB6_5473 Depth=4
	v_and_b32_e32 v40, 0x7fffffff, v2
	v_mov_b32_e32 v41, v33
	v_cmp_gt_u64_e32 vcc, s[78:79], v[40:41]
	v_and_b32_sdwa v4, v2, s97 dst_sel:DWORD dst_unused:UNUSED_PAD src0_sel:BYTE_3 src1_sel:DWORD
                                        ; implicit-def: $vgpr38
                                        ; kill: killed $vgpr38
	s_and_saveexec_b64 s[28:29], vcc
	s_xor_b64 s[34:35], exec, s[28:29]
	s_cbranch_execz .LBB6_7444
; %bb.7435:                             ;   in Loop: Header=BB6_5473 Depth=4
	v_mov_b32_e32 v38, 0
	v_cmp_ne_u32_e32 vcc, 0, v2
	buffer_store_dword v38, off, s[0:3], s33 offset:188 ; 4-byte Folded Spill
	s_and_saveexec_b64 s[36:37], vcc
	s_cbranch_execz .LBB6_7443
; %bb.7436:                             ;   in Loop: Header=BB6_5473 Depth=4
	v_bfe_u32 v38, v2, 23, 8
	v_cmp_gt_u32_e64 s[28:29], s47, v38
	v_sub_u32_e32 v2, 0x71, v38
	v_cmp_eq_u32_e32 vcc, 0, v38
	v_cndmask_b32_e64 v2, 0, v2, s[28:29]
	v_mov_b32_e32 v49, 0x70
	v_cndmask_b32_e32 v49, v2, v49, vcc
	v_add_u32_e32 v2, 21, v49
	v_or_b32_e32 v51, 0x800000, v0
	v_lshlrev_b64 v[40:41], v2, -1
	v_cndmask_b32_e32 v0, v51, v0, vcc
	v_add_u32_e32 v2, 20, v49
	v_mov_b32_e32 v6, v46
	v_bfi_b32 v40, v40, 0, v0
	v_lshlrev_b64 v[45:46], v2, 1
	v_lshrrev_b64 v[0:1], v49, v[0:1]
	v_bfi_b32 v41, v41, 0, 0
	v_cmp_eq_u64_e64 s[28:29], v[40:41], v[45:46]
	v_mov_b32_e32 v2, v1
	v_mov_b32_e32 v1, v0
	s_and_saveexec_b64 s[38:39], s[28:29]
; %bb.7437:                             ;   in Loop: Header=BB6_5473 Depth=4
	v_bfe_u32 v1, v0, 21, 1
	v_add_co_u32_e64 v1, s[28:29], v0, v1
	v_add_co_u32_e64 v1, s[28:29], -1, v1
; %bb.7438:                             ;   in Loop: Header=BB6_5473 Depth=4
	s_or_b64 exec, exec, s[38:39]
	v_add_u32_e32 v2, 0xffffff81, v38
	v_mov_b32_e32 v38, 0xffffff82
	v_cndmask_b32_e32 v2, v2, v38, vcc
	v_lshrrev_b32_e32 v38, 23, v0
	v_add3_u32 v49, v49, v2, v38
	v_add_u32_e32 v38, 14, v49
	v_and_b32_e32 v1, 0x1fffff, v1
	v_add_u32_e32 v0, v1, v0
	v_mov_b32_e32 v1, v33
	v_cmp_ne_u32_e32 vcc, 0, v38
                                        ; implicit-def: $vgpr2
	s_and_saveexec_b64 s[28:29], vcc
	s_xor_b64 s[28:29], exec, s[28:29]
; %bb.7439:                             ;   in Loop: Header=BB6_5473 Depth=4
	v_cmp_lt_u64_e32 vcc, s[88:89], v[0:1]
	v_add_u32_e32 v2, 15, v49
	v_cndmask_b32_e32 v2, v38, v2, vcc
	v_cndmask_b32_e64 v38, 0, 1, vcc
	v_lshrrev_b64 v[0:1], v38, v[0:1]
; %bb.7440:                             ;   in Loop: Header=BB6_5473 Depth=4
	s_or_saveexec_b64 s[28:29], s[28:29]
	v_mov_b32_e32 v46, v6
	s_xor_b64 exec, exec, s[28:29]
; %bb.7441:                             ;   in Loop: Header=BB6_5473 Depth=4
	v_bfe_u32 v2, v0, 23, 1
; %bb.7442:                             ;   in Loop: Header=BB6_5473 Depth=4
	s_or_b64 exec, exec, s[28:29]
	v_lshrrev_b64 v[0:1], 21, v[0:1]
	v_cmp_gt_i32_e32 vcc, 32, v2
	v_cndmask_b32_e32 v1, 0, v1, vcc
	v_cndmask_b32_e32 v0, 3, v0, vcc
	v_cmp_eq_u64_e64 s[28:29], 0, v[0:1]
	v_min_i32_e32 v1, 31, v2
	v_lshlrev_b32_e32 v1, 2, v1
	v_cmp_eq_u32_e32 vcc, 0, v2
	v_and_b32_e32 v1, 0xfc, v1
	v_and_or_b32 v0, v0, 3, v1
	s_and_b64 s[28:29], vcc, s[28:29]
	v_cndmask_b32_e64 v0, v0, 0, s[28:29]
	v_or_b32_e32 v0, v0, v4
	buffer_store_dword v0, off, s[0:3], s33 offset:188 ; 4-byte Folded Spill
.LBB6_7443:                             ;   in Loop: Header=BB6_5473 Depth=4
	s_or_b64 exec, exec, s[36:37]
                                        ; implicit-def: $vgpr4
.LBB6_7444:                             ;   in Loop: Header=BB6_5473 Depth=4
	s_andn2_saveexec_b64 s[28:29], s[34:35]
	s_cbranch_execz .LBB6_7446
; %bb.7445:                             ;   in Loop: Header=BB6_5473 Depth=4
	v_or_b32_e32 v0, 0x7b, v4
	buffer_store_dword v0, off, s[0:3], s33 offset:188 ; 4-byte Folded Spill
.LBB6_7446:                             ;   in Loop: Header=BB6_5473 Depth=4
	s_or_b64 exec, exec, s[28:29]
                                        ; implicit-def: $vgpr2
                                        ; implicit-def: $vgpr0_vgpr1
.LBB6_7447:                             ;   in Loop: Header=BB6_5473 Depth=4
	s_andn2_saveexec_b64 s[28:29], s[30:31]
	s_cbranch_execz .LBB6_7453
; %bb.7448:                             ;   in Loop: Header=BB6_5473 Depth=4
	v_cmp_ne_u64_e32 vcc, 0, v[0:1]
                                        ; implicit-def: $vgpr0
                                        ; kill: killed $vgpr0
	s_and_saveexec_b64 s[62:63], vcc
	s_xor_b64 vcc, exec, s[62:63]
	s_cbranch_execz .LBB6_7450
; %bb.7449:                             ;   in Loop: Header=BB6_5473 Depth=4
	v_or_b32_sdwa v0, v2, s44 dst_sel:DWORD dst_unused:UNUSED_PAD src0_sel:BYTE_3 src1_sel:DWORD
	buffer_store_dword v0, off, s[0:3], s33 offset:188 ; 4-byte Folded Spill
                                        ; implicit-def: $vgpr2
.LBB6_7450:                             ;   in Loop: Header=BB6_5473 Depth=4
	s_andn2_saveexec_b64 s[30:31], vcc
	s_cbranch_execz .LBB6_7452
; %bb.7451:                             ;   in Loop: Header=BB6_5473 Depth=4
	v_cmp_lt_i32_e32 vcc, -1, v2
	v_bfrev_b32_e32 v0, 0.5
	v_mov_b32_e32 v1, 0x7c
	v_cndmask_b32_e32 v0, v0, v1, vcc
	buffer_store_dword v0, off, s[0:3], s33 offset:188 ; 4-byte Folded Spill
.LBB6_7452:                             ;   in Loop: Header=BB6_5473 Depth=4
	s_or_b64 exec, exec, s[30:31]
.LBB6_7453:                             ;   in Loop: Header=BB6_5473 Depth=4
	s_or_b64 exec, exec, s[28:29]
	v_lshrrev_b16_e32 v0, 8, v30
	v_cmp_ne_u16_e32 vcc, 0, v0
	v_mov_b32_e32 v2, 0
	v_mov_b32_e32 v4, 0
	s_and_saveexec_b64 s[28:29], vcc
	s_cbranch_execz .LBB6_7461
; %bb.7454:                             ;   in Loop: Header=BB6_5473 Depth=4
	v_cmp_ne_u16_e32 vcc, s97, v0
	v_bfrev_b32_e32 v4, 1
	s_and_saveexec_b64 s[30:31], vcc
	s_cbranch_execz .LBB6_7460
; %bb.7455:                             ;   in Loop: Header=BB6_5473 Depth=4
	v_and_b32_e32 v1, 0x7c, v0
	v_and_b32_e32 v38, 3, v0
	v_cmp_ne_u32_e32 vcc, s86, v1
                                        ; implicit-def: $vgpr4
	s_and_saveexec_b64 s[62:63], vcc
	s_xor_b64 s[34:35], exec, s[62:63]
	s_cbranch_execz .LBB6_7457
; %bb.7456:                             ;   in Loop: Header=BB6_5473 Depth=4
	v_ffbh_u32_e32 v49, v38
	v_min_u32_e32 v49, 32, v49
	v_mov_b32_e32 v1, v33
	v_subrev_u32_e32 v51, 29, v49
	v_bfe_u32 v4, v0, 2, 5
	v_lshlrev_b64 v[0:1], v51, v[0:1]
	v_sub_u32_e32 v1, 30, v49
	v_cmp_eq_u32_e32 vcc, 0, v4
	v_cndmask_b32_e32 v1, v4, v1, vcc
	v_lshlrev_b32_e32 v4, 16, v30
	v_and_b32_e32 v0, 3, v0
	v_and_b32_e32 v4, 0x80000000, v4
	v_cndmask_b32_e32 v0, v38, v0, vcc
	v_lshl_add_u32 v1, v1, 23, v4
	v_lshl_or_b32 v0, v0, 21, v1
	v_add_u32_e32 v4, 0x38000000, v0
                                        ; implicit-def: $vgpr38
                                        ; implicit-def: $vgpr30
.LBB6_7457:                             ;   in Loop: Header=BB6_5473 Depth=4
	s_andn2_saveexec_b64 s[34:35], s[34:35]
; %bb.7458:                             ;   in Loop: Header=BB6_5473 Depth=4
	v_cmp_lt_i16_e32 vcc, -1, v30
	v_mov_b32_e32 v0, 0xff800000
	v_mov_b32_e32 v1, 0x7f800000
	v_cndmask_b32_e32 v0, v0, v1, vcc
	v_cmp_eq_u32_e32 vcc, 0, v38
	v_mov_b32_e32 v1, 0x7f800001
	v_cndmask_b32_e32 v4, v1, v0, vcc
; %bb.7459:                             ;   in Loop: Header=BB6_5473 Depth=4
	s_or_b64 exec, exec, s[34:35]
.LBB6_7460:                             ;   in Loop: Header=BB6_5473 Depth=4
	s_or_b64 exec, exec, s[30:31]
.LBB6_7461:                             ;   in Loop: Header=BB6_5473 Depth=4
	s_or_b64 exec, exec, s[28:29]
	v_lshrrev_b16_e32 v0, 8, v21
	v_cmp_ne_u16_e32 vcc, 0, v0
	s_and_saveexec_b64 s[28:29], vcc
	s_cbranch_execz .LBB6_7469
; %bb.7462:                             ;   in Loop: Header=BB6_5473 Depth=4
	v_cmp_ne_u16_e32 vcc, s97, v0
	v_bfrev_b32_e32 v2, 1
	s_and_saveexec_b64 s[30:31], vcc
	s_cbranch_execz .LBB6_7468
; %bb.7463:                             ;   in Loop: Header=BB6_5473 Depth=4
	v_and_b32_e32 v1, 0x7c, v0
	v_and_b32_e32 v30, 3, v0
	v_cmp_ne_u32_e32 vcc, s86, v1
                                        ; implicit-def: $vgpr2
	s_and_saveexec_b64 s[62:63], vcc
	s_xor_b64 s[34:35], exec, s[62:63]
	s_cbranch_execz .LBB6_7465
; %bb.7464:                             ;   in Loop: Header=BB6_5473 Depth=4
	v_ffbh_u32_e32 v38, v30
	v_min_u32_e32 v38, 32, v38
	v_mov_b32_e32 v1, v33
	v_subrev_u32_e32 v49, 29, v38
	v_bfe_u32 v2, v0, 2, 5
	v_lshlrev_b64 v[0:1], v49, v[0:1]
	v_sub_u32_e32 v1, 30, v38
	v_cmp_eq_u32_e32 vcc, 0, v2
	v_cndmask_b32_e32 v1, v2, v1, vcc
	v_lshlrev_b32_e32 v2, 16, v21
	v_and_b32_e32 v0, 3, v0
	v_and_b32_e32 v2, 0x80000000, v2
	v_cndmask_b32_e32 v0, v30, v0, vcc
	v_lshl_add_u32 v1, v1, 23, v2
	v_lshl_or_b32 v0, v0, 21, v1
	v_add_u32_e32 v2, 0x38000000, v0
                                        ; implicit-def: $vgpr30
.LBB6_7465:                             ;   in Loop: Header=BB6_5473 Depth=4
	s_andn2_saveexec_b64 s[34:35], s[34:35]
; %bb.7466:                             ;   in Loop: Header=BB6_5473 Depth=4
	v_cmp_lt_i16_e32 vcc, -1, v21
	v_mov_b32_e32 v0, 0xff800000
	v_mov_b32_e32 v1, 0x7f800000
	v_cndmask_b32_e32 v0, v0, v1, vcc
	v_cmp_eq_u32_e32 vcc, 0, v30
	v_mov_b32_e32 v1, 0x7f800001
	v_cndmask_b32_e32 v2, v1, v0, vcc
; %bb.7467:                             ;   in Loop: Header=BB6_5473 Depth=4
	s_or_b64 exec, exec, s[34:35]
.LBB6_7468:                             ;   in Loop: Header=BB6_5473 Depth=4
	s_or_b64 exec, exec, s[30:31]
.LBB6_7469:                             ;   in Loop: Header=BB6_5473 Depth=4
	s_or_b64 exec, exec, s[28:29]
	v_add_f32_e32 v2, v4, v2
	v_and_b32_e32 v40, 0x7f800000, v2
	v_mov_b32_e32 v41, v33
	v_cmp_ne_u64_e32 vcc, s[76:77], v[40:41]
	v_and_b32_e32 v0, 0x7fffff, v2
	v_mov_b32_e32 v1, v33
                                        ; implicit-def: $vgpr4
                                        ; kill: killed $vgpr4
	s_and_saveexec_b64 s[28:29], vcc
	s_xor_b64 s[30:31], exec, s[28:29]
	s_cbranch_execz .LBB6_7483
; %bb.7470:                             ;   in Loop: Header=BB6_5473 Depth=4
	v_and_b32_e32 v40, 0x7fffffff, v2
	v_mov_b32_e32 v41, v33
	v_cmp_gt_u64_e32 vcc, s[78:79], v[40:41]
	v_and_b32_sdwa v4, v2, s97 dst_sel:DWORD dst_unused:UNUSED_PAD src0_sel:BYTE_3 src1_sel:DWORD
                                        ; implicit-def: $vgpr30
                                        ; kill: killed $vgpr30
	s_and_saveexec_b64 s[28:29], vcc
	s_xor_b64 s[34:35], exec, s[28:29]
	s_cbranch_execz .LBB6_7480
; %bb.7471:                             ;   in Loop: Header=BB6_5473 Depth=4
	v_mov_b32_e32 v30, 0
	v_cmp_ne_u32_e32 vcc, 0, v2
	buffer_store_dword v30, off, s[0:3], s33 offset:220 ; 4-byte Folded Spill
	s_and_saveexec_b64 s[36:37], vcc
	s_cbranch_execz .LBB6_7479
; %bb.7472:                             ;   in Loop: Header=BB6_5473 Depth=4
	v_bfe_u32 v30, v2, 23, 8
	v_cmp_gt_u32_e64 s[28:29], s47, v30
	v_sub_u32_e32 v2, 0x71, v30
	v_cmp_eq_u32_e32 vcc, 0, v30
	v_cndmask_b32_e64 v2, 0, v2, s[28:29]
	v_mov_b32_e32 v38, 0x70
	v_cndmask_b32_e32 v38, v2, v38, vcc
	v_add_u32_e32 v2, 21, v38
	v_or_b32_e32 v49, 0x800000, v0
	v_lshlrev_b64 v[40:41], v2, -1
	v_cndmask_b32_e32 v0, v49, v0, vcc
	v_add_u32_e32 v2, 20, v38
	v_mov_b32_e32 v6, v46
	v_bfi_b32 v40, v40, 0, v0
	v_lshlrev_b64 v[45:46], v2, 1
	v_lshrrev_b64 v[0:1], v38, v[0:1]
	v_bfi_b32 v41, v41, 0, 0
	v_cmp_eq_u64_e64 s[28:29], v[40:41], v[45:46]
	v_mov_b32_e32 v2, v1
	v_mov_b32_e32 v1, v0
	s_and_saveexec_b64 s[38:39], s[28:29]
; %bb.7473:                             ;   in Loop: Header=BB6_5473 Depth=4
	v_bfe_u32 v1, v0, 21, 1
	v_add_co_u32_e64 v1, s[28:29], v0, v1
	v_add_co_u32_e64 v1, s[28:29], -1, v1
; %bb.7474:                             ;   in Loop: Header=BB6_5473 Depth=4
	s_or_b64 exec, exec, s[38:39]
	v_add_u32_e32 v2, 0xffffff81, v30
	v_mov_b32_e32 v30, 0xffffff82
	v_cndmask_b32_e32 v2, v2, v30, vcc
	v_lshrrev_b32_e32 v30, 23, v0
	v_add3_u32 v38, v38, v2, v30
	v_add_u32_e32 v30, 14, v38
	v_and_b32_e32 v1, 0x1fffff, v1
	v_add_u32_e32 v0, v1, v0
	v_mov_b32_e32 v1, v33
	v_cmp_ne_u32_e32 vcc, 0, v30
                                        ; implicit-def: $vgpr2
	s_and_saveexec_b64 s[28:29], vcc
	s_xor_b64 s[28:29], exec, s[28:29]
; %bb.7475:                             ;   in Loop: Header=BB6_5473 Depth=4
	v_cmp_lt_u64_e32 vcc, s[88:89], v[0:1]
	v_add_u32_e32 v2, 15, v38
	v_cndmask_b32_e32 v2, v30, v2, vcc
	v_cndmask_b32_e64 v30, 0, 1, vcc
	v_lshrrev_b64 v[0:1], v30, v[0:1]
; %bb.7476:                             ;   in Loop: Header=BB6_5473 Depth=4
	s_or_saveexec_b64 s[28:29], s[28:29]
	v_mov_b32_e32 v46, v6
	s_xor_b64 exec, exec, s[28:29]
; %bb.7477:                             ;   in Loop: Header=BB6_5473 Depth=4
	v_bfe_u32 v2, v0, 23, 1
; %bb.7478:                             ;   in Loop: Header=BB6_5473 Depth=4
	s_or_b64 exec, exec, s[28:29]
	v_lshrrev_b64 v[0:1], 21, v[0:1]
	v_cmp_gt_i32_e32 vcc, 32, v2
	v_cndmask_b32_e32 v1, 0, v1, vcc
	v_cndmask_b32_e32 v0, 3, v0, vcc
	v_cmp_eq_u64_e64 s[28:29], 0, v[0:1]
	v_min_i32_e32 v1, 31, v2
	v_lshlrev_b32_e32 v1, 2, v1
	v_cmp_eq_u32_e32 vcc, 0, v2
	v_and_b32_e32 v1, 0xfc, v1
	v_and_or_b32 v0, v0, 3, v1
	s_and_b64 s[28:29], vcc, s[28:29]
	v_cndmask_b32_e64 v0, v0, 0, s[28:29]
	v_or_b32_e32 v0, v0, v4
	buffer_store_dword v0, off, s[0:3], s33 offset:220 ; 4-byte Folded Spill
.LBB6_7479:                             ;   in Loop: Header=BB6_5473 Depth=4
	s_or_b64 exec, exec, s[36:37]
                                        ; implicit-def: $vgpr4
.LBB6_7480:                             ;   in Loop: Header=BB6_5473 Depth=4
	s_andn2_saveexec_b64 s[28:29], s[34:35]
	s_cbranch_execz .LBB6_7482
; %bb.7481:                             ;   in Loop: Header=BB6_5473 Depth=4
	v_or_b32_e32 v0, 0x7b, v4
	buffer_store_dword v0, off, s[0:3], s33 offset:220 ; 4-byte Folded Spill
.LBB6_7482:                             ;   in Loop: Header=BB6_5473 Depth=4
	s_or_b64 exec, exec, s[28:29]
                                        ; implicit-def: $vgpr2
                                        ; implicit-def: $vgpr0_vgpr1
.LBB6_7483:                             ;   in Loop: Header=BB6_5473 Depth=4
	s_andn2_saveexec_b64 s[28:29], s[30:31]
	s_cbranch_execz .LBB6_7489
; %bb.7484:                             ;   in Loop: Header=BB6_5473 Depth=4
	v_cmp_ne_u64_e32 vcc, 0, v[0:1]
                                        ; implicit-def: $vgpr0
                                        ; kill: killed $vgpr0
	s_and_saveexec_b64 s[62:63], vcc
	s_xor_b64 vcc, exec, s[62:63]
	s_cbranch_execz .LBB6_7486
; %bb.7485:                             ;   in Loop: Header=BB6_5473 Depth=4
	v_or_b32_sdwa v0, v2, s44 dst_sel:DWORD dst_unused:UNUSED_PAD src0_sel:BYTE_3 src1_sel:DWORD
	buffer_store_dword v0, off, s[0:3], s33 offset:220 ; 4-byte Folded Spill
                                        ; implicit-def: $vgpr2
.LBB6_7486:                             ;   in Loop: Header=BB6_5473 Depth=4
	s_andn2_saveexec_b64 s[30:31], vcc
	s_cbranch_execz .LBB6_7488
; %bb.7487:                             ;   in Loop: Header=BB6_5473 Depth=4
	v_cmp_lt_i32_e32 vcc, -1, v2
	v_bfrev_b32_e32 v0, 0.5
	v_mov_b32_e32 v1, 0x7c
	v_cndmask_b32_e32 v0, v0, v1, vcc
	buffer_store_dword v0, off, s[0:3], s33 offset:220 ; 4-byte Folded Spill
.LBB6_7488:                             ;   in Loop: Header=BB6_5473 Depth=4
	s_or_b64 exec, exec, s[30:31]
.LBB6_7489:                             ;   in Loop: Header=BB6_5473 Depth=4
	s_or_b64 exec, exec, s[28:29]
	v_and_b32_sdwa v4, v32, s96 dst_sel:DWORD dst_unused:UNUSED_PAD src0_sel:WORD_1 src1_sel:DWORD
	v_lshrrev_b32_e32 v0, 16, v32
	v_cmp_ne_u16_e32 vcc, 0, v4
	v_mov_b32_e32 v1, 0
	v_mov_b32_e32 v2, 0
	s_and_saveexec_b64 s[28:29], vcc
	s_cbranch_execz .LBB6_7497
; %bb.7490:                             ;   in Loop: Header=BB6_5473 Depth=4
	v_cmp_ne_u16_e32 vcc, s97, v4
	v_bfrev_b32_e32 v2, 1
	s_and_saveexec_b64 s[30:31], vcc
	s_cbranch_execz .LBB6_7496
; %bb.7491:                             ;   in Loop: Header=BB6_5473 Depth=4
	v_and_b32_e32 v2, 0x7c0000, v32
	v_bfe_u32 v4, v32, 16, 2
	v_cmp_ne_u32_e32 vcc, s45, v2
                                        ; implicit-def: $vgpr2
	s_and_saveexec_b64 s[62:63], vcc
	s_xor_b64 s[34:35], exec, s[62:63]
	s_cbranch_execz .LBB6_7493
; %bb.7492:                             ;   in Loop: Header=BB6_5473 Depth=4
	v_ffbh_u32_e32 v30, v4
	v_min_u32_e32 v30, 32, v30
	v_subrev_u32_e32 v38, 29, v30
	v_lshlrev_b64 v[40:41], v38, v[0:1]
	v_bfe_u32 v2, v32, 18, 5
	v_sub_u32_e32 v0, 30, v30
	v_and_b32_e32 v30, 3, v40
	v_cmp_eq_u32_e32 vcc, 0, v2
	v_cndmask_b32_e32 v0, v2, v0, vcc
	v_cndmask_b32_e32 v2, v4, v30, vcc
	v_lshlrev_b32_e32 v4, 8, v32
	v_and_b32_e32 v4, 0x80000000, v4
	v_lshl_add_u32 v0, v0, 23, v4
	v_lshl_or_b32 v0, v2, 21, v0
	v_add_u32_e32 v2, 0x38000000, v0
                                        ; implicit-def: $vgpr4
                                        ; implicit-def: $vgpr0
.LBB6_7493:                             ;   in Loop: Header=BB6_5473 Depth=4
	s_andn2_saveexec_b64 s[34:35], s[34:35]
; %bb.7494:                             ;   in Loop: Header=BB6_5473 Depth=4
	v_mov_b32_e32 v2, -1
	v_cmp_gt_i16_sdwa vcc, sext(v0), v2 src0_sel:BYTE_0 src1_sel:DWORD
	v_mov_b32_e32 v0, 0xff800000
	v_mov_b32_e32 v2, 0x7f800000
	v_cndmask_b32_e32 v0, v0, v2, vcc
	v_cmp_eq_u32_e32 vcc, 0, v4
	v_mov_b32_e32 v2, 0x7f800001
	v_cndmask_b32_e32 v2, v2, v0, vcc
; %bb.7495:                             ;   in Loop: Header=BB6_5473 Depth=4
	s_or_b64 exec, exec, s[34:35]
.LBB6_7496:                             ;   in Loop: Header=BB6_5473 Depth=4
	s_or_b64 exec, exec, s[30:31]
.LBB6_7497:                             ;   in Loop: Header=BB6_5473 Depth=4
	s_or_b64 exec, exec, s[28:29]
	v_lshrrev_b32_e32 v0, 16, v21
	v_cmp_ne_u16_sdwa s[62:63], v0, v33 src0_sel:BYTE_0 src1_sel:DWORD
	s_and_saveexec_b64 s[28:29], s[62:63]
	s_cbranch_execz .LBB6_7505
; %bb.7498:                             ;   in Loop: Header=BB6_5473 Depth=4
	v_cmp_ne_u16_sdwa s[62:63], v0, s97 src0_sel:BYTE_0 src1_sel:DWORD
	v_bfrev_b32_e32 v1, 1
	s_and_saveexec_b64 s[30:31], s[62:63]
	s_cbranch_execz .LBB6_7504
; %bb.7499:                             ;   in Loop: Header=BB6_5473 Depth=4
	v_and_b32_e32 v1, 0x7c0000, v21
	v_bfe_u32 v4, v21, 16, 2
	v_cmp_ne_u32_e32 vcc, s45, v1
                                        ; implicit-def: $vgpr1
	s_and_saveexec_b64 s[62:63], vcc
	s_xor_b64 s[34:35], exec, s[62:63]
	s_cbranch_execz .LBB6_7501
; %bb.7500:                             ;   in Loop: Header=BB6_5473 Depth=4
	v_ffbh_u32_e32 v1, v4
	v_min_u32_e32 v38, 32, v1
	v_subrev_u32_e32 v1, 29, v38
	v_lshlrev_b64 v[0:1], v1, v[0:1]
	v_bfe_u32 v30, v21, 18, 5
	v_and_b32_e32 v0, 3, v0
	v_cmp_eq_u32_e32 vcc, 0, v30
	v_sub_u32_e32 v1, 30, v38
	v_cndmask_b32_e32 v0, v4, v0, vcc
	v_lshlrev_b32_e32 v4, 8, v21
	v_cndmask_b32_e32 v1, v30, v1, vcc
	v_and_b32_e32 v4, 0x80000000, v4
	v_lshl_add_u32 v1, v1, 23, v4
	v_lshl_or_b32 v0, v0, 21, v1
	v_add_u32_e32 v1, 0x38000000, v0
                                        ; implicit-def: $vgpr4
                                        ; implicit-def: $vgpr0
.LBB6_7501:                             ;   in Loop: Header=BB6_5473 Depth=4
	s_andn2_saveexec_b64 s[34:35], s[34:35]
; %bb.7502:                             ;   in Loop: Header=BB6_5473 Depth=4
	v_mov_b32_e32 v1, -1
	v_cmp_gt_i16_sdwa vcc, sext(v0), v1 src0_sel:BYTE_0 src1_sel:DWORD
	v_mov_b32_e32 v0, 0xff800000
	v_mov_b32_e32 v1, 0x7f800000
	v_cndmask_b32_e32 v0, v0, v1, vcc
	v_cmp_eq_u32_e32 vcc, 0, v4
	v_mov_b32_e32 v1, 0x7f800001
	v_cndmask_b32_e32 v1, v1, v0, vcc
; %bb.7503:                             ;   in Loop: Header=BB6_5473 Depth=4
	s_or_b64 exec, exec, s[34:35]
.LBB6_7504:                             ;   in Loop: Header=BB6_5473 Depth=4
	s_or_b64 exec, exec, s[30:31]
.LBB6_7505:                             ;   in Loop: Header=BB6_5473 Depth=4
	s_or_b64 exec, exec, s[28:29]
	v_add_f32_e32 v2, v2, v1
	v_and_b32_e32 v40, 0x7f800000, v2
	v_mov_b32_e32 v41, v33
	v_cmp_ne_u64_e32 vcc, s[76:77], v[40:41]
	v_and_b32_e32 v0, 0x7fffff, v2
	v_mov_b32_e32 v1, v33
                                        ; implicit-def: $vgpr4
                                        ; kill: killed $vgpr4
	s_and_saveexec_b64 s[28:29], vcc
	s_xor_b64 s[30:31], exec, s[28:29]
	s_cbranch_execz .LBB6_7519
; %bb.7506:                             ;   in Loop: Header=BB6_5473 Depth=4
	v_and_b32_e32 v40, 0x7fffffff, v2
	v_mov_b32_e32 v41, v33
	v_cmp_gt_u64_e32 vcc, s[78:79], v[40:41]
	v_and_b32_sdwa v4, v2, s97 dst_sel:DWORD dst_unused:UNUSED_PAD src0_sel:BYTE_3 src1_sel:DWORD
                                        ; implicit-def: $vgpr30
                                        ; kill: killed $vgpr30
	s_and_saveexec_b64 s[28:29], vcc
	s_xor_b64 s[34:35], exec, s[28:29]
	s_cbranch_execz .LBB6_7516
; %bb.7507:                             ;   in Loop: Header=BB6_5473 Depth=4
	v_mov_b32_e32 v30, 0
	v_cmp_ne_u32_e32 vcc, 0, v2
	buffer_store_dword v30, off, s[0:3], s33 offset:252 ; 4-byte Folded Spill
	s_and_saveexec_b64 s[36:37], vcc
	s_cbranch_execz .LBB6_7515
; %bb.7508:                             ;   in Loop: Header=BB6_5473 Depth=4
	v_bfe_u32 v30, v2, 23, 8
	v_cmp_gt_u32_e64 s[28:29], s47, v30
	v_sub_u32_e32 v2, 0x71, v30
	v_cmp_eq_u32_e32 vcc, 0, v30
	v_cndmask_b32_e64 v2, 0, v2, s[28:29]
	v_mov_b32_e32 v38, 0x70
	v_cndmask_b32_e32 v38, v2, v38, vcc
	v_add_u32_e32 v2, 21, v38
	v_or_b32_e32 v49, 0x800000, v0
	v_lshlrev_b64 v[40:41], v2, -1
	v_cndmask_b32_e32 v0, v49, v0, vcc
	v_add_u32_e32 v2, 20, v38
	v_mov_b32_e32 v6, v46
	v_bfi_b32 v40, v40, 0, v0
	v_lshlrev_b64 v[45:46], v2, 1
	v_lshrrev_b64 v[0:1], v38, v[0:1]
	v_bfi_b32 v41, v41, 0, 0
	v_cmp_eq_u64_e64 s[28:29], v[40:41], v[45:46]
	v_mov_b32_e32 v2, v1
	v_mov_b32_e32 v1, v0
	s_and_saveexec_b64 s[38:39], s[28:29]
; %bb.7509:                             ;   in Loop: Header=BB6_5473 Depth=4
	v_bfe_u32 v1, v0, 21, 1
	v_add_co_u32_e64 v1, s[28:29], v0, v1
	v_add_co_u32_e64 v1, s[28:29], -1, v1
; %bb.7510:                             ;   in Loop: Header=BB6_5473 Depth=4
	s_or_b64 exec, exec, s[38:39]
	v_add_u32_e32 v2, 0xffffff81, v30
	v_mov_b32_e32 v30, 0xffffff82
	v_cndmask_b32_e32 v2, v2, v30, vcc
	v_lshrrev_b32_e32 v30, 23, v0
	v_add3_u32 v38, v38, v2, v30
	v_add_u32_e32 v30, 14, v38
	v_and_b32_e32 v1, 0x1fffff, v1
	v_add_u32_e32 v0, v1, v0
	v_mov_b32_e32 v1, v33
	v_cmp_ne_u32_e32 vcc, 0, v30
                                        ; implicit-def: $vgpr2
	s_and_saveexec_b64 s[28:29], vcc
	s_xor_b64 s[28:29], exec, s[28:29]
; %bb.7511:                             ;   in Loop: Header=BB6_5473 Depth=4
	v_cmp_lt_u64_e32 vcc, s[88:89], v[0:1]
	v_add_u32_e32 v2, 15, v38
	v_cndmask_b32_e32 v2, v30, v2, vcc
	v_cndmask_b32_e64 v30, 0, 1, vcc
	v_lshrrev_b64 v[0:1], v30, v[0:1]
; %bb.7512:                             ;   in Loop: Header=BB6_5473 Depth=4
	s_or_saveexec_b64 s[28:29], s[28:29]
	v_mov_b32_e32 v46, v6
	s_xor_b64 exec, exec, s[28:29]
; %bb.7513:                             ;   in Loop: Header=BB6_5473 Depth=4
	v_bfe_u32 v2, v0, 23, 1
; %bb.7514:                             ;   in Loop: Header=BB6_5473 Depth=4
	s_or_b64 exec, exec, s[28:29]
	v_lshrrev_b64 v[0:1], 21, v[0:1]
	v_cmp_gt_i32_e32 vcc, 32, v2
	v_cndmask_b32_e32 v1, 0, v1, vcc
	v_cndmask_b32_e32 v0, 3, v0, vcc
	v_cmp_eq_u64_e64 s[28:29], 0, v[0:1]
	v_min_i32_e32 v1, 31, v2
	v_lshlrev_b32_e32 v1, 2, v1
	v_cmp_eq_u32_e32 vcc, 0, v2
	v_and_b32_e32 v1, 0xfc, v1
	v_and_or_b32 v0, v0, 3, v1
	s_and_b64 s[28:29], vcc, s[28:29]
	v_cndmask_b32_e64 v0, v0, 0, s[28:29]
	v_or_b32_e32 v0, v0, v4
	buffer_store_dword v0, off, s[0:3], s33 offset:252 ; 4-byte Folded Spill
.LBB6_7515:                             ;   in Loop: Header=BB6_5473 Depth=4
	s_or_b64 exec, exec, s[36:37]
                                        ; implicit-def: $vgpr4
.LBB6_7516:                             ;   in Loop: Header=BB6_5473 Depth=4
	s_andn2_saveexec_b64 s[28:29], s[34:35]
	s_cbranch_execz .LBB6_7518
; %bb.7517:                             ;   in Loop: Header=BB6_5473 Depth=4
	v_or_b32_e32 v0, 0x7b, v4
	buffer_store_dword v0, off, s[0:3], s33 offset:252 ; 4-byte Folded Spill
.LBB6_7518:                             ;   in Loop: Header=BB6_5473 Depth=4
	s_or_b64 exec, exec, s[28:29]
                                        ; implicit-def: $vgpr2
                                        ; implicit-def: $vgpr0_vgpr1
.LBB6_7519:                             ;   in Loop: Header=BB6_5473 Depth=4
	s_andn2_saveexec_b64 s[28:29], s[30:31]
	s_cbranch_execz .LBB6_7525
; %bb.7520:                             ;   in Loop: Header=BB6_5473 Depth=4
	v_cmp_ne_u64_e32 vcc, 0, v[0:1]
                                        ; implicit-def: $vgpr0
                                        ; kill: killed $vgpr0
	s_and_saveexec_b64 s[62:63], vcc
	s_xor_b64 vcc, exec, s[62:63]
	s_cbranch_execz .LBB6_7522
; %bb.7521:                             ;   in Loop: Header=BB6_5473 Depth=4
	v_or_b32_sdwa v0, v2, s44 dst_sel:DWORD dst_unused:UNUSED_PAD src0_sel:BYTE_3 src1_sel:DWORD
	buffer_store_dword v0, off, s[0:3], s33 offset:252 ; 4-byte Folded Spill
                                        ; implicit-def: $vgpr2
.LBB6_7522:                             ;   in Loop: Header=BB6_5473 Depth=4
	s_andn2_saveexec_b64 s[30:31], vcc
	s_cbranch_execz .LBB6_7524
; %bb.7523:                             ;   in Loop: Header=BB6_5473 Depth=4
	v_cmp_lt_i32_e32 vcc, -1, v2
	v_bfrev_b32_e32 v0, 0.5
	v_mov_b32_e32 v1, 0x7c
	v_cndmask_b32_e32 v0, v0, v1, vcc
	buffer_store_dword v0, off, s[0:3], s33 offset:252 ; 4-byte Folded Spill
.LBB6_7524:                             ;   in Loop: Header=BB6_5473 Depth=4
	s_or_b64 exec, exec, s[30:31]
.LBB6_7525:                             ;   in Loop: Header=BB6_5473 Depth=4
	s_or_b64 exec, exec, s[28:29]
	v_cmp_lt_u32_e32 vcc, s57, v32
	v_mov_b32_e32 v1, 0
	v_mov_b32_e32 v2, 0
	s_and_saveexec_b64 s[28:29], vcc
	s_cbranch_execz .LBB6_7533
; %bb.7526:                             ;   in Loop: Header=BB6_5473 Depth=4
	v_lshrrev_b32_e32 v0, 24, v32
	v_cmp_ne_u32_e32 vcc, s97, v0
	v_bfrev_b32_e32 v2, 1
	s_and_saveexec_b64 s[30:31], vcc
	s_cbranch_execz .LBB6_7532
; %bb.7527:                             ;   in Loop: Header=BB6_5473 Depth=4
	v_and_b32_e32 v2, 0x7c000000, v32
	v_bfe_u32 v4, v32, 24, 2
	v_cmp_ne_u32_e32 vcc, s68, v2
                                        ; implicit-def: $vgpr2
	s_and_saveexec_b64 s[62:63], vcc
	s_xor_b64 s[34:35], exec, s[62:63]
	s_cbranch_execz .LBB6_7529
; %bb.7528:                             ;   in Loop: Header=BB6_5473 Depth=4
	v_ffbh_u32_e32 v30, v4
	v_min_u32_e32 v30, 32, v30
	v_subrev_u32_e32 v38, 29, v30
	v_lshlrev_b64 v[40:41], v38, v[0:1]
	v_bfe_u32 v2, v32, 26, 5
	v_sub_u32_e32 v0, 30, v30
	v_and_b32_e32 v30, 3, v40
	v_cmp_eq_u32_e32 vcc, 0, v2
	v_cndmask_b32_e32 v0, v2, v0, vcc
	v_cndmask_b32_e32 v2, v4, v30, vcc
	v_and_b32_e32 v4, 0x80000000, v32
	v_lshl_add_u32 v0, v0, 23, v4
	v_lshl_or_b32 v0, v2, 21, v0
	v_add_u32_e32 v2, 0x38000000, v0
                                        ; implicit-def: $vgpr4
.LBB6_7529:                             ;   in Loop: Header=BB6_5473 Depth=4
	s_andn2_saveexec_b64 s[34:35], s[34:35]
; %bb.7530:                             ;   in Loop: Header=BB6_5473 Depth=4
	v_cmp_lt_i32_e32 vcc, -1, v32
	v_mov_b32_e32 v0, 0xff800000
	v_mov_b32_e32 v2, 0x7f800000
	v_cndmask_b32_e32 v0, v0, v2, vcc
	v_cmp_eq_u32_e32 vcc, 0, v4
	v_mov_b32_e32 v2, 0x7f800001
	v_cndmask_b32_e32 v2, v2, v0, vcc
; %bb.7531:                             ;   in Loop: Header=BB6_5473 Depth=4
	s_or_b64 exec, exec, s[34:35]
.LBB6_7532:                             ;   in Loop: Header=BB6_5473 Depth=4
	s_or_b64 exec, exec, s[30:31]
.LBB6_7533:                             ;   in Loop: Header=BB6_5473 Depth=4
	s_or_b64 exec, exec, s[28:29]
	v_cmp_lt_u64_e32 vcc, s[56:57], v[20:21]
	s_and_saveexec_b64 s[28:29], vcc
	s_cbranch_execz .LBB6_7541
; %bb.7534:                             ;   in Loop: Header=BB6_5473 Depth=4
	v_lshrrev_b32_e32 v0, 24, v21
	v_cmp_ne_u32_e32 vcc, s97, v0
	v_bfrev_b32_e32 v1, 1
	s_and_saveexec_b64 s[30:31], vcc
	s_cbranch_execz .LBB6_7540
; %bb.7535:                             ;   in Loop: Header=BB6_5473 Depth=4
	v_and_b32_e32 v1, 0x7c000000, v21
	v_bfe_u32 v4, v21, 24, 2
	v_cmp_ne_u32_e32 vcc, s68, v1
                                        ; implicit-def: $vgpr1
	s_and_saveexec_b64 s[62:63], vcc
	s_xor_b64 s[34:35], exec, s[62:63]
	s_cbranch_execz .LBB6_7537
; %bb.7536:                             ;   in Loop: Header=BB6_5473 Depth=4
	v_ffbh_u32_e32 v1, v4
	v_min_u32_e32 v32, 32, v1
	v_subrev_u32_e32 v1, 29, v32
	v_lshlrev_b64 v[0:1], v1, v[0:1]
	v_bfe_u32 v30, v21, 26, 5
	v_sub_u32_e32 v1, 30, v32
	v_and_b32_e32 v0, 3, v0
	v_cmp_eq_u32_e32 vcc, 0, v30
	v_cndmask_b32_e32 v1, v30, v1, vcc
	v_cndmask_b32_e32 v0, v4, v0, vcc
	v_and_b32_e32 v4, 0x80000000, v21
	v_lshl_add_u32 v1, v1, 23, v4
	v_lshl_or_b32 v0, v0, 21, v1
	v_add_u32_e32 v1, 0x38000000, v0
                                        ; implicit-def: $vgpr4
.LBB6_7537:                             ;   in Loop: Header=BB6_5473 Depth=4
	s_andn2_saveexec_b64 s[34:35], s[34:35]
; %bb.7538:                             ;   in Loop: Header=BB6_5473 Depth=4
	v_cmp_lt_i64_e32 vcc, -1, v[20:21]
	v_mov_b32_e32 v0, 0xff800000
	v_mov_b32_e32 v1, 0x7f800000
	v_cndmask_b32_e32 v0, v0, v1, vcc
	v_cmp_eq_u32_e32 vcc, 0, v4
	v_mov_b32_e32 v1, 0x7f800001
	v_cndmask_b32_e32 v1, v1, v0, vcc
; %bb.7539:                             ;   in Loop: Header=BB6_5473 Depth=4
	s_or_b64 exec, exec, s[34:35]
.LBB6_7540:                             ;   in Loop: Header=BB6_5473 Depth=4
	s_or_b64 exec, exec, s[30:31]
.LBB6_7541:                             ;   in Loop: Header=BB6_5473 Depth=4
	s_or_b64 exec, exec, s[28:29]
	v_add_f32_e32 v0, v2, v1
	v_and_b32_e32 v1, 0x7f800000, v0
	v_mov_b32_e32 v2, v33
	v_cmp_ne_u64_e32 vcc, s[76:77], v[1:2]
	v_and_b32_e32 v32, 0x7fffff, v0
                                        ; implicit-def: $vgpr1
                                        ; kill: killed $vgpr1
	s_and_saveexec_b64 s[28:29], vcc
	s_xor_b64 s[30:31], exec, s[28:29]
	s_cbranch_execz .LBB6_7555
; %bb.7542:                             ;   in Loop: Header=BB6_5473 Depth=4
	v_and_b32_e32 v1, 0x7fffffff, v0
	v_mov_b32_e32 v2, v33
	v_cmp_gt_u64_e32 vcc, s[78:79], v[1:2]
	v_and_b32_sdwa v4, v0, s97 dst_sel:DWORD dst_unused:UNUSED_PAD src0_sel:BYTE_3 src1_sel:DWORD
                                        ; implicit-def: $vgpr1
                                        ; kill: killed $vgpr1
	s_and_saveexec_b64 s[28:29], vcc
	s_xor_b64 s[34:35], exec, s[28:29]
	s_cbranch_execz .LBB6_7552
; %bb.7543:                             ;   in Loop: Header=BB6_5473 Depth=4
	v_mov_b32_e32 v1, 0
	v_cmp_ne_u32_e32 vcc, 0, v0
	buffer_store_dword v1, off, s[0:3], s33 offset:288 ; 4-byte Folded Spill
	s_and_saveexec_b64 s[36:37], vcc
	s_cbranch_execz .LBB6_7551
; %bb.7544:                             ;   in Loop: Header=BB6_5473 Depth=4
	v_bfe_u32 v20, v0, 23, 8
	v_cmp_gt_u32_e64 s[28:29], s47, v20
	v_sub_u32_e32 v0, 0x71, v20
	v_cmp_eq_u32_e32 vcc, 0, v20
	v_cndmask_b32_e64 v0, 0, v0, s[28:29]
	v_mov_b32_e32 v2, 0x70
	v_cndmask_b32_e32 v21, v0, v2, vcc
	v_add_u32_e32 v2, 21, v21
	v_or_b32_e32 v1, 0x800000, v32
	v_lshlrev_b64 v[40:41], v2, -1
	v_cndmask_b32_e32 v0, v1, v32, vcc
	v_mov_b32_e32 v1, v33
	v_add_u32_e32 v2, 20, v21
	v_mov_b32_e32 v6, v46
	v_bfi_b32 v40, v40, 0, v0
	v_lshlrev_b64 v[45:46], v2, 1
	v_lshrrev_b64 v[0:1], v21, v[0:1]
	v_bfi_b32 v41, v41, 0, 0
	v_cmp_eq_u64_e64 s[28:29], v[40:41], v[45:46]
	v_mov_b32_e32 v2, v1
	v_mov_b32_e32 v1, v0
	s_and_saveexec_b64 s[38:39], s[28:29]
; %bb.7545:                             ;   in Loop: Header=BB6_5473 Depth=4
	v_bfe_u32 v1, v0, 21, 1
	v_add_co_u32_e64 v1, s[28:29], v0, v1
	v_add_co_u32_e64 v1, s[28:29], -1, v1
; %bb.7546:                             ;   in Loop: Header=BB6_5473 Depth=4
	s_or_b64 exec, exec, s[38:39]
	v_add_u32_e32 v2, 0xffffff81, v20
	v_mov_b32_e32 v20, 0xffffff82
	v_cndmask_b32_e32 v2, v2, v20, vcc
	v_lshrrev_b32_e32 v20, 23, v0
	v_add3_u32 v21, v21, v2, v20
	v_add_u32_e32 v20, 14, v21
	v_and_b32_e32 v1, 0x1fffff, v1
	v_add_u32_e32 v32, v1, v0
	v_cmp_ne_u32_e32 vcc, 0, v20
                                        ; implicit-def: $vgpr0_vgpr1
                                        ; implicit-def: $vgpr2
	s_and_saveexec_b64 s[28:29], vcc
	s_xor_b64 s[28:29], exec, s[28:29]
; %bb.7547:                             ;   in Loop: Header=BB6_5473 Depth=4
	v_cmp_lt_u64_e32 vcc, s[88:89], v[32:33]
	v_add_u32_e32 v0, 15, v21
	v_cndmask_b32_e32 v2, v20, v0, vcc
	v_cndmask_b32_e64 v0, 0, 1, vcc
	v_lshrrev_b64 v[0:1], v0, v[32:33]
; %bb.7548:                             ;   in Loop: Header=BB6_5473 Depth=4
	s_or_saveexec_b64 s[28:29], s[28:29]
	v_mov_b32_e32 v46, v6
	s_xor_b64 exec, exec, s[28:29]
; %bb.7549:                             ;   in Loop: Header=BB6_5473 Depth=4
	v_mov_b32_e32 v0, v32
	v_mov_b32_e32 v1, v33
	v_bfe_u32 v2, v32, 23, 1
; %bb.7550:                             ;   in Loop: Header=BB6_5473 Depth=4
	s_or_b64 exec, exec, s[28:29]
	v_lshrrev_b64 v[0:1], 21, v[0:1]
	v_cmp_gt_i32_e32 vcc, 32, v2
	v_cndmask_b32_e32 v1, 0, v1, vcc
	v_cndmask_b32_e32 v0, 3, v0, vcc
	v_cmp_eq_u64_e64 s[28:29], 0, v[0:1]
	v_min_i32_e32 v1, 31, v2
	v_lshlrev_b32_e32 v1, 2, v1
	v_cmp_eq_u32_e32 vcc, 0, v2
	v_and_b32_e32 v1, 0xfc, v1
	v_and_or_b32 v0, v0, 3, v1
	s_and_b64 s[28:29], vcc, s[28:29]
	v_cndmask_b32_e64 v0, v0, 0, s[28:29]
	v_or_b32_e32 v0, v0, v4
	buffer_store_dword v0, off, s[0:3], s33 offset:288 ; 4-byte Folded Spill
.LBB6_7551:                             ;   in Loop: Header=BB6_5473 Depth=4
	s_or_b64 exec, exec, s[36:37]
                                        ; implicit-def: $vgpr4
.LBB6_7552:                             ;   in Loop: Header=BB6_5473 Depth=4
	s_andn2_saveexec_b64 s[28:29], s[34:35]
	s_cbranch_execz .LBB6_7554
; %bb.7553:                             ;   in Loop: Header=BB6_5473 Depth=4
	v_or_b32_e32 v0, 0x7b, v4
	buffer_store_dword v0, off, s[0:3], s33 offset:288 ; 4-byte Folded Spill
.LBB6_7554:                             ;   in Loop: Header=BB6_5473 Depth=4
	s_or_b64 exec, exec, s[28:29]
                                        ; implicit-def: $vgpr0
.LBB6_7555:                             ;   in Loop: Header=BB6_5473 Depth=4
	s_andn2_saveexec_b64 s[28:29], s[30:31]
	s_cbranch_execz .LBB6_7561
; %bb.7556:                             ;   in Loop: Header=BB6_5473 Depth=4
	v_cmp_ne_u64_e32 vcc, 0, v[32:33]
                                        ; implicit-def: $vgpr1
                                        ; kill: killed $vgpr1
	s_and_saveexec_b64 s[62:63], vcc
	s_xor_b64 vcc, exec, s[62:63]
	s_cbranch_execz .LBB6_7558
; %bb.7557:                             ;   in Loop: Header=BB6_5473 Depth=4
	v_or_b32_sdwa v0, v0, s44 dst_sel:DWORD dst_unused:UNUSED_PAD src0_sel:BYTE_3 src1_sel:DWORD
	buffer_store_dword v0, off, s[0:3], s33 offset:288 ; 4-byte Folded Spill
                                        ; implicit-def: $vgpr0
.LBB6_7558:                             ;   in Loop: Header=BB6_5473 Depth=4
	s_andn2_saveexec_b64 s[30:31], vcc
	s_cbranch_execz .LBB6_7560
; %bb.7559:                             ;   in Loop: Header=BB6_5473 Depth=4
	v_cmp_lt_i32_e32 vcc, -1, v0
	v_bfrev_b32_e32 v0, 0.5
	v_mov_b32_e32 v1, 0x7c
	v_cndmask_b32_e32 v0, v0, v1, vcc
	buffer_store_dword v0, off, s[0:3], s33 offset:288 ; 4-byte Folded Spill
.LBB6_7560:                             ;   in Loop: Header=BB6_5473 Depth=4
	s_or_b64 exec, exec, s[30:31]
.LBB6_7561:                             ;   in Loop: Header=BB6_5473 Depth=4
	s_or_b64 exec, exec, s[28:29]
	v_lshl_or_b32 v4, v42, 8, v52
	v_lshlrev_b32_e32 v0, 16, v36
	v_lshlrev_b32_e32 v1, 24, v48
	v_or3_b32 v32, v0, v1, v4
	v_cmp_ne_u32_e32 vcc, 0, v52
	v_mov_b32_e32 v0, 0
	v_mov_b32_e32 v1, 0
	s_and_saveexec_b64 s[30:31], vcc
	s_cbranch_execz .LBB6_7569
; %bb.7562:                             ;   in Loop: Header=BB6_5473 Depth=4
	v_cmp_ne_u32_e32 vcc, s97, v52
	v_bfrev_b32_e32 v1, 1
	s_and_saveexec_b64 s[34:35], vcc
	s_cbranch_execz .LBB6_7568
; %bb.7563:                             ;   in Loop: Header=BB6_5473 Depth=4
	v_and_b32_e32 v1, 0x7c, v52
	v_and_b32_e32 v2, 3, v52
	v_cmp_ne_u32_e32 vcc, s86, v1
                                        ; implicit-def: $vgpr1
	s_and_saveexec_b64 s[28:29], vcc
	s_xor_b64 s[28:29], exec, s[28:29]
	s_cbranch_execz .LBB6_7565
; %bb.7564:                             ;   in Loop: Header=BB6_5473 Depth=4
	v_ffbh_u32_e32 v20, v2
	v_min_u32_e32 v30, 32, v20
	v_subrev_u32_e32 v20, 29, v30
	v_lshlrev_b64 v[20:21], v20, v[32:33]
	v_bfe_u32 v1, v52, 2, 5
	v_and_b32_e32 v20, 3, v20
	v_cmp_eq_u32_e32 vcc, 0, v1
	v_sub_u32_e32 v21, 30, v30
	v_cndmask_b32_e32 v2, v2, v20, vcc
	v_lshlrev_b32_e32 v20, 24, v52
	v_cndmask_b32_e32 v1, v1, v21, vcc
	v_and_b32_e32 v20, 0x80000000, v20
	v_lshl_add_u32 v1, v1, 23, v20
	v_lshl_or_b32 v1, v2, 21, v1
	v_add_u32_e32 v1, 0x38000000, v1
                                        ; implicit-def: $vgpr2
                                        ; implicit-def: $vgpr52
.LBB6_7565:                             ;   in Loop: Header=BB6_5473 Depth=4
	s_andn2_saveexec_b64 s[36:37], s[28:29]
; %bb.7566:                             ;   in Loop: Header=BB6_5473 Depth=4
	v_and_b32_e32 v1, 0x80, v52
	v_cmp_eq_u32_e32 vcc, 0, v2
	v_cmp_eq_u32_e64 s[28:29], 0, v1
	v_mov_b32_e32 v1, 0xff800000
	v_mov_b32_e32 v2, 0x7f800000
	v_cndmask_b32_e64 v1, v1, v2, s[28:29]
	v_mov_b32_e32 v2, 0x7f800001
	v_cndmask_b32_e32 v1, v2, v1, vcc
; %bb.7567:                             ;   in Loop: Header=BB6_5473 Depth=4
	s_or_b64 exec, exec, s[36:37]
.LBB6_7568:                             ;   in Loop: Header=BB6_5473 Depth=4
	s_or_b64 exec, exec, s[34:35]
.LBB6_7569:                             ;   in Loop: Header=BB6_5473 Depth=4
	s_or_b64 exec, exec, s[30:31]
	v_cmp_ne_u16_sdwa s[62:63], v22, v33 src0_sel:BYTE_0 src1_sel:DWORD
	s_and_saveexec_b64 s[28:29], s[62:63]
	s_cbranch_execz .LBB6_7577
; %bb.7570:                             ;   in Loop: Header=BB6_5473 Depth=4
	v_cmp_ne_u16_sdwa s[62:63], sext(v22), s46 src0_sel:BYTE_0 src1_sel:DWORD
	v_bfrev_b32_e32 v0, 1
	s_and_saveexec_b64 s[30:31], s[62:63]
	s_cbranch_execz .LBB6_7576
; %bb.7571:                             ;   in Loop: Header=BB6_5473 Depth=4
	v_and_b32_e32 v0, 0x7c, v22
	v_and_b32_e32 v2, 3, v22
	v_cmp_ne_u32_e32 vcc, s86, v0
                                        ; implicit-def: $vgpr0
	s_and_saveexec_b64 s[62:63], vcc
	s_xor_b64 s[34:35], exec, s[62:63]
	s_cbranch_execz .LBB6_7573
; %bb.7572:                             ;   in Loop: Header=BB6_5473 Depth=4
	v_ffbh_u32_e32 v20, v2
	v_min_u32_e32 v30, 32, v20
	v_subrev_u32_e32 v20, 29, v30
	v_lshlrev_b64 v[20:21], v20, v[22:23]
	v_bfe_u32 v0, v22, 2, 5
	v_and_b32_e32 v20, 3, v20
	v_cmp_eq_u32_e32 vcc, 0, v0
	v_sub_u32_e32 v21, 30, v30
	v_cndmask_b32_e32 v2, v2, v20, vcc
	v_lshlrev_b32_e32 v20, 24, v22
	v_cndmask_b32_e32 v0, v0, v21, vcc
	v_and_b32_e32 v20, 0x80000000, v20
	v_lshl_add_u32 v0, v0, 23, v20
	v_lshl_or_b32 v0, v2, 21, v0
	v_add_u32_e32 v0, 0x38000000, v0
                                        ; implicit-def: $vgpr2
.LBB6_7573:                             ;   in Loop: Header=BB6_5473 Depth=4
	s_andn2_saveexec_b64 s[34:35], s[34:35]
; %bb.7574:                             ;   in Loop: Header=BB6_5473 Depth=4
	v_mov_b32_e32 v0, -1
	v_cmp_gt_i16_sdwa vcc, sext(v22), v0 src0_sel:BYTE_0 src1_sel:DWORD
	v_mov_b32_e32 v0, 0xff800000
	v_mov_b32_e32 v20, 0x7f800000
	v_cndmask_b32_e32 v0, v0, v20, vcc
	v_cmp_eq_u32_e32 vcc, 0, v2
	v_mov_b32_e32 v2, 0x7f800001
	v_cndmask_b32_e32 v0, v2, v0, vcc
; %bb.7575:                             ;   in Loop: Header=BB6_5473 Depth=4
	s_or_b64 exec, exec, s[34:35]
.LBB6_7576:                             ;   in Loop: Header=BB6_5473 Depth=4
	s_or_b64 exec, exec, s[30:31]
.LBB6_7577:                             ;   in Loop: Header=BB6_5473 Depth=4
	s_or_b64 exec, exec, s[28:29]
	v_add_f32_e32 v2, v1, v0
	v_and_b32_e32 v20, 0x7f800000, v2
	v_mov_b32_e32 v21, v33
	v_cmp_ne_u64_e32 vcc, s[76:77], v[20:21]
	v_and_b32_e32 v0, 0x7fffff, v2
	v_mov_b32_e32 v1, v33
                                        ; implicit-def: $vgpr6
                                        ; kill: killed $vgpr6
	s_and_saveexec_b64 s[28:29], vcc
	s_xor_b64 s[30:31], exec, s[28:29]
	s_cbranch_execz .LBB6_7591
; %bb.7578:                             ;   in Loop: Header=BB6_5473 Depth=4
	v_and_b32_e32 v20, 0x7fffffff, v2
	v_mov_b32_e32 v21, v33
	v_cmp_gt_u64_e32 vcc, s[78:79], v[20:21]
	v_and_b32_sdwa v20, v2, s97 dst_sel:DWORD dst_unused:UNUSED_PAD src0_sel:BYTE_3 src1_sel:DWORD
                                        ; implicit-def: $vgpr6
                                        ; kill: killed $vgpr6
	s_and_saveexec_b64 s[28:29], vcc
	s_xor_b64 s[34:35], exec, s[28:29]
	s_cbranch_execz .LBB6_7588
; %bb.7579:                             ;   in Loop: Header=BB6_5473 Depth=4
	v_mov_b32_e32 v6, 0
	v_cmp_ne_u32_e32 vcc, 0, v2
	buffer_store_dword v6, off, s[0:3], s33 offset:308 ; 4-byte Folded Spill
	s_and_saveexec_b64 s[36:37], vcc
	s_cbranch_execz .LBB6_7587
; %bb.7580:                             ;   in Loop: Header=BB6_5473 Depth=4
	v_bfe_u32 v21, v2, 23, 8
	v_cmp_gt_u32_e64 s[28:29], s47, v21
	v_sub_u32_e32 v2, 0x71, v21
	v_cmp_eq_u32_e32 vcc, 0, v21
	v_cndmask_b32_e64 v2, 0, v2, s[28:29]
	v_mov_b32_e32 v30, 0x70
	v_cndmask_b32_e32 v30, v2, v30, vcc
	v_add_u32_e32 v2, 21, v30
	v_or_b32_e32 v36, 0x800000, v0
	v_lshlrev_b64 v[48:49], v2, -1
	v_cndmask_b32_e32 v0, v36, v0, vcc
	v_add_u32_e32 v2, 20, v30
	v_bfi_b32 v48, v48, 0, v0
	v_lshlrev_b64 v[51:52], v2, 1
	v_lshrrev_b64 v[0:1], v30, v[0:1]
	v_bfi_b32 v49, v49, 0, 0
	v_cmp_eq_u64_e64 s[28:29], v[48:49], v[51:52]
	v_mov_b32_e32 v2, v1
	v_mov_b32_e32 v1, v0
	s_and_saveexec_b64 s[38:39], s[28:29]
; %bb.7581:                             ;   in Loop: Header=BB6_5473 Depth=4
	v_bfe_u32 v1, v0, 21, 1
	v_add_co_u32_e64 v1, s[28:29], v0, v1
	v_add_co_u32_e64 v1, s[28:29], -1, v1
; %bb.7582:                             ;   in Loop: Header=BB6_5473 Depth=4
	s_or_b64 exec, exec, s[38:39]
	v_add_u32_e32 v2, 0xffffff81, v21
	v_mov_b32_e32 v21, 0xffffff82
	v_cndmask_b32_e32 v2, v2, v21, vcc
	v_lshrrev_b32_e32 v21, 23, v0
	v_add3_u32 v30, v30, v2, v21
	v_add_u32_e32 v21, 14, v30
	v_and_b32_e32 v1, 0x1fffff, v1
	v_add_u32_e32 v0, v1, v0
	v_mov_b32_e32 v1, v33
	v_cmp_ne_u32_e32 vcc, 0, v21
                                        ; implicit-def: $vgpr2
	s_and_saveexec_b64 s[28:29], vcc
	s_xor_b64 s[28:29], exec, s[28:29]
; %bb.7583:                             ;   in Loop: Header=BB6_5473 Depth=4
	v_cmp_lt_u64_e32 vcc, s[88:89], v[0:1]
	v_add_u32_e32 v2, 15, v30
	v_cndmask_b32_e32 v2, v21, v2, vcc
	v_cndmask_b32_e64 v21, 0, 1, vcc
	v_lshrrev_b64 v[0:1], v21, v[0:1]
; %bb.7584:                             ;   in Loop: Header=BB6_5473 Depth=4
	s_andn2_saveexec_b64 s[28:29], s[28:29]
; %bb.7585:                             ;   in Loop: Header=BB6_5473 Depth=4
	v_bfe_u32 v2, v0, 23, 1
; %bb.7586:                             ;   in Loop: Header=BB6_5473 Depth=4
	s_or_b64 exec, exec, s[28:29]
	v_lshrrev_b64 v[0:1], 21, v[0:1]
	v_cmp_gt_i32_e32 vcc, 32, v2
	v_cndmask_b32_e32 v1, 0, v1, vcc
	v_cndmask_b32_e32 v0, 3, v0, vcc
	v_cmp_eq_u64_e64 s[28:29], 0, v[0:1]
	v_min_i32_e32 v1, 31, v2
	v_lshlrev_b32_e32 v1, 2, v1
	v_cmp_eq_u32_e32 vcc, 0, v2
	v_and_b32_e32 v1, 0xfc, v1
	v_and_or_b32 v0, v0, 3, v1
	s_and_b64 s[28:29], vcc, s[28:29]
	v_cndmask_b32_e64 v0, v0, 0, s[28:29]
	v_or_b32_e32 v0, v0, v20
	buffer_store_dword v0, off, s[0:3], s33 offset:308 ; 4-byte Folded Spill
.LBB6_7587:                             ;   in Loop: Header=BB6_5473 Depth=4
	s_or_b64 exec, exec, s[36:37]
                                        ; implicit-def: $vgpr20
.LBB6_7588:                             ;   in Loop: Header=BB6_5473 Depth=4
	s_andn2_saveexec_b64 s[28:29], s[34:35]
	s_cbranch_execz .LBB6_7590
; %bb.7589:                             ;   in Loop: Header=BB6_5473 Depth=4
	v_or_b32_e32 v0, 0x7b, v20
	buffer_store_dword v0, off, s[0:3], s33 offset:308 ; 4-byte Folded Spill
.LBB6_7590:                             ;   in Loop: Header=BB6_5473 Depth=4
	s_or_b64 exec, exec, s[28:29]
                                        ; implicit-def: $vgpr2
                                        ; implicit-def: $vgpr0_vgpr1
.LBB6_7591:                             ;   in Loop: Header=BB6_5473 Depth=4
	s_andn2_saveexec_b64 s[28:29], s[30:31]
	s_cbranch_execz .LBB6_7597
; %bb.7592:                             ;   in Loop: Header=BB6_5473 Depth=4
	v_cmp_ne_u64_e32 vcc, 0, v[0:1]
                                        ; implicit-def: $vgpr0
                                        ; kill: killed $vgpr0
	s_and_saveexec_b64 s[62:63], vcc
	s_xor_b64 vcc, exec, s[62:63]
	s_cbranch_execz .LBB6_7594
; %bb.7593:                             ;   in Loop: Header=BB6_5473 Depth=4
	v_or_b32_sdwa v0, v2, s44 dst_sel:DWORD dst_unused:UNUSED_PAD src0_sel:BYTE_3 src1_sel:DWORD
	buffer_store_dword v0, off, s[0:3], s33 offset:308 ; 4-byte Folded Spill
                                        ; implicit-def: $vgpr2
.LBB6_7594:                             ;   in Loop: Header=BB6_5473 Depth=4
	s_andn2_saveexec_b64 s[30:31], vcc
	s_cbranch_execz .LBB6_7596
; %bb.7595:                             ;   in Loop: Header=BB6_5473 Depth=4
	v_cmp_lt_i32_e32 vcc, -1, v2
	v_bfrev_b32_e32 v0, 0.5
	v_mov_b32_e32 v1, 0x7c
	v_cndmask_b32_e32 v0, v0, v1, vcc
	buffer_store_dword v0, off, s[0:3], s33 offset:308 ; 4-byte Folded Spill
.LBB6_7596:                             ;   in Loop: Header=BB6_5473 Depth=4
	s_or_b64 exec, exec, s[30:31]
.LBB6_7597:                             ;   in Loop: Header=BB6_5473 Depth=4
	s_or_b64 exec, exec, s[28:29]
	v_lshrrev_b16_e32 v0, 8, v4
	v_cmp_ne_u16_e32 vcc, 0, v0
	v_mov_b32_e32 v2, 0
	v_mov_b32_e32 v20, 0
	s_and_saveexec_b64 s[28:29], vcc
	s_cbranch_execz .LBB6_7605
; %bb.7598:                             ;   in Loop: Header=BB6_5473 Depth=4
	v_cmp_ne_u16_e32 vcc, s97, v0
	v_bfrev_b32_e32 v20, 1
	s_and_saveexec_b64 s[30:31], vcc
	s_cbranch_execz .LBB6_7604
; %bb.7599:                             ;   in Loop: Header=BB6_5473 Depth=4
	v_and_b32_e32 v1, 0x7c, v0
	v_and_b32_e32 v21, 3, v0
	v_cmp_ne_u32_e32 vcc, s86, v1
                                        ; implicit-def: $vgpr20
	s_and_saveexec_b64 s[62:63], vcc
	s_xor_b64 s[34:35], exec, s[62:63]
	s_cbranch_execz .LBB6_7601
; %bb.7600:                             ;   in Loop: Header=BB6_5473 Depth=4
	v_ffbh_u32_e32 v30, v21
	v_min_u32_e32 v30, 32, v30
	v_mov_b32_e32 v1, v33
	v_subrev_u32_e32 v36, 29, v30
	v_bfe_u32 v20, v0, 2, 5
	v_lshlrev_b64 v[0:1], v36, v[0:1]
	v_sub_u32_e32 v1, 30, v30
	v_cmp_eq_u32_e32 vcc, 0, v20
	v_lshlrev_b32_e32 v4, 16, v4
	v_and_b32_e32 v0, 3, v0
	v_cndmask_b32_e32 v1, v20, v1, vcc
	v_and_b32_e32 v4, 0x80000000, v4
	v_cndmask_b32_e32 v0, v21, v0, vcc
	v_lshl_add_u32 v1, v1, 23, v4
	v_lshl_or_b32 v0, v0, 21, v1
	v_add_u32_e32 v20, 0x38000000, v0
                                        ; implicit-def: $vgpr21
                                        ; implicit-def: $vgpr4
.LBB6_7601:                             ;   in Loop: Header=BB6_5473 Depth=4
	s_andn2_saveexec_b64 s[34:35], s[34:35]
; %bb.7602:                             ;   in Loop: Header=BB6_5473 Depth=4
	v_cmp_lt_i16_e32 vcc, -1, v4
	v_mov_b32_e32 v0, 0xff800000
	v_mov_b32_e32 v1, 0x7f800000
	v_cndmask_b32_e32 v0, v0, v1, vcc
	v_cmp_eq_u32_e32 vcc, 0, v21
	v_mov_b32_e32 v1, 0x7f800001
	v_cndmask_b32_e32 v20, v1, v0, vcc
; %bb.7603:                             ;   in Loop: Header=BB6_5473 Depth=4
	s_or_b64 exec, exec, s[34:35]
.LBB6_7604:                             ;   in Loop: Header=BB6_5473 Depth=4
	s_or_b64 exec, exec, s[30:31]
.LBB6_7605:                             ;   in Loop: Header=BB6_5473 Depth=4
	s_or_b64 exec, exec, s[28:29]
	v_lshrrev_b16_e32 v0, 8, v22
	v_cmp_ne_u16_e32 vcc, 0, v0
	s_and_saveexec_b64 s[28:29], vcc
	s_cbranch_execz .LBB6_7613
; %bb.7606:                             ;   in Loop: Header=BB6_5473 Depth=4
	v_cmp_ne_u16_e32 vcc, s97, v0
	v_bfrev_b32_e32 v2, 1
	s_and_saveexec_b64 s[30:31], vcc
	s_cbranch_execz .LBB6_7612
; %bb.7607:                             ;   in Loop: Header=BB6_5473 Depth=4
	v_and_b32_e32 v1, 0x7c, v0
	v_and_b32_e32 v4, 3, v0
	v_cmp_ne_u32_e32 vcc, s86, v1
                                        ; implicit-def: $vgpr2
	s_and_saveexec_b64 s[62:63], vcc
	s_xor_b64 s[34:35], exec, s[62:63]
	s_cbranch_execz .LBB6_7609
; %bb.7608:                             ;   in Loop: Header=BB6_5473 Depth=4
	v_ffbh_u32_e32 v21, v4
	v_min_u32_e32 v21, 32, v21
	v_mov_b32_e32 v1, v33
	v_subrev_u32_e32 v30, 29, v21
	v_bfe_u32 v2, v0, 2, 5
	v_lshlrev_b64 v[0:1], v30, v[0:1]
	v_sub_u32_e32 v1, 30, v21
	v_cmp_eq_u32_e32 vcc, 0, v2
	v_cndmask_b32_e32 v1, v2, v1, vcc
	v_lshlrev_b32_e32 v2, 16, v22
	v_and_b32_e32 v0, 3, v0
	v_and_b32_e32 v2, 0x80000000, v2
	v_cndmask_b32_e32 v0, v4, v0, vcc
	v_lshl_add_u32 v1, v1, 23, v2
	v_lshl_or_b32 v0, v0, 21, v1
	v_add_u32_e32 v2, 0x38000000, v0
                                        ; implicit-def: $vgpr4
.LBB6_7609:                             ;   in Loop: Header=BB6_5473 Depth=4
	s_andn2_saveexec_b64 s[34:35], s[34:35]
; %bb.7610:                             ;   in Loop: Header=BB6_5473 Depth=4
	v_cmp_lt_i16_e32 vcc, -1, v22
	v_mov_b32_e32 v0, 0xff800000
	v_mov_b32_e32 v1, 0x7f800000
	v_cndmask_b32_e32 v0, v0, v1, vcc
	v_cmp_eq_u32_e32 vcc, 0, v4
	v_mov_b32_e32 v1, 0x7f800001
	v_cndmask_b32_e32 v2, v1, v0, vcc
; %bb.7611:                             ;   in Loop: Header=BB6_5473 Depth=4
	s_or_b64 exec, exec, s[34:35]
.LBB6_7612:                             ;   in Loop: Header=BB6_5473 Depth=4
	s_or_b64 exec, exec, s[30:31]
.LBB6_7613:                             ;   in Loop: Header=BB6_5473 Depth=4
	s_or_b64 exec, exec, s[28:29]
	v_add_f32_e32 v2, v20, v2
	v_and_b32_e32 v20, 0x7f800000, v2
	v_mov_b32_e32 v21, v33
	v_cmp_ne_u64_e32 vcc, s[76:77], v[20:21]
	v_and_b32_e32 v0, 0x7fffff, v2
	v_mov_b32_e32 v1, v33
                                        ; implicit-def: $vgpr4
                                        ; kill: killed $vgpr4
	s_and_saveexec_b64 s[28:29], vcc
	s_xor_b64 s[30:31], exec, s[28:29]
	s_cbranch_execz .LBB6_7627
; %bb.7614:                             ;   in Loop: Header=BB6_5473 Depth=4
	v_and_b32_e32 v20, 0x7fffffff, v2
	v_mov_b32_e32 v21, v33
	v_cmp_gt_u64_e32 vcc, s[78:79], v[20:21]
	v_and_b32_sdwa v4, v2, s97 dst_sel:DWORD dst_unused:UNUSED_PAD src0_sel:BYTE_3 src1_sel:DWORD
                                        ; implicit-def: $vgpr6
                                        ; kill: killed $vgpr6
	s_and_saveexec_b64 s[28:29], vcc
	s_xor_b64 s[34:35], exec, s[28:29]
	s_cbranch_execz .LBB6_7624
; %bb.7615:                             ;   in Loop: Header=BB6_5473 Depth=4
	v_mov_b32_e32 v6, 0
	v_cmp_ne_u32_e32 vcc, 0, v2
	buffer_store_dword v6, off, s[0:3], s33 offset:324 ; 4-byte Folded Spill
	s_and_saveexec_b64 s[36:37], vcc
	s_cbranch_execz .LBB6_7623
; %bb.7616:                             ;   in Loop: Header=BB6_5473 Depth=4
	v_bfe_u32 v20, v2, 23, 8
	v_cmp_gt_u32_e64 s[28:29], s47, v20
	v_sub_u32_e32 v2, 0x71, v20
	v_cmp_eq_u32_e32 vcc, 0, v20
	v_cndmask_b32_e64 v2, 0, v2, s[28:29]
	v_mov_b32_e32 v21, 0x70
	v_cndmask_b32_e32 v21, v2, v21, vcc
	v_add_u32_e32 v2, 21, v21
	v_or_b32_e32 v30, 0x800000, v0
	v_lshlrev_b64 v[48:49], v2, -1
	v_cndmask_b32_e32 v0, v30, v0, vcc
	v_add_u32_e32 v2, 20, v21
	v_bfi_b32 v48, v48, 0, v0
	v_lshlrev_b64 v[51:52], v2, 1
	v_lshrrev_b64 v[0:1], v21, v[0:1]
	v_bfi_b32 v49, v49, 0, 0
	v_cmp_eq_u64_e64 s[28:29], v[48:49], v[51:52]
	v_mov_b32_e32 v2, v1
	v_mov_b32_e32 v1, v0
	s_and_saveexec_b64 s[38:39], s[28:29]
; %bb.7617:                             ;   in Loop: Header=BB6_5473 Depth=4
	v_bfe_u32 v1, v0, 21, 1
	v_add_co_u32_e64 v1, s[28:29], v0, v1
	v_add_co_u32_e64 v1, s[28:29], -1, v1
; %bb.7618:                             ;   in Loop: Header=BB6_5473 Depth=4
	s_or_b64 exec, exec, s[38:39]
	v_add_u32_e32 v2, 0xffffff81, v20
	v_mov_b32_e32 v20, 0xffffff82
	v_cndmask_b32_e32 v2, v2, v20, vcc
	v_lshrrev_b32_e32 v20, 23, v0
	v_add3_u32 v21, v21, v2, v20
	v_add_u32_e32 v20, 14, v21
	v_and_b32_e32 v1, 0x1fffff, v1
	v_add_u32_e32 v0, v1, v0
	v_mov_b32_e32 v1, v33
	v_cmp_ne_u32_e32 vcc, 0, v20
                                        ; implicit-def: $vgpr2
	s_and_saveexec_b64 s[28:29], vcc
	s_xor_b64 s[28:29], exec, s[28:29]
; %bb.7619:                             ;   in Loop: Header=BB6_5473 Depth=4
	v_cmp_lt_u64_e32 vcc, s[88:89], v[0:1]
	v_add_u32_e32 v2, 15, v21
	v_cndmask_b32_e32 v2, v20, v2, vcc
	v_cndmask_b32_e64 v20, 0, 1, vcc
	v_lshrrev_b64 v[0:1], v20, v[0:1]
; %bb.7620:                             ;   in Loop: Header=BB6_5473 Depth=4
	s_andn2_saveexec_b64 s[28:29], s[28:29]
; %bb.7621:                             ;   in Loop: Header=BB6_5473 Depth=4
	v_bfe_u32 v2, v0, 23, 1
; %bb.7622:                             ;   in Loop: Header=BB6_5473 Depth=4
	s_or_b64 exec, exec, s[28:29]
	v_lshrrev_b64 v[0:1], 21, v[0:1]
	v_cmp_gt_i32_e32 vcc, 32, v2
	v_cndmask_b32_e32 v1, 0, v1, vcc
	v_cndmask_b32_e32 v0, 3, v0, vcc
	v_cmp_eq_u64_e64 s[28:29], 0, v[0:1]
	v_min_i32_e32 v1, 31, v2
	v_lshlrev_b32_e32 v1, 2, v1
	v_cmp_eq_u32_e32 vcc, 0, v2
	v_and_b32_e32 v1, 0xfc, v1
	v_and_or_b32 v0, v0, 3, v1
	s_and_b64 s[28:29], vcc, s[28:29]
	v_cndmask_b32_e64 v0, v0, 0, s[28:29]
	v_or_b32_e32 v0, v0, v4
	buffer_store_dword v0, off, s[0:3], s33 offset:324 ; 4-byte Folded Spill
.LBB6_7623:                             ;   in Loop: Header=BB6_5473 Depth=4
	s_or_b64 exec, exec, s[36:37]
                                        ; implicit-def: $vgpr4
.LBB6_7624:                             ;   in Loop: Header=BB6_5473 Depth=4
	s_andn2_saveexec_b64 s[28:29], s[34:35]
	s_cbranch_execz .LBB6_7626
; %bb.7625:                             ;   in Loop: Header=BB6_5473 Depth=4
	v_or_b32_e32 v0, 0x7b, v4
	buffer_store_dword v0, off, s[0:3], s33 offset:324 ; 4-byte Folded Spill
.LBB6_7626:                             ;   in Loop: Header=BB6_5473 Depth=4
	s_or_b64 exec, exec, s[28:29]
                                        ; implicit-def: $vgpr2
                                        ; implicit-def: $vgpr0_vgpr1
.LBB6_7627:                             ;   in Loop: Header=BB6_5473 Depth=4
	s_andn2_saveexec_b64 s[28:29], s[30:31]
	s_cbranch_execz .LBB6_7633
; %bb.7628:                             ;   in Loop: Header=BB6_5473 Depth=4
	v_cmp_ne_u64_e32 vcc, 0, v[0:1]
                                        ; implicit-def: $vgpr0
                                        ; kill: killed $vgpr0
	s_and_saveexec_b64 s[62:63], vcc
	s_xor_b64 vcc, exec, s[62:63]
	s_cbranch_execz .LBB6_7630
; %bb.7629:                             ;   in Loop: Header=BB6_5473 Depth=4
	v_or_b32_sdwa v0, v2, s44 dst_sel:DWORD dst_unused:UNUSED_PAD src0_sel:BYTE_3 src1_sel:DWORD
	buffer_store_dword v0, off, s[0:3], s33 offset:324 ; 4-byte Folded Spill
                                        ; implicit-def: $vgpr2
.LBB6_7630:                             ;   in Loop: Header=BB6_5473 Depth=4
	s_andn2_saveexec_b64 s[30:31], vcc
	s_cbranch_execz .LBB6_7632
; %bb.7631:                             ;   in Loop: Header=BB6_5473 Depth=4
	v_cmp_lt_i32_e32 vcc, -1, v2
	v_bfrev_b32_e32 v0, 0.5
	v_mov_b32_e32 v1, 0x7c
	v_cndmask_b32_e32 v0, v0, v1, vcc
	buffer_store_dword v0, off, s[0:3], s33 offset:324 ; 4-byte Folded Spill
.LBB6_7632:                             ;   in Loop: Header=BB6_5473 Depth=4
	s_or_b64 exec, exec, s[30:31]
.LBB6_7633:                             ;   in Loop: Header=BB6_5473 Depth=4
	s_or_b64 exec, exec, s[28:29]
	v_and_b32_sdwa v4, v32, s96 dst_sel:DWORD dst_unused:UNUSED_PAD src0_sel:WORD_1 src1_sel:DWORD
	v_lshrrev_b32_e32 v0, 16, v32
	v_cmp_ne_u16_e32 vcc, 0, v4
	v_mov_b32_e32 v1, 0
	v_mov_b32_e32 v2, 0
	s_and_saveexec_b64 s[28:29], vcc
	s_cbranch_execz .LBB6_7641
; %bb.7634:                             ;   in Loop: Header=BB6_5473 Depth=4
	v_cmp_ne_u16_e32 vcc, s97, v4
	v_bfrev_b32_e32 v2, 1
	s_and_saveexec_b64 s[30:31], vcc
	s_cbranch_execz .LBB6_7640
; %bb.7635:                             ;   in Loop: Header=BB6_5473 Depth=4
	v_and_b32_e32 v2, 0x7c0000, v32
	v_bfe_u32 v4, v32, 16, 2
	v_cmp_ne_u32_e32 vcc, s45, v2
                                        ; implicit-def: $vgpr2
	s_and_saveexec_b64 s[62:63], vcc
	s_xor_b64 s[34:35], exec, s[62:63]
	s_cbranch_execz .LBB6_7637
; %bb.7636:                             ;   in Loop: Header=BB6_5473 Depth=4
	v_ffbh_u32_e32 v20, v4
	v_min_u32_e32 v30, 32, v20
	v_subrev_u32_e32 v20, 29, v30
	v_lshlrev_b64 v[20:21], v20, v[0:1]
	v_bfe_u32 v2, v32, 18, 5
	v_sub_u32_e32 v0, 30, v30
	v_and_b32_e32 v20, 3, v20
	v_cmp_eq_u32_e32 vcc, 0, v2
	v_cndmask_b32_e32 v0, v2, v0, vcc
	v_cndmask_b32_e32 v2, v4, v20, vcc
	v_lshlrev_b32_e32 v4, 8, v32
	v_and_b32_e32 v4, 0x80000000, v4
	v_lshl_add_u32 v0, v0, 23, v4
	v_lshl_or_b32 v0, v2, 21, v0
	v_add_u32_e32 v2, 0x38000000, v0
                                        ; implicit-def: $vgpr4
                                        ; implicit-def: $vgpr0
.LBB6_7637:                             ;   in Loop: Header=BB6_5473 Depth=4
	s_andn2_saveexec_b64 s[34:35], s[34:35]
; %bb.7638:                             ;   in Loop: Header=BB6_5473 Depth=4
	v_mov_b32_e32 v2, -1
	v_cmp_gt_i16_sdwa vcc, sext(v0), v2 src0_sel:BYTE_0 src1_sel:DWORD
	v_mov_b32_e32 v0, 0xff800000
	v_mov_b32_e32 v2, 0x7f800000
	v_cndmask_b32_e32 v0, v0, v2, vcc
	v_cmp_eq_u32_e32 vcc, 0, v4
	v_mov_b32_e32 v2, 0x7f800001
	v_cndmask_b32_e32 v2, v2, v0, vcc
; %bb.7639:                             ;   in Loop: Header=BB6_5473 Depth=4
	s_or_b64 exec, exec, s[34:35]
.LBB6_7640:                             ;   in Loop: Header=BB6_5473 Depth=4
	s_or_b64 exec, exec, s[30:31]
.LBB6_7641:                             ;   in Loop: Header=BB6_5473 Depth=4
	s_or_b64 exec, exec, s[28:29]
	v_lshrrev_b32_e32 v0, 16, v22
	v_cmp_ne_u16_sdwa s[62:63], v0, v33 src0_sel:BYTE_0 src1_sel:DWORD
	s_and_saveexec_b64 s[28:29], s[62:63]
	s_cbranch_execz .LBB6_7649
; %bb.7642:                             ;   in Loop: Header=BB6_5473 Depth=4
	v_cmp_ne_u16_sdwa s[62:63], v0, s97 src0_sel:BYTE_0 src1_sel:DWORD
	v_bfrev_b32_e32 v1, 1
	s_and_saveexec_b64 s[30:31], s[62:63]
	s_cbranch_execz .LBB6_7648
; %bb.7643:                             ;   in Loop: Header=BB6_5473 Depth=4
	v_and_b32_e32 v1, 0x7c0000, v22
	v_bfe_u32 v4, v22, 16, 2
	v_cmp_ne_u32_e32 vcc, s45, v1
                                        ; implicit-def: $vgpr1
	s_and_saveexec_b64 s[62:63], vcc
	s_xor_b64 s[34:35], exec, s[62:63]
	s_cbranch_execz .LBB6_7645
; %bb.7644:                             ;   in Loop: Header=BB6_5473 Depth=4
	v_ffbh_u32_e32 v1, v4
	v_min_u32_e32 v21, 32, v1
	v_subrev_u32_e32 v1, 29, v21
	v_lshlrev_b64 v[0:1], v1, v[0:1]
	v_bfe_u32 v20, v22, 18, 5
	v_and_b32_e32 v0, 3, v0
	v_cmp_eq_u32_e32 vcc, 0, v20
	v_sub_u32_e32 v1, 30, v21
	v_cndmask_b32_e32 v0, v4, v0, vcc
	v_lshlrev_b32_e32 v4, 8, v22
	v_cndmask_b32_e32 v1, v20, v1, vcc
	v_and_b32_e32 v4, 0x80000000, v4
	v_lshl_add_u32 v1, v1, 23, v4
	v_lshl_or_b32 v0, v0, 21, v1
	v_add_u32_e32 v1, 0x38000000, v0
                                        ; implicit-def: $vgpr4
                                        ; implicit-def: $vgpr0
.LBB6_7645:                             ;   in Loop: Header=BB6_5473 Depth=4
	s_andn2_saveexec_b64 s[34:35], s[34:35]
; %bb.7646:                             ;   in Loop: Header=BB6_5473 Depth=4
	v_mov_b32_e32 v1, -1
	v_cmp_gt_i16_sdwa vcc, sext(v0), v1 src0_sel:BYTE_0 src1_sel:DWORD
	v_mov_b32_e32 v0, 0xff800000
	v_mov_b32_e32 v1, 0x7f800000
	v_cndmask_b32_e32 v0, v0, v1, vcc
	v_cmp_eq_u32_e32 vcc, 0, v4
	v_mov_b32_e32 v1, 0x7f800001
	v_cndmask_b32_e32 v1, v1, v0, vcc
; %bb.7647:                             ;   in Loop: Header=BB6_5473 Depth=4
	s_or_b64 exec, exec, s[34:35]
.LBB6_7648:                             ;   in Loop: Header=BB6_5473 Depth=4
	s_or_b64 exec, exec, s[30:31]
.LBB6_7649:                             ;   in Loop: Header=BB6_5473 Depth=4
	s_or_b64 exec, exec, s[28:29]
	v_add_f32_e32 v2, v2, v1
	v_and_b32_e32 v20, 0x7f800000, v2
	v_mov_b32_e32 v21, v33
	v_cmp_ne_u64_e32 vcc, s[76:77], v[20:21]
	v_and_b32_e32 v0, 0x7fffff, v2
	v_mov_b32_e32 v1, v33
                                        ; implicit-def: $vgpr4
                                        ; kill: killed $vgpr4
	s_and_saveexec_b64 s[28:29], vcc
	s_xor_b64 s[30:31], exec, s[28:29]
	s_cbranch_execz .LBB6_7663
; %bb.7650:                             ;   in Loop: Header=BB6_5473 Depth=4
	v_and_b32_e32 v20, 0x7fffffff, v2
	v_mov_b32_e32 v21, v33
	v_cmp_gt_u64_e32 vcc, s[78:79], v[20:21]
	v_and_b32_sdwa v4, v2, s97 dst_sel:DWORD dst_unused:UNUSED_PAD src0_sel:BYTE_3 src1_sel:DWORD
                                        ; implicit-def: $vgpr6
                                        ; kill: killed $vgpr6
	s_and_saveexec_b64 s[28:29], vcc
	s_xor_b64 s[34:35], exec, s[28:29]
	s_cbranch_execz .LBB6_7660
; %bb.7651:                             ;   in Loop: Header=BB6_5473 Depth=4
	v_mov_b32_e32 v6, 0
	v_cmp_ne_u32_e32 vcc, 0, v2
	buffer_store_dword v6, off, s[0:3], s33 offset:340 ; 4-byte Folded Spill
	s_and_saveexec_b64 s[36:37], vcc
	s_cbranch_execz .LBB6_7659
; %bb.7652:                             ;   in Loop: Header=BB6_5473 Depth=4
	v_bfe_u32 v20, v2, 23, 8
	v_cmp_gt_u32_e64 s[28:29], s47, v20
	v_sub_u32_e32 v2, 0x71, v20
	v_cmp_eq_u32_e32 vcc, 0, v20
	v_cndmask_b32_e64 v2, 0, v2, s[28:29]
	v_mov_b32_e32 v21, 0x70
	v_cndmask_b32_e32 v21, v2, v21, vcc
	v_add_u32_e32 v2, 21, v21
	v_or_b32_e32 v30, 0x800000, v0
	v_lshlrev_b64 v[48:49], v2, -1
	v_cndmask_b32_e32 v0, v30, v0, vcc
	v_add_u32_e32 v2, 20, v21
	v_bfi_b32 v48, v48, 0, v0
	v_lshlrev_b64 v[51:52], v2, 1
	v_lshrrev_b64 v[0:1], v21, v[0:1]
	v_bfi_b32 v49, v49, 0, 0
	v_cmp_eq_u64_e64 s[28:29], v[48:49], v[51:52]
	v_mov_b32_e32 v2, v1
	v_mov_b32_e32 v1, v0
	s_and_saveexec_b64 s[38:39], s[28:29]
; %bb.7653:                             ;   in Loop: Header=BB6_5473 Depth=4
	v_bfe_u32 v1, v0, 21, 1
	v_add_co_u32_e64 v1, s[28:29], v0, v1
	v_add_co_u32_e64 v1, s[28:29], -1, v1
; %bb.7654:                             ;   in Loop: Header=BB6_5473 Depth=4
	s_or_b64 exec, exec, s[38:39]
	v_add_u32_e32 v2, 0xffffff81, v20
	v_mov_b32_e32 v20, 0xffffff82
	v_cndmask_b32_e32 v2, v2, v20, vcc
	v_lshrrev_b32_e32 v20, 23, v0
	v_add3_u32 v21, v21, v2, v20
	v_add_u32_e32 v20, 14, v21
	v_and_b32_e32 v1, 0x1fffff, v1
	v_add_u32_e32 v0, v1, v0
	v_mov_b32_e32 v1, v33
	v_cmp_ne_u32_e32 vcc, 0, v20
                                        ; implicit-def: $vgpr2
	s_and_saveexec_b64 s[28:29], vcc
	s_xor_b64 s[28:29], exec, s[28:29]
; %bb.7655:                             ;   in Loop: Header=BB6_5473 Depth=4
	v_cmp_lt_u64_e32 vcc, s[88:89], v[0:1]
	v_add_u32_e32 v2, 15, v21
	v_cndmask_b32_e32 v2, v20, v2, vcc
	v_cndmask_b32_e64 v20, 0, 1, vcc
	v_lshrrev_b64 v[0:1], v20, v[0:1]
; %bb.7656:                             ;   in Loop: Header=BB6_5473 Depth=4
	s_andn2_saveexec_b64 s[28:29], s[28:29]
; %bb.7657:                             ;   in Loop: Header=BB6_5473 Depth=4
	v_bfe_u32 v2, v0, 23, 1
; %bb.7658:                             ;   in Loop: Header=BB6_5473 Depth=4
	s_or_b64 exec, exec, s[28:29]
	v_lshrrev_b64 v[0:1], 21, v[0:1]
	v_cmp_gt_i32_e32 vcc, 32, v2
	v_cndmask_b32_e32 v1, 0, v1, vcc
	v_cndmask_b32_e32 v0, 3, v0, vcc
	v_cmp_eq_u64_e64 s[28:29], 0, v[0:1]
	v_min_i32_e32 v1, 31, v2
	v_lshlrev_b32_e32 v1, 2, v1
	v_cmp_eq_u32_e32 vcc, 0, v2
	v_and_b32_e32 v1, 0xfc, v1
	v_and_or_b32 v0, v0, 3, v1
	s_and_b64 s[28:29], vcc, s[28:29]
	v_cndmask_b32_e64 v0, v0, 0, s[28:29]
	v_or_b32_e32 v0, v0, v4
	buffer_store_dword v0, off, s[0:3], s33 offset:340 ; 4-byte Folded Spill
.LBB6_7659:                             ;   in Loop: Header=BB6_5473 Depth=4
	s_or_b64 exec, exec, s[36:37]
                                        ; implicit-def: $vgpr4
.LBB6_7660:                             ;   in Loop: Header=BB6_5473 Depth=4
	s_andn2_saveexec_b64 s[28:29], s[34:35]
	s_cbranch_execz .LBB6_7662
; %bb.7661:                             ;   in Loop: Header=BB6_5473 Depth=4
	v_or_b32_e32 v0, 0x7b, v4
	buffer_store_dword v0, off, s[0:3], s33 offset:340 ; 4-byte Folded Spill
.LBB6_7662:                             ;   in Loop: Header=BB6_5473 Depth=4
	s_or_b64 exec, exec, s[28:29]
                                        ; implicit-def: $vgpr2
                                        ; implicit-def: $vgpr0_vgpr1
.LBB6_7663:                             ;   in Loop: Header=BB6_5473 Depth=4
	s_andn2_saveexec_b64 s[28:29], s[30:31]
	s_cbranch_execz .LBB6_7669
; %bb.7664:                             ;   in Loop: Header=BB6_5473 Depth=4
	v_cmp_ne_u64_e32 vcc, 0, v[0:1]
                                        ; implicit-def: $vgpr0
                                        ; kill: killed $vgpr0
	s_and_saveexec_b64 s[62:63], vcc
	s_xor_b64 vcc, exec, s[62:63]
	s_cbranch_execz .LBB6_7666
; %bb.7665:                             ;   in Loop: Header=BB6_5473 Depth=4
	v_or_b32_sdwa v0, v2, s44 dst_sel:DWORD dst_unused:UNUSED_PAD src0_sel:BYTE_3 src1_sel:DWORD
	buffer_store_dword v0, off, s[0:3], s33 offset:340 ; 4-byte Folded Spill
                                        ; implicit-def: $vgpr2
.LBB6_7666:                             ;   in Loop: Header=BB6_5473 Depth=4
	s_andn2_saveexec_b64 s[30:31], vcc
	s_cbranch_execz .LBB6_7668
; %bb.7667:                             ;   in Loop: Header=BB6_5473 Depth=4
	v_cmp_lt_i32_e32 vcc, -1, v2
	v_bfrev_b32_e32 v0, 0.5
	v_mov_b32_e32 v1, 0x7c
	v_cndmask_b32_e32 v0, v0, v1, vcc
	buffer_store_dword v0, off, s[0:3], s33 offset:340 ; 4-byte Folded Spill
.LBB6_7668:                             ;   in Loop: Header=BB6_5473 Depth=4
	s_or_b64 exec, exec, s[30:31]
.LBB6_7669:                             ;   in Loop: Header=BB6_5473 Depth=4
	s_or_b64 exec, exec, s[28:29]
	v_cmp_lt_u32_e32 vcc, s57, v32
	v_mov_b32_e32 v1, 0
	v_mov_b32_e32 v2, 0
	s_and_saveexec_b64 s[28:29], vcc
	s_cbranch_execz .LBB6_7677
; %bb.7670:                             ;   in Loop: Header=BB6_5473 Depth=4
	v_lshrrev_b32_e32 v0, 24, v32
	v_cmp_ne_u32_e32 vcc, s97, v0
	v_bfrev_b32_e32 v2, 1
	s_and_saveexec_b64 s[30:31], vcc
	s_cbranch_execz .LBB6_7676
; %bb.7671:                             ;   in Loop: Header=BB6_5473 Depth=4
	v_and_b32_e32 v2, 0x7c000000, v32
	v_bfe_u32 v4, v32, 24, 2
	v_cmp_ne_u32_e32 vcc, s68, v2
                                        ; implicit-def: $vgpr2
	s_and_saveexec_b64 s[62:63], vcc
	s_xor_b64 s[34:35], exec, s[62:63]
	s_cbranch_execz .LBB6_7673
; %bb.7672:                             ;   in Loop: Header=BB6_5473 Depth=4
	v_ffbh_u32_e32 v20, v4
	v_min_u32_e32 v30, 32, v20
	v_subrev_u32_e32 v20, 29, v30
	v_lshlrev_b64 v[20:21], v20, v[0:1]
	v_bfe_u32 v2, v32, 26, 5
	v_sub_u32_e32 v0, 30, v30
	v_and_b32_e32 v20, 3, v20
	v_cmp_eq_u32_e32 vcc, 0, v2
	v_cndmask_b32_e32 v0, v2, v0, vcc
	v_cndmask_b32_e32 v2, v4, v20, vcc
	v_and_b32_e32 v4, 0x80000000, v32
	v_lshl_add_u32 v0, v0, 23, v4
	v_lshl_or_b32 v0, v2, 21, v0
	v_add_u32_e32 v2, 0x38000000, v0
                                        ; implicit-def: $vgpr4
.LBB6_7673:                             ;   in Loop: Header=BB6_5473 Depth=4
	s_andn2_saveexec_b64 s[34:35], s[34:35]
; %bb.7674:                             ;   in Loop: Header=BB6_5473 Depth=4
	v_cmp_lt_i32_e32 vcc, -1, v32
	v_mov_b32_e32 v0, 0xff800000
	v_mov_b32_e32 v2, 0x7f800000
	v_cndmask_b32_e32 v0, v0, v2, vcc
	v_cmp_eq_u32_e32 vcc, 0, v4
	v_mov_b32_e32 v2, 0x7f800001
	v_cndmask_b32_e32 v2, v2, v0, vcc
; %bb.7675:                             ;   in Loop: Header=BB6_5473 Depth=4
	s_or_b64 exec, exec, s[34:35]
.LBB6_7676:                             ;   in Loop: Header=BB6_5473 Depth=4
	s_or_b64 exec, exec, s[30:31]
.LBB6_7677:                             ;   in Loop: Header=BB6_5473 Depth=4
	s_or_b64 exec, exec, s[28:29]
	v_cmp_lt_u32_e32 vcc, s57, v22
	s_and_saveexec_b64 s[28:29], vcc
	s_cbranch_execz .LBB6_7685
; %bb.7678:                             ;   in Loop: Header=BB6_5473 Depth=4
	v_lshrrev_b32_e32 v0, 24, v22
	v_cmp_ne_u32_e32 vcc, s97, v0
	v_bfrev_b32_e32 v1, 1
	s_and_saveexec_b64 s[30:31], vcc
	s_cbranch_execz .LBB6_7684
; %bb.7679:                             ;   in Loop: Header=BB6_5473 Depth=4
	v_and_b32_e32 v1, 0x7c000000, v22
	v_bfe_u32 v4, v22, 24, 2
	v_cmp_ne_u32_e32 vcc, s68, v1
                                        ; implicit-def: $vgpr1
	s_and_saveexec_b64 s[62:63], vcc
	s_xor_b64 s[34:35], exec, s[62:63]
	s_cbranch_execz .LBB6_7681
; %bb.7680:                             ;   in Loop: Header=BB6_5473 Depth=4
	v_ffbh_u32_e32 v1, v4
	v_min_u32_e32 v21, 32, v1
	v_subrev_u32_e32 v1, 29, v21
	v_lshlrev_b64 v[0:1], v1, v[0:1]
	v_bfe_u32 v20, v22, 26, 5
	v_sub_u32_e32 v1, 30, v21
	v_and_b32_e32 v0, 3, v0
	v_cmp_eq_u32_e32 vcc, 0, v20
	v_cndmask_b32_e32 v1, v20, v1, vcc
	v_cndmask_b32_e32 v0, v4, v0, vcc
	v_and_b32_e32 v4, 0x80000000, v22
	v_lshl_add_u32 v1, v1, 23, v4
	v_lshl_or_b32 v0, v0, 21, v1
	v_add_u32_e32 v1, 0x38000000, v0
                                        ; implicit-def: $vgpr4
.LBB6_7681:                             ;   in Loop: Header=BB6_5473 Depth=4
	s_andn2_saveexec_b64 s[34:35], s[34:35]
; %bb.7682:                             ;   in Loop: Header=BB6_5473 Depth=4
	v_cmp_lt_i32_e32 vcc, -1, v22
	v_mov_b32_e32 v0, 0xff800000
	v_mov_b32_e32 v1, 0x7f800000
	v_cndmask_b32_e32 v0, v0, v1, vcc
	v_cmp_eq_u32_e32 vcc, 0, v4
	v_mov_b32_e32 v1, 0x7f800001
	v_cndmask_b32_e32 v1, v1, v0, vcc
; %bb.7683:                             ;   in Loop: Header=BB6_5473 Depth=4
	s_or_b64 exec, exec, s[34:35]
.LBB6_7684:                             ;   in Loop: Header=BB6_5473 Depth=4
	s_or_b64 exec, exec, s[30:31]
.LBB6_7685:                             ;   in Loop: Header=BB6_5473 Depth=4
	s_or_b64 exec, exec, s[28:29]
	v_add_f32_e32 v0, v2, v1
	v_and_b32_e32 v1, 0x7f800000, v0
	v_mov_b32_e32 v2, v33
	v_cmp_ne_u64_e32 vcc, s[76:77], v[1:2]
	v_and_b32_e32 v32, 0x7fffff, v0
                                        ; implicit-def: $vgpr1
                                        ; kill: killed $vgpr1
	s_and_saveexec_b64 s[28:29], vcc
	s_xor_b64 s[30:31], exec, s[28:29]
	s_cbranch_execz .LBB6_7699
; %bb.7686:                             ;   in Loop: Header=BB6_5473 Depth=4
	v_and_b32_e32 v1, 0x7fffffff, v0
	v_mov_b32_e32 v2, v33
	v_cmp_gt_u64_e32 vcc, s[78:79], v[1:2]
	v_and_b32_sdwa v4, v0, s97 dst_sel:DWORD dst_unused:UNUSED_PAD src0_sel:BYTE_3 src1_sel:DWORD
                                        ; implicit-def: $vgpr1
                                        ; kill: killed $vgpr1
	s_and_saveexec_b64 s[28:29], vcc
	s_xor_b64 s[34:35], exec, s[28:29]
	s_cbranch_execz .LBB6_7696
; %bb.7687:                             ;   in Loop: Header=BB6_5473 Depth=4
	v_mov_b32_e32 v1, 0
	v_cmp_ne_u32_e32 vcc, 0, v0
	buffer_store_dword v1, off, s[0:3], s33 offset:356 ; 4-byte Folded Spill
	s_and_saveexec_b64 s[36:37], vcc
	s_cbranch_execz .LBB6_7695
; %bb.7688:                             ;   in Loop: Header=BB6_5473 Depth=4
	v_bfe_u32 v20, v0, 23, 8
	v_cmp_gt_u32_e64 s[28:29], s47, v20
	v_sub_u32_e32 v0, 0x71, v20
	v_cmp_eq_u32_e32 vcc, 0, v20
	v_cndmask_b32_e64 v0, 0, v0, s[28:29]
	v_mov_b32_e32 v2, 0x70
	v_cndmask_b32_e32 v21, v0, v2, vcc
	v_add_u32_e32 v2, 21, v21
	v_or_b32_e32 v1, 0x800000, v32
	v_lshlrev_b64 v[48:49], v2, -1
	v_cndmask_b32_e32 v0, v1, v32, vcc
	v_mov_b32_e32 v1, v33
	v_add_u32_e32 v2, 20, v21
	v_bfi_b32 v48, v48, 0, v0
	v_lshlrev_b64 v[51:52], v2, 1
	v_lshrrev_b64 v[0:1], v21, v[0:1]
	v_bfi_b32 v49, v49, 0, 0
	v_cmp_eq_u64_e64 s[28:29], v[48:49], v[51:52]
	v_mov_b32_e32 v2, v1
	v_mov_b32_e32 v1, v0
	s_and_saveexec_b64 s[38:39], s[28:29]
; %bb.7689:                             ;   in Loop: Header=BB6_5473 Depth=4
	v_bfe_u32 v1, v0, 21, 1
	v_add_co_u32_e64 v1, s[28:29], v0, v1
	v_add_co_u32_e64 v1, s[28:29], -1, v1
; %bb.7690:                             ;   in Loop: Header=BB6_5473 Depth=4
	s_or_b64 exec, exec, s[38:39]
	v_add_u32_e32 v2, 0xffffff81, v20
	v_mov_b32_e32 v20, 0xffffff82
	v_cndmask_b32_e32 v2, v2, v20, vcc
	v_lshrrev_b32_e32 v20, 23, v0
	v_add3_u32 v21, v21, v2, v20
	v_add_u32_e32 v20, 14, v21
	v_and_b32_e32 v1, 0x1fffff, v1
	v_add_u32_e32 v32, v1, v0
	v_cmp_ne_u32_e32 vcc, 0, v20
                                        ; implicit-def: $vgpr0_vgpr1
                                        ; implicit-def: $vgpr2
	s_and_saveexec_b64 s[28:29], vcc
	s_xor_b64 s[28:29], exec, s[28:29]
; %bb.7691:                             ;   in Loop: Header=BB6_5473 Depth=4
	v_cmp_lt_u64_e32 vcc, s[88:89], v[32:33]
	v_add_u32_e32 v0, 15, v21
	v_cndmask_b32_e32 v2, v20, v0, vcc
	v_cndmask_b32_e64 v0, 0, 1, vcc
	v_lshrrev_b64 v[0:1], v0, v[32:33]
; %bb.7692:                             ;   in Loop: Header=BB6_5473 Depth=4
	s_andn2_saveexec_b64 s[28:29], s[28:29]
; %bb.7693:                             ;   in Loop: Header=BB6_5473 Depth=4
	v_mov_b32_e32 v0, v32
	v_mov_b32_e32 v1, v33
	v_bfe_u32 v2, v32, 23, 1
; %bb.7694:                             ;   in Loop: Header=BB6_5473 Depth=4
	s_or_b64 exec, exec, s[28:29]
	v_lshrrev_b64 v[0:1], 21, v[0:1]
	v_cmp_gt_i32_e32 vcc, 32, v2
	v_cndmask_b32_e32 v1, 0, v1, vcc
	v_cndmask_b32_e32 v0, 3, v0, vcc
	v_cmp_eq_u64_e64 s[28:29], 0, v[0:1]
	v_min_i32_e32 v1, 31, v2
	v_lshlrev_b32_e32 v1, 2, v1
	v_cmp_eq_u32_e32 vcc, 0, v2
	v_and_b32_e32 v1, 0xfc, v1
	v_and_or_b32 v0, v0, 3, v1
	s_and_b64 s[28:29], vcc, s[28:29]
	v_cndmask_b32_e64 v0, v0, 0, s[28:29]
	v_or_b32_e32 v0, v0, v4
	buffer_store_dword v0, off, s[0:3], s33 offset:356 ; 4-byte Folded Spill
.LBB6_7695:                             ;   in Loop: Header=BB6_5473 Depth=4
	s_or_b64 exec, exec, s[36:37]
                                        ; implicit-def: $vgpr4
.LBB6_7696:                             ;   in Loop: Header=BB6_5473 Depth=4
	s_andn2_saveexec_b64 s[28:29], s[34:35]
	s_cbranch_execz .LBB6_7698
; %bb.7697:                             ;   in Loop: Header=BB6_5473 Depth=4
	v_or_b32_e32 v0, 0x7b, v4
	buffer_store_dword v0, off, s[0:3], s33 offset:356 ; 4-byte Folded Spill
.LBB6_7698:                             ;   in Loop: Header=BB6_5473 Depth=4
	s_or_b64 exec, exec, s[28:29]
                                        ; implicit-def: $vgpr0
.LBB6_7699:                             ;   in Loop: Header=BB6_5473 Depth=4
	s_andn2_saveexec_b64 s[28:29], s[30:31]
	s_cbranch_execz .LBB6_7705
; %bb.7700:                             ;   in Loop: Header=BB6_5473 Depth=4
	v_cmp_ne_u64_e32 vcc, 0, v[32:33]
                                        ; implicit-def: $vgpr1
                                        ; kill: killed $vgpr1
	s_and_saveexec_b64 s[62:63], vcc
	s_xor_b64 vcc, exec, s[62:63]
	s_cbranch_execz .LBB6_7702
; %bb.7701:                             ;   in Loop: Header=BB6_5473 Depth=4
	v_or_b32_sdwa v0, v0, s44 dst_sel:DWORD dst_unused:UNUSED_PAD src0_sel:BYTE_3 src1_sel:DWORD
	buffer_store_dword v0, off, s[0:3], s33 offset:356 ; 4-byte Folded Spill
                                        ; implicit-def: $vgpr0
.LBB6_7702:                             ;   in Loop: Header=BB6_5473 Depth=4
	s_andn2_saveexec_b64 s[30:31], vcc
	s_cbranch_execz .LBB6_7704
; %bb.7703:                             ;   in Loop: Header=BB6_5473 Depth=4
	v_cmp_lt_i32_e32 vcc, -1, v0
	v_bfrev_b32_e32 v0, 0.5
	v_mov_b32_e32 v1, 0x7c
	v_cndmask_b32_e32 v0, v0, v1, vcc
	buffer_store_dword v0, off, s[0:3], s33 offset:356 ; 4-byte Folded Spill
.LBB6_7704:                             ;   in Loop: Header=BB6_5473 Depth=4
	s_or_b64 exec, exec, s[30:31]
.LBB6_7705:                             ;   in Loop: Header=BB6_5473 Depth=4
	s_or_b64 exec, exec, s[28:29]
	buffer_load_dword v1, off, s[0:3], s33 offset:376 ; 4-byte Folded Reload
	buffer_load_dword v2, off, s[0:3], s33 offset:368 ; 4-byte Folded Reload
	v_lshlrev_b32_e32 v0, 24, v35
	v_cmp_ne_u32_e32 vcc, 0, v43
	s_waitcnt vmcnt(1)
	v_lshlrev_b32_e32 v1, 16, v1
	s_waitcnt vmcnt(0)
	v_lshl_or_b32 v4, v2, 8, v43
	v_or3_b32 v32, v1, v0, v4
	v_mov_b32_e32 v0, 0
	v_mov_b32_e32 v1, 0
	s_and_saveexec_b64 s[30:31], vcc
	s_cbranch_execz .LBB6_7713
; %bb.7706:                             ;   in Loop: Header=BB6_5473 Depth=4
	v_cmp_ne_u32_e32 vcc, s97, v43
	v_bfrev_b32_e32 v1, 1
	s_and_saveexec_b64 s[34:35], vcc
	s_cbranch_execz .LBB6_7712
; %bb.7707:                             ;   in Loop: Header=BB6_5473 Depth=4
	v_and_b32_e32 v1, 0x7c, v43
	v_and_b32_e32 v2, 3, v43
	v_cmp_ne_u32_e32 vcc, s86, v1
                                        ; implicit-def: $vgpr1
	s_and_saveexec_b64 s[28:29], vcc
	s_xor_b64 s[28:29], exec, s[28:29]
	s_cbranch_execz .LBB6_7709
; %bb.7708:                             ;   in Loop: Header=BB6_5473 Depth=4
	v_ffbh_u32_e32 v20, v2
	v_min_u32_e32 v24, 32, v20
	v_subrev_u32_e32 v20, 29, v24
	v_lshlrev_b64 v[20:21], v20, v[32:33]
	v_bfe_u32 v1, v43, 2, 5
	v_and_b32_e32 v20, 3, v20
	v_cmp_eq_u32_e32 vcc, 0, v1
	v_sub_u32_e32 v21, 30, v24
	v_cndmask_b32_e32 v2, v2, v20, vcc
	v_lshlrev_b32_e32 v20, 24, v43
	v_cndmask_b32_e32 v1, v1, v21, vcc
	v_and_b32_e32 v20, 0x80000000, v20
	v_lshl_add_u32 v1, v1, 23, v20
	v_lshl_or_b32 v1, v2, 21, v1
	v_add_u32_e32 v1, 0x38000000, v1
                                        ; implicit-def: $vgpr2
                                        ; implicit-def: $vgpr43
.LBB6_7709:                             ;   in Loop: Header=BB6_5473 Depth=4
	s_andn2_saveexec_b64 s[36:37], s[28:29]
; %bb.7710:                             ;   in Loop: Header=BB6_5473 Depth=4
	v_and_b32_e32 v1, 0x80, v43
	v_cmp_eq_u32_e32 vcc, 0, v2
	v_cmp_eq_u32_e64 s[28:29], 0, v1
	v_mov_b32_e32 v1, 0xff800000
	v_mov_b32_e32 v2, 0x7f800000
	v_cndmask_b32_e64 v1, v1, v2, s[28:29]
	v_mov_b32_e32 v2, 0x7f800001
	v_cndmask_b32_e32 v1, v2, v1, vcc
; %bb.7711:                             ;   in Loop: Header=BB6_5473 Depth=4
	s_or_b64 exec, exec, s[36:37]
.LBB6_7712:                             ;   in Loop: Header=BB6_5473 Depth=4
	s_or_b64 exec, exec, s[34:35]
.LBB6_7713:                             ;   in Loop: Header=BB6_5473 Depth=4
	s_or_b64 exec, exec, s[30:31]
	v_cmp_ne_u16_sdwa s[62:63], v23, v33 src0_sel:BYTE_0 src1_sel:DWORD
	s_and_saveexec_b64 s[28:29], s[62:63]
	s_cbranch_execz .LBB6_7721
; %bb.7714:                             ;   in Loop: Header=BB6_5473 Depth=4
	v_cmp_ne_u16_sdwa s[62:63], v23, s97 src0_sel:BYTE_0 src1_sel:DWORD
	v_bfrev_b32_e32 v0, 1
	s_and_saveexec_b64 s[30:31], s[62:63]
	s_cbranch_execz .LBB6_7720
; %bb.7715:                             ;   in Loop: Header=BB6_5473 Depth=4
	v_and_b32_e32 v0, 0x7c, v23
	v_and_b32_e32 v2, 3, v23
	v_cmp_ne_u32_e32 vcc, s86, v0
                                        ; implicit-def: $vgpr0
	s_and_saveexec_b64 s[62:63], vcc
	s_xor_b64 s[34:35], exec, s[62:63]
	s_cbranch_execz .LBB6_7717
; %bb.7716:                             ;   in Loop: Header=BB6_5473 Depth=4
	v_ffbh_u32_e32 v24, v2
	v_min_u32_e32 v24, 32, v24
	v_mov_b32_e32 v20, v23
	v_mov_b32_e32 v21, v33
	v_subrev_u32_e32 v30, 29, v24
	v_lshlrev_b64 v[20:21], v30, v[20:21]
	v_bfe_u32 v0, v23, 2, 5
	v_and_b32_e32 v20, 3, v20
	v_cmp_eq_u32_e32 vcc, 0, v0
	v_sub_u32_e32 v21, 30, v24
	v_cndmask_b32_e32 v2, v2, v20, vcc
	v_lshlrev_b32_e32 v20, 24, v23
	v_cndmask_b32_e32 v0, v0, v21, vcc
	v_and_b32_e32 v20, 0x80000000, v20
	v_lshl_add_u32 v0, v0, 23, v20
	v_lshl_or_b32 v0, v2, 21, v0
	v_add_u32_e32 v0, 0x38000000, v0
                                        ; implicit-def: $vgpr2
.LBB6_7717:                             ;   in Loop: Header=BB6_5473 Depth=4
	s_andn2_saveexec_b64 s[34:35], s[34:35]
; %bb.7718:                             ;   in Loop: Header=BB6_5473 Depth=4
	v_mov_b32_e32 v0, -1
	v_cmp_gt_i16_sdwa vcc, sext(v23), v0 src0_sel:BYTE_0 src1_sel:DWORD
	v_mov_b32_e32 v0, 0xff800000
	v_mov_b32_e32 v20, 0x7f800000
	v_cndmask_b32_e32 v0, v0, v20, vcc
	v_cmp_eq_u32_e32 vcc, 0, v2
	v_mov_b32_e32 v2, 0x7f800001
	v_cndmask_b32_e32 v0, v2, v0, vcc
; %bb.7719:                             ;   in Loop: Header=BB6_5473 Depth=4
	s_or_b64 exec, exec, s[34:35]
.LBB6_7720:                             ;   in Loop: Header=BB6_5473 Depth=4
	s_or_b64 exec, exec, s[30:31]
.LBB6_7721:                             ;   in Loop: Header=BB6_5473 Depth=4
	s_or_b64 exec, exec, s[28:29]
	v_add_f32_e32 v2, v1, v0
	v_and_b32_e32 v20, 0x7f800000, v2
	v_mov_b32_e32 v21, v33
	v_cmp_ne_u64_e32 vcc, s[76:77], v[20:21]
	v_and_b32_e32 v0, 0x7fffff, v2
	v_mov_b32_e32 v1, v33
                                        ; implicit-def: $vgpr6
                                        ; kill: killed $vgpr6
	s_and_saveexec_b64 s[28:29], vcc
	s_xor_b64 s[30:31], exec, s[28:29]
	s_cbranch_execz .LBB6_7735
; %bb.7722:                             ;   in Loop: Header=BB6_5473 Depth=4
	v_and_b32_e32 v20, 0x7fffffff, v2
	v_mov_b32_e32 v21, v33
	v_cmp_gt_u64_e32 vcc, s[78:79], v[20:21]
	v_and_b32_sdwa v20, v2, s97 dst_sel:DWORD dst_unused:UNUSED_PAD src0_sel:BYTE_3 src1_sel:DWORD
                                        ; implicit-def: $vgpr6
                                        ; kill: killed $vgpr6
	s_and_saveexec_b64 s[28:29], vcc
	s_xor_b64 s[34:35], exec, s[28:29]
	s_cbranch_execz .LBB6_7732
; %bb.7723:                             ;   in Loop: Header=BB6_5473 Depth=4
	v_mov_b32_e32 v6, 0
	v_cmp_ne_u32_e32 vcc, 0, v2
	buffer_store_dword v6, off, s[0:3], s33 offset:368 ; 4-byte Folded Spill
	s_and_saveexec_b64 s[36:37], vcc
	s_cbranch_execz .LBB6_7731
; %bb.7724:                             ;   in Loop: Header=BB6_5473 Depth=4
	v_bfe_u32 v21, v2, 23, 8
	v_cmp_gt_u32_e64 s[28:29], s47, v21
	v_sub_u32_e32 v2, 0x71, v21
	v_cmp_eq_u32_e32 vcc, 0, v21
	v_cndmask_b32_e64 v2, 0, v2, s[28:29]
	v_mov_b32_e32 v24, 0x70
	v_cndmask_b32_e32 v24, v2, v24, vcc
	v_add_u32_e32 v2, 21, v24
	v_or_b32_e32 v30, 0x800000, v0
	v_lshlrev_b64 v[35:36], v2, -1
	v_cndmask_b32_e32 v0, v30, v0, vcc
	v_add_u32_e32 v2, 20, v24
	v_bfi_b32 v35, v35, 0, v0
	v_lshlrev_b64 v[48:49], v2, 1
	v_lshrrev_b64 v[0:1], v24, v[0:1]
	v_bfi_b32 v36, v36, 0, 0
	v_cmp_eq_u64_e64 s[28:29], v[35:36], v[48:49]
	v_mov_b32_e32 v2, v1
	v_mov_b32_e32 v1, v0
	s_and_saveexec_b64 s[38:39], s[28:29]
; %bb.7725:                             ;   in Loop: Header=BB6_5473 Depth=4
	v_bfe_u32 v1, v0, 21, 1
	v_add_co_u32_e64 v1, s[28:29], v0, v1
	v_add_co_u32_e64 v1, s[28:29], -1, v1
; %bb.7726:                             ;   in Loop: Header=BB6_5473 Depth=4
	s_or_b64 exec, exec, s[38:39]
	v_add_u32_e32 v2, 0xffffff81, v21
	v_mov_b32_e32 v21, 0xffffff82
	v_cndmask_b32_e32 v2, v2, v21, vcc
	v_lshrrev_b32_e32 v21, 23, v0
	v_add3_u32 v24, v24, v2, v21
	v_add_u32_e32 v21, 14, v24
	v_and_b32_e32 v1, 0x1fffff, v1
	v_add_u32_e32 v0, v1, v0
	v_mov_b32_e32 v1, v33
	v_cmp_ne_u32_e32 vcc, 0, v21
                                        ; implicit-def: $vgpr2
	s_and_saveexec_b64 s[28:29], vcc
	s_xor_b64 s[28:29], exec, s[28:29]
; %bb.7727:                             ;   in Loop: Header=BB6_5473 Depth=4
	v_cmp_lt_u64_e32 vcc, s[88:89], v[0:1]
	v_add_u32_e32 v2, 15, v24
	v_cndmask_b32_e32 v2, v21, v2, vcc
	v_cndmask_b32_e64 v21, 0, 1, vcc
	v_lshrrev_b64 v[0:1], v21, v[0:1]
; %bb.7728:                             ;   in Loop: Header=BB6_5473 Depth=4
	s_andn2_saveexec_b64 s[28:29], s[28:29]
; %bb.7729:                             ;   in Loop: Header=BB6_5473 Depth=4
	v_bfe_u32 v2, v0, 23, 1
; %bb.7730:                             ;   in Loop: Header=BB6_5473 Depth=4
	s_or_b64 exec, exec, s[28:29]
	v_lshrrev_b64 v[0:1], 21, v[0:1]
	v_cmp_gt_i32_e32 vcc, 32, v2
	v_cndmask_b32_e32 v1, 0, v1, vcc
	v_cndmask_b32_e32 v0, 3, v0, vcc
	v_cmp_eq_u64_e64 s[28:29], 0, v[0:1]
	v_min_i32_e32 v1, 31, v2
	v_lshlrev_b32_e32 v1, 2, v1
	v_cmp_eq_u32_e32 vcc, 0, v2
	v_and_b32_e32 v1, 0xfc, v1
	v_and_or_b32 v0, v0, 3, v1
	s_and_b64 s[28:29], vcc, s[28:29]
	v_cndmask_b32_e64 v0, v0, 0, s[28:29]
	v_or_b32_e32 v0, v0, v20
	buffer_store_dword v0, off, s[0:3], s33 offset:368 ; 4-byte Folded Spill
.LBB6_7731:                             ;   in Loop: Header=BB6_5473 Depth=4
	s_or_b64 exec, exec, s[36:37]
                                        ; implicit-def: $vgpr20
.LBB6_7732:                             ;   in Loop: Header=BB6_5473 Depth=4
	s_andn2_saveexec_b64 s[28:29], s[34:35]
	s_cbranch_execz .LBB6_7734
; %bb.7733:                             ;   in Loop: Header=BB6_5473 Depth=4
	v_or_b32_e32 v0, 0x7b, v20
	buffer_store_dword v0, off, s[0:3], s33 offset:368 ; 4-byte Folded Spill
.LBB6_7734:                             ;   in Loop: Header=BB6_5473 Depth=4
	s_or_b64 exec, exec, s[28:29]
                                        ; implicit-def: $vgpr2
                                        ; implicit-def: $vgpr0_vgpr1
.LBB6_7735:                             ;   in Loop: Header=BB6_5473 Depth=4
	s_andn2_saveexec_b64 s[28:29], s[30:31]
	s_cbranch_execz .LBB6_7741
; %bb.7736:                             ;   in Loop: Header=BB6_5473 Depth=4
	v_cmp_ne_u64_e32 vcc, 0, v[0:1]
                                        ; implicit-def: $vgpr0
                                        ; kill: killed $vgpr0
	s_and_saveexec_b64 s[62:63], vcc
	s_xor_b64 vcc, exec, s[62:63]
	s_cbranch_execz .LBB6_7738
; %bb.7737:                             ;   in Loop: Header=BB6_5473 Depth=4
	v_or_b32_sdwa v0, v2, s44 dst_sel:DWORD dst_unused:UNUSED_PAD src0_sel:BYTE_3 src1_sel:DWORD
	buffer_store_dword v0, off, s[0:3], s33 offset:368 ; 4-byte Folded Spill
                                        ; implicit-def: $vgpr2
.LBB6_7738:                             ;   in Loop: Header=BB6_5473 Depth=4
	s_andn2_saveexec_b64 s[30:31], vcc
	s_cbranch_execz .LBB6_7740
; %bb.7739:                             ;   in Loop: Header=BB6_5473 Depth=4
	v_cmp_lt_i32_e32 vcc, -1, v2
	v_bfrev_b32_e32 v0, 0.5
	v_mov_b32_e32 v1, 0x7c
	v_cndmask_b32_e32 v0, v0, v1, vcc
	buffer_store_dword v0, off, s[0:3], s33 offset:368 ; 4-byte Folded Spill
.LBB6_7740:                             ;   in Loop: Header=BB6_5473 Depth=4
	s_or_b64 exec, exec, s[30:31]
.LBB6_7741:                             ;   in Loop: Header=BB6_5473 Depth=4
	s_or_b64 exec, exec, s[28:29]
	v_lshrrev_b16_e32 v0, 8, v4
	v_cmp_ne_u16_e32 vcc, 0, v0
	v_mov_b32_e32 v2, 0
	v_mov_b32_e32 v20, 0
	s_and_saveexec_b64 s[28:29], vcc
	s_cbranch_execz .LBB6_7749
; %bb.7742:                             ;   in Loop: Header=BB6_5473 Depth=4
	v_cmp_ne_u16_e32 vcc, s97, v0
	v_bfrev_b32_e32 v20, 1
	s_and_saveexec_b64 s[30:31], vcc
	s_cbranch_execz .LBB6_7748
; %bb.7743:                             ;   in Loop: Header=BB6_5473 Depth=4
	v_and_b32_e32 v1, 0x7c, v0
	v_and_b32_e32 v21, 3, v0
	v_cmp_ne_u32_e32 vcc, s86, v1
                                        ; implicit-def: $vgpr20
	s_and_saveexec_b64 s[62:63], vcc
	s_xor_b64 s[34:35], exec, s[62:63]
	s_cbranch_execz .LBB6_7745
; %bb.7744:                             ;   in Loop: Header=BB6_5473 Depth=4
	v_ffbh_u32_e32 v24, v21
	v_min_u32_e32 v24, 32, v24
	v_mov_b32_e32 v1, v33
	v_subrev_u32_e32 v30, 29, v24
	v_bfe_u32 v20, v0, 2, 5
	v_lshlrev_b64 v[0:1], v30, v[0:1]
	v_sub_u32_e32 v1, 30, v24
	v_cmp_eq_u32_e32 vcc, 0, v20
	v_lshlrev_b32_e32 v4, 16, v4
	v_and_b32_e32 v0, 3, v0
	v_cndmask_b32_e32 v1, v20, v1, vcc
	v_and_b32_e32 v4, 0x80000000, v4
	v_cndmask_b32_e32 v0, v21, v0, vcc
	v_lshl_add_u32 v1, v1, 23, v4
	v_lshl_or_b32 v0, v0, 21, v1
	v_add_u32_e32 v20, 0x38000000, v0
                                        ; implicit-def: $vgpr21
                                        ; implicit-def: $vgpr4
.LBB6_7745:                             ;   in Loop: Header=BB6_5473 Depth=4
	s_andn2_saveexec_b64 s[34:35], s[34:35]
; %bb.7746:                             ;   in Loop: Header=BB6_5473 Depth=4
	v_cmp_lt_i16_e32 vcc, -1, v4
	v_mov_b32_e32 v0, 0xff800000
	v_mov_b32_e32 v1, 0x7f800000
	v_cndmask_b32_e32 v0, v0, v1, vcc
	v_cmp_eq_u32_e32 vcc, 0, v21
	v_mov_b32_e32 v1, 0x7f800001
	v_cndmask_b32_e32 v20, v1, v0, vcc
; %bb.7747:                             ;   in Loop: Header=BB6_5473 Depth=4
	s_or_b64 exec, exec, s[34:35]
.LBB6_7748:                             ;   in Loop: Header=BB6_5473 Depth=4
	s_or_b64 exec, exec, s[30:31]
.LBB6_7749:                             ;   in Loop: Header=BB6_5473 Depth=4
	s_or_b64 exec, exec, s[28:29]
	v_lshrrev_b16_e32 v0, 8, v23
	v_cmp_ne_u16_e32 vcc, 0, v0
	s_and_saveexec_b64 s[28:29], vcc
	s_cbranch_execz .LBB6_7757
; %bb.7750:                             ;   in Loop: Header=BB6_5473 Depth=4
	v_cmp_ne_u16_e32 vcc, s97, v0
	v_bfrev_b32_e32 v2, 1
	s_and_saveexec_b64 s[30:31], vcc
	s_cbranch_execz .LBB6_7756
; %bb.7751:                             ;   in Loop: Header=BB6_5473 Depth=4
	v_and_b32_e32 v1, 0x7c, v0
	v_and_b32_e32 v4, 3, v0
	v_cmp_ne_u32_e32 vcc, s86, v1
                                        ; implicit-def: $vgpr2
	s_and_saveexec_b64 s[62:63], vcc
	s_xor_b64 s[34:35], exec, s[62:63]
	s_cbranch_execz .LBB6_7753
; %bb.7752:                             ;   in Loop: Header=BB6_5473 Depth=4
	v_ffbh_u32_e32 v21, v4
	v_min_u32_e32 v21, 32, v21
	v_mov_b32_e32 v1, v33
	v_subrev_u32_e32 v24, 29, v21
	v_bfe_u32 v2, v0, 2, 5
	v_lshlrev_b64 v[0:1], v24, v[0:1]
	v_sub_u32_e32 v1, 30, v21
	v_cmp_eq_u32_e32 vcc, 0, v2
	v_cndmask_b32_e32 v1, v2, v1, vcc
	v_lshlrev_b32_e32 v2, 16, v23
	v_and_b32_e32 v0, 3, v0
	v_and_b32_e32 v2, 0x80000000, v2
	v_cndmask_b32_e32 v0, v4, v0, vcc
	v_lshl_add_u32 v1, v1, 23, v2
	v_lshl_or_b32 v0, v0, 21, v1
	v_add_u32_e32 v2, 0x38000000, v0
                                        ; implicit-def: $vgpr4
.LBB6_7753:                             ;   in Loop: Header=BB6_5473 Depth=4
	s_andn2_saveexec_b64 s[34:35], s[34:35]
; %bb.7754:                             ;   in Loop: Header=BB6_5473 Depth=4
	v_cmp_lt_i16_e32 vcc, -1, v23
	v_mov_b32_e32 v0, 0xff800000
	v_mov_b32_e32 v1, 0x7f800000
	v_cndmask_b32_e32 v0, v0, v1, vcc
	v_cmp_eq_u32_e32 vcc, 0, v4
	v_mov_b32_e32 v1, 0x7f800001
	v_cndmask_b32_e32 v2, v1, v0, vcc
; %bb.7755:                             ;   in Loop: Header=BB6_5473 Depth=4
	s_or_b64 exec, exec, s[34:35]
.LBB6_7756:                             ;   in Loop: Header=BB6_5473 Depth=4
	s_or_b64 exec, exec, s[30:31]
.LBB6_7757:                             ;   in Loop: Header=BB6_5473 Depth=4
	s_or_b64 exec, exec, s[28:29]
	v_add_f32_e32 v2, v20, v2
	v_and_b32_e32 v20, 0x7f800000, v2
	v_mov_b32_e32 v21, v33
	v_cmp_ne_u64_e32 vcc, s[76:77], v[20:21]
	v_and_b32_e32 v0, 0x7fffff, v2
	v_mov_b32_e32 v1, v33
                                        ; implicit-def: $vgpr4
                                        ; kill: killed $vgpr4
	s_and_saveexec_b64 s[28:29], vcc
	s_xor_b64 s[30:31], exec, s[28:29]
	s_cbranch_execz .LBB6_7771
; %bb.7758:                             ;   in Loop: Header=BB6_5473 Depth=4
	v_and_b32_e32 v20, 0x7fffffff, v2
	v_mov_b32_e32 v21, v33
	v_cmp_gt_u64_e32 vcc, s[78:79], v[20:21]
	v_and_b32_sdwa v4, v2, s97 dst_sel:DWORD dst_unused:UNUSED_PAD src0_sel:BYTE_3 src1_sel:DWORD
                                        ; implicit-def: $vgpr6
                                        ; kill: killed $vgpr6
	s_and_saveexec_b64 s[28:29], vcc
	s_xor_b64 s[34:35], exec, s[28:29]
	s_cbranch_execz .LBB6_7768
; %bb.7759:                             ;   in Loop: Header=BB6_5473 Depth=4
	v_mov_b32_e32 v6, 0
	v_cmp_ne_u32_e32 vcc, 0, v2
	buffer_store_dword v6, off, s[0:3], s33 offset:376 ; 4-byte Folded Spill
	s_and_saveexec_b64 s[36:37], vcc
	s_cbranch_execz .LBB6_7767
; %bb.7760:                             ;   in Loop: Header=BB6_5473 Depth=4
	v_bfe_u32 v20, v2, 23, 8
	v_cmp_gt_u32_e64 s[28:29], s47, v20
	v_sub_u32_e32 v2, 0x71, v20
	v_cmp_eq_u32_e32 vcc, 0, v20
	v_cndmask_b32_e64 v2, 0, v2, s[28:29]
	v_mov_b32_e32 v21, 0x70
	v_cndmask_b32_e32 v21, v2, v21, vcc
	v_add_u32_e32 v2, 21, v21
	v_or_b32_e32 v24, 0x800000, v0
	v_lshlrev_b64 v[35:36], v2, -1
	v_cndmask_b32_e32 v0, v24, v0, vcc
	v_add_u32_e32 v2, 20, v21
	v_bfi_b32 v35, v35, 0, v0
	v_lshlrev_b64 v[48:49], v2, 1
	v_lshrrev_b64 v[0:1], v21, v[0:1]
	v_bfi_b32 v36, v36, 0, 0
	v_cmp_eq_u64_e64 s[28:29], v[35:36], v[48:49]
	v_mov_b32_e32 v2, v1
	v_mov_b32_e32 v1, v0
	s_and_saveexec_b64 s[38:39], s[28:29]
; %bb.7761:                             ;   in Loop: Header=BB6_5473 Depth=4
	v_bfe_u32 v1, v0, 21, 1
	v_add_co_u32_e64 v1, s[28:29], v0, v1
	v_add_co_u32_e64 v1, s[28:29], -1, v1
; %bb.7762:                             ;   in Loop: Header=BB6_5473 Depth=4
	s_or_b64 exec, exec, s[38:39]
	v_add_u32_e32 v2, 0xffffff81, v20
	v_mov_b32_e32 v20, 0xffffff82
	v_cndmask_b32_e32 v2, v2, v20, vcc
	v_lshrrev_b32_e32 v20, 23, v0
	v_add3_u32 v21, v21, v2, v20
	v_add_u32_e32 v20, 14, v21
	v_and_b32_e32 v1, 0x1fffff, v1
	v_add_u32_e32 v0, v1, v0
	v_mov_b32_e32 v1, v33
	v_cmp_ne_u32_e32 vcc, 0, v20
                                        ; implicit-def: $vgpr2
	s_and_saveexec_b64 s[28:29], vcc
	s_xor_b64 s[28:29], exec, s[28:29]
; %bb.7763:                             ;   in Loop: Header=BB6_5473 Depth=4
	v_cmp_lt_u64_e32 vcc, s[88:89], v[0:1]
	v_add_u32_e32 v2, 15, v21
	v_cndmask_b32_e32 v2, v20, v2, vcc
	v_cndmask_b32_e64 v20, 0, 1, vcc
	v_lshrrev_b64 v[0:1], v20, v[0:1]
; %bb.7764:                             ;   in Loop: Header=BB6_5473 Depth=4
	s_andn2_saveexec_b64 s[28:29], s[28:29]
; %bb.7765:                             ;   in Loop: Header=BB6_5473 Depth=4
	v_bfe_u32 v2, v0, 23, 1
; %bb.7766:                             ;   in Loop: Header=BB6_5473 Depth=4
	s_or_b64 exec, exec, s[28:29]
	v_lshrrev_b64 v[0:1], 21, v[0:1]
	v_cmp_gt_i32_e32 vcc, 32, v2
	v_cndmask_b32_e32 v1, 0, v1, vcc
	v_cndmask_b32_e32 v0, 3, v0, vcc
	v_cmp_eq_u64_e64 s[28:29], 0, v[0:1]
	v_min_i32_e32 v1, 31, v2
	v_lshlrev_b32_e32 v1, 2, v1
	v_cmp_eq_u32_e32 vcc, 0, v2
	v_and_b32_e32 v1, 0xfc, v1
	v_and_or_b32 v0, v0, 3, v1
	s_and_b64 s[28:29], vcc, s[28:29]
	v_cndmask_b32_e64 v0, v0, 0, s[28:29]
	v_or_b32_e32 v0, v0, v4
	buffer_store_dword v0, off, s[0:3], s33 offset:376 ; 4-byte Folded Spill
.LBB6_7767:                             ;   in Loop: Header=BB6_5473 Depth=4
	s_or_b64 exec, exec, s[36:37]
                                        ; implicit-def: $vgpr4
.LBB6_7768:                             ;   in Loop: Header=BB6_5473 Depth=4
	s_andn2_saveexec_b64 s[28:29], s[34:35]
	s_cbranch_execz .LBB6_7770
; %bb.7769:                             ;   in Loop: Header=BB6_5473 Depth=4
	v_or_b32_e32 v0, 0x7b, v4
	buffer_store_dword v0, off, s[0:3], s33 offset:376 ; 4-byte Folded Spill
.LBB6_7770:                             ;   in Loop: Header=BB6_5473 Depth=4
	s_or_b64 exec, exec, s[28:29]
                                        ; implicit-def: $vgpr2
                                        ; implicit-def: $vgpr0_vgpr1
.LBB6_7771:                             ;   in Loop: Header=BB6_5473 Depth=4
	s_andn2_saveexec_b64 s[28:29], s[30:31]
	s_cbranch_execz .LBB6_7777
; %bb.7772:                             ;   in Loop: Header=BB6_5473 Depth=4
	v_cmp_ne_u64_e32 vcc, 0, v[0:1]
                                        ; implicit-def: $vgpr0
                                        ; kill: killed $vgpr0
	s_and_saveexec_b64 s[62:63], vcc
	s_xor_b64 vcc, exec, s[62:63]
	s_cbranch_execz .LBB6_7774
; %bb.7773:                             ;   in Loop: Header=BB6_5473 Depth=4
	v_or_b32_sdwa v0, v2, s44 dst_sel:DWORD dst_unused:UNUSED_PAD src0_sel:BYTE_3 src1_sel:DWORD
	buffer_store_dword v0, off, s[0:3], s33 offset:376 ; 4-byte Folded Spill
                                        ; implicit-def: $vgpr2
.LBB6_7774:                             ;   in Loop: Header=BB6_5473 Depth=4
	s_andn2_saveexec_b64 s[30:31], vcc
	s_cbranch_execz .LBB6_7776
; %bb.7775:                             ;   in Loop: Header=BB6_5473 Depth=4
	v_cmp_lt_i32_e32 vcc, -1, v2
	v_bfrev_b32_e32 v0, 0.5
	v_mov_b32_e32 v1, 0x7c
	v_cndmask_b32_e32 v0, v0, v1, vcc
	buffer_store_dword v0, off, s[0:3], s33 offset:376 ; 4-byte Folded Spill
.LBB6_7776:                             ;   in Loop: Header=BB6_5473 Depth=4
	s_or_b64 exec, exec, s[30:31]
.LBB6_7777:                             ;   in Loop: Header=BB6_5473 Depth=4
	s_or_b64 exec, exec, s[28:29]
	v_and_b32_sdwa v4, v32, s96 dst_sel:DWORD dst_unused:UNUSED_PAD src0_sel:WORD_1 src1_sel:DWORD
	v_lshrrev_b32_e32 v0, 16, v32
	v_cmp_ne_u16_e32 vcc, 0, v4
	v_mov_b32_e32 v1, 0
	v_mov_b32_e32 v2, 0
	s_and_saveexec_b64 s[28:29], vcc
	s_cbranch_execz .LBB6_7785
; %bb.7778:                             ;   in Loop: Header=BB6_5473 Depth=4
	v_cmp_ne_u16_e32 vcc, s97, v4
	v_bfrev_b32_e32 v2, 1
	s_and_saveexec_b64 s[30:31], vcc
	s_cbranch_execz .LBB6_7784
; %bb.7779:                             ;   in Loop: Header=BB6_5473 Depth=4
	v_and_b32_e32 v2, 0x7c0000, v32
	v_bfe_u32 v4, v32, 16, 2
	v_cmp_ne_u32_e32 vcc, s45, v2
                                        ; implicit-def: $vgpr2
	s_and_saveexec_b64 s[62:63], vcc
	s_xor_b64 s[34:35], exec, s[62:63]
	s_cbranch_execz .LBB6_7781
; %bb.7780:                             ;   in Loop: Header=BB6_5473 Depth=4
	v_ffbh_u32_e32 v20, v4
	v_min_u32_e32 v24, 32, v20
	v_subrev_u32_e32 v20, 29, v24
	v_lshlrev_b64 v[20:21], v20, v[0:1]
	v_bfe_u32 v2, v32, 18, 5
	v_sub_u32_e32 v0, 30, v24
	v_and_b32_e32 v20, 3, v20
	v_cmp_eq_u32_e32 vcc, 0, v2
	v_cndmask_b32_e32 v0, v2, v0, vcc
	v_cndmask_b32_e32 v2, v4, v20, vcc
	v_lshlrev_b32_e32 v4, 8, v32
	v_and_b32_e32 v4, 0x80000000, v4
	v_lshl_add_u32 v0, v0, 23, v4
	v_lshl_or_b32 v0, v2, 21, v0
	v_add_u32_e32 v2, 0x38000000, v0
                                        ; implicit-def: $vgpr4
                                        ; implicit-def: $vgpr0
.LBB6_7781:                             ;   in Loop: Header=BB6_5473 Depth=4
	s_andn2_saveexec_b64 s[34:35], s[34:35]
; %bb.7782:                             ;   in Loop: Header=BB6_5473 Depth=4
	v_mov_b32_e32 v2, -1
	v_cmp_gt_i16_sdwa vcc, sext(v0), v2 src0_sel:BYTE_0 src1_sel:DWORD
	v_mov_b32_e32 v0, 0xff800000
	v_mov_b32_e32 v2, 0x7f800000
	v_cndmask_b32_e32 v0, v0, v2, vcc
	v_cmp_eq_u32_e32 vcc, 0, v4
	v_mov_b32_e32 v2, 0x7f800001
	v_cndmask_b32_e32 v2, v2, v0, vcc
; %bb.7783:                             ;   in Loop: Header=BB6_5473 Depth=4
	s_or_b64 exec, exec, s[34:35]
.LBB6_7784:                             ;   in Loop: Header=BB6_5473 Depth=4
	s_or_b64 exec, exec, s[30:31]
.LBB6_7785:                             ;   in Loop: Header=BB6_5473 Depth=4
	s_or_b64 exec, exec, s[28:29]
	v_lshrrev_b32_e32 v0, 16, v23
	v_cmp_ne_u16_sdwa s[62:63], v0, v33 src0_sel:BYTE_0 src1_sel:DWORD
	s_and_saveexec_b64 s[28:29], s[62:63]
	s_cbranch_execz .LBB6_7793
; %bb.7786:                             ;   in Loop: Header=BB6_5473 Depth=4
	v_cmp_ne_u16_sdwa s[62:63], v0, s97 src0_sel:BYTE_0 src1_sel:DWORD
	v_bfrev_b32_e32 v1, 1
	s_and_saveexec_b64 s[30:31], s[62:63]
	s_cbranch_execz .LBB6_7792
; %bb.7787:                             ;   in Loop: Header=BB6_5473 Depth=4
	v_and_b32_e32 v1, 0x7c0000, v23
	v_bfe_u32 v4, v23, 16, 2
	v_cmp_ne_u32_e32 vcc, s45, v1
                                        ; implicit-def: $vgpr1
	s_and_saveexec_b64 s[62:63], vcc
	s_xor_b64 s[34:35], exec, s[62:63]
	s_cbranch_execz .LBB6_7789
; %bb.7788:                             ;   in Loop: Header=BB6_5473 Depth=4
	v_ffbh_u32_e32 v1, v4
	v_min_u32_e32 v21, 32, v1
	v_subrev_u32_e32 v1, 29, v21
	v_lshlrev_b64 v[0:1], v1, v[0:1]
	v_bfe_u32 v20, v23, 18, 5
	v_and_b32_e32 v0, 3, v0
	v_cmp_eq_u32_e32 vcc, 0, v20
	v_sub_u32_e32 v1, 30, v21
	v_cndmask_b32_e32 v0, v4, v0, vcc
	v_lshlrev_b32_e32 v4, 8, v23
	v_cndmask_b32_e32 v1, v20, v1, vcc
	v_and_b32_e32 v4, 0x80000000, v4
	v_lshl_add_u32 v1, v1, 23, v4
	v_lshl_or_b32 v0, v0, 21, v1
	v_add_u32_e32 v1, 0x38000000, v0
                                        ; implicit-def: $vgpr4
                                        ; implicit-def: $vgpr0
.LBB6_7789:                             ;   in Loop: Header=BB6_5473 Depth=4
	s_andn2_saveexec_b64 s[34:35], s[34:35]
; %bb.7790:                             ;   in Loop: Header=BB6_5473 Depth=4
	v_mov_b32_e32 v1, -1
	v_cmp_gt_i16_sdwa vcc, sext(v0), v1 src0_sel:BYTE_0 src1_sel:DWORD
	v_mov_b32_e32 v0, 0xff800000
	v_mov_b32_e32 v1, 0x7f800000
	v_cndmask_b32_e32 v0, v0, v1, vcc
	v_cmp_eq_u32_e32 vcc, 0, v4
	v_mov_b32_e32 v1, 0x7f800001
	v_cndmask_b32_e32 v1, v1, v0, vcc
; %bb.7791:                             ;   in Loop: Header=BB6_5473 Depth=4
	s_or_b64 exec, exec, s[34:35]
.LBB6_7792:                             ;   in Loop: Header=BB6_5473 Depth=4
	s_or_b64 exec, exec, s[30:31]
.LBB6_7793:                             ;   in Loop: Header=BB6_5473 Depth=4
	s_or_b64 exec, exec, s[28:29]
	v_add_f32_e32 v2, v2, v1
	v_and_b32_e32 v20, 0x7f800000, v2
	v_mov_b32_e32 v21, v33
	v_cmp_ne_u64_e32 vcc, s[76:77], v[20:21]
	v_and_b32_e32 v0, 0x7fffff, v2
	v_mov_b32_e32 v1, v33
                                        ; implicit-def: $vgpr4
                                        ; kill: killed $vgpr4
	s_and_saveexec_b64 s[28:29], vcc
	s_xor_b64 s[30:31], exec, s[28:29]
	s_cbranch_execz .LBB6_7807
; %bb.7794:                             ;   in Loop: Header=BB6_5473 Depth=4
	v_and_b32_e32 v20, 0x7fffffff, v2
	v_mov_b32_e32 v21, v33
	v_cmp_gt_u64_e32 vcc, s[78:79], v[20:21]
	v_and_b32_sdwa v4, v2, s97 dst_sel:DWORD dst_unused:UNUSED_PAD src0_sel:BYTE_3 src1_sel:DWORD
                                        ; implicit-def: $vgpr6
                                        ; kill: killed $vgpr6
	s_and_saveexec_b64 s[28:29], vcc
	s_xor_b64 s[34:35], exec, s[28:29]
	s_cbranch_execz .LBB6_7804
; %bb.7795:                             ;   in Loop: Header=BB6_5473 Depth=4
	v_mov_b32_e32 v6, 0
	v_cmp_ne_u32_e32 vcc, 0, v2
	buffer_store_dword v6, off, s[0:3], s33 offset:380 ; 4-byte Folded Spill
	s_and_saveexec_b64 s[36:37], vcc
	s_cbranch_execz .LBB6_7803
; %bb.7796:                             ;   in Loop: Header=BB6_5473 Depth=4
	v_bfe_u32 v20, v2, 23, 8
	v_cmp_gt_u32_e64 s[28:29], s47, v20
	v_sub_u32_e32 v2, 0x71, v20
	v_cmp_eq_u32_e32 vcc, 0, v20
	v_cndmask_b32_e64 v2, 0, v2, s[28:29]
	v_mov_b32_e32 v21, 0x70
	v_cndmask_b32_e32 v21, v2, v21, vcc
	v_add_u32_e32 v2, 21, v21
	v_or_b32_e32 v24, 0x800000, v0
	v_lshlrev_b64 v[35:36], v2, -1
	v_cndmask_b32_e32 v0, v24, v0, vcc
	v_add_u32_e32 v2, 20, v21
	v_bfi_b32 v35, v35, 0, v0
	v_lshlrev_b64 v[48:49], v2, 1
	v_lshrrev_b64 v[0:1], v21, v[0:1]
	v_bfi_b32 v36, v36, 0, 0
	v_cmp_eq_u64_e64 s[28:29], v[35:36], v[48:49]
	v_mov_b32_e32 v2, v1
	v_mov_b32_e32 v1, v0
	s_and_saveexec_b64 s[38:39], s[28:29]
; %bb.7797:                             ;   in Loop: Header=BB6_5473 Depth=4
	v_bfe_u32 v1, v0, 21, 1
	v_add_co_u32_e64 v1, s[28:29], v0, v1
	v_add_co_u32_e64 v1, s[28:29], -1, v1
; %bb.7798:                             ;   in Loop: Header=BB6_5473 Depth=4
	s_or_b64 exec, exec, s[38:39]
	v_add_u32_e32 v2, 0xffffff81, v20
	v_mov_b32_e32 v20, 0xffffff82
	v_cndmask_b32_e32 v2, v2, v20, vcc
	v_lshrrev_b32_e32 v20, 23, v0
	v_add3_u32 v21, v21, v2, v20
	v_add_u32_e32 v20, 14, v21
	v_and_b32_e32 v1, 0x1fffff, v1
	v_add_u32_e32 v0, v1, v0
	v_mov_b32_e32 v1, v33
	v_cmp_ne_u32_e32 vcc, 0, v20
                                        ; implicit-def: $vgpr2
	s_and_saveexec_b64 s[28:29], vcc
	s_xor_b64 s[28:29], exec, s[28:29]
; %bb.7799:                             ;   in Loop: Header=BB6_5473 Depth=4
	v_cmp_lt_u64_e32 vcc, s[88:89], v[0:1]
	v_add_u32_e32 v2, 15, v21
	v_cndmask_b32_e32 v2, v20, v2, vcc
	v_cndmask_b32_e64 v20, 0, 1, vcc
	v_lshrrev_b64 v[0:1], v20, v[0:1]
; %bb.7800:                             ;   in Loop: Header=BB6_5473 Depth=4
	s_andn2_saveexec_b64 s[28:29], s[28:29]
; %bb.7801:                             ;   in Loop: Header=BB6_5473 Depth=4
	v_bfe_u32 v2, v0, 23, 1
; %bb.7802:                             ;   in Loop: Header=BB6_5473 Depth=4
	s_or_b64 exec, exec, s[28:29]
	v_lshrrev_b64 v[0:1], 21, v[0:1]
	v_cmp_gt_i32_e32 vcc, 32, v2
	v_cndmask_b32_e32 v1, 0, v1, vcc
	v_cndmask_b32_e32 v0, 3, v0, vcc
	v_cmp_eq_u64_e64 s[28:29], 0, v[0:1]
	v_min_i32_e32 v1, 31, v2
	v_lshlrev_b32_e32 v1, 2, v1
	v_cmp_eq_u32_e32 vcc, 0, v2
	v_and_b32_e32 v1, 0xfc, v1
	v_and_or_b32 v0, v0, 3, v1
	s_and_b64 s[28:29], vcc, s[28:29]
	v_cndmask_b32_e64 v0, v0, 0, s[28:29]
	v_or_b32_e32 v0, v0, v4
	buffer_store_dword v0, off, s[0:3], s33 offset:380 ; 4-byte Folded Spill
.LBB6_7803:                             ;   in Loop: Header=BB6_5473 Depth=4
	s_or_b64 exec, exec, s[36:37]
                                        ; implicit-def: $vgpr4
.LBB6_7804:                             ;   in Loop: Header=BB6_5473 Depth=4
	s_andn2_saveexec_b64 s[28:29], s[34:35]
	s_cbranch_execz .LBB6_7806
; %bb.7805:                             ;   in Loop: Header=BB6_5473 Depth=4
	v_or_b32_e32 v0, 0x7b, v4
	buffer_store_dword v0, off, s[0:3], s33 offset:380 ; 4-byte Folded Spill
.LBB6_7806:                             ;   in Loop: Header=BB6_5473 Depth=4
	s_or_b64 exec, exec, s[28:29]
                                        ; implicit-def: $vgpr2
                                        ; implicit-def: $vgpr0_vgpr1
.LBB6_7807:                             ;   in Loop: Header=BB6_5473 Depth=4
	s_andn2_saveexec_b64 s[28:29], s[30:31]
	s_cbranch_execz .LBB6_7813
; %bb.7808:                             ;   in Loop: Header=BB6_5473 Depth=4
	v_cmp_ne_u64_e32 vcc, 0, v[0:1]
                                        ; implicit-def: $vgpr0
                                        ; kill: killed $vgpr0
	s_and_saveexec_b64 s[62:63], vcc
	s_xor_b64 vcc, exec, s[62:63]
	s_cbranch_execz .LBB6_7810
; %bb.7809:                             ;   in Loop: Header=BB6_5473 Depth=4
	v_or_b32_sdwa v0, v2, s44 dst_sel:DWORD dst_unused:UNUSED_PAD src0_sel:BYTE_3 src1_sel:DWORD
	buffer_store_dword v0, off, s[0:3], s33 offset:380 ; 4-byte Folded Spill
                                        ; implicit-def: $vgpr2
.LBB6_7810:                             ;   in Loop: Header=BB6_5473 Depth=4
	s_andn2_saveexec_b64 s[30:31], vcc
	s_cbranch_execz .LBB6_7812
; %bb.7811:                             ;   in Loop: Header=BB6_5473 Depth=4
	v_cmp_lt_i32_e32 vcc, -1, v2
	v_bfrev_b32_e32 v0, 0.5
	v_mov_b32_e32 v1, 0x7c
	v_cndmask_b32_e32 v0, v0, v1, vcc
	buffer_store_dword v0, off, s[0:3], s33 offset:380 ; 4-byte Folded Spill
.LBB6_7812:                             ;   in Loop: Header=BB6_5473 Depth=4
	s_or_b64 exec, exec, s[30:31]
.LBB6_7813:                             ;   in Loop: Header=BB6_5473 Depth=4
	s_or_b64 exec, exec, s[28:29]
	v_cmp_lt_u32_e32 vcc, s57, v32
	v_mov_b32_e32 v1, 0
	v_mov_b32_e32 v2, 0
	s_and_saveexec_b64 s[28:29], vcc
	s_cbranch_execz .LBB6_7821
; %bb.7814:                             ;   in Loop: Header=BB6_5473 Depth=4
	v_lshrrev_b32_e32 v0, 24, v32
	v_cmp_ne_u32_e32 vcc, s97, v0
	v_bfrev_b32_e32 v2, 1
	s_and_saveexec_b64 s[30:31], vcc
	s_cbranch_execz .LBB6_7820
; %bb.7815:                             ;   in Loop: Header=BB6_5473 Depth=4
	v_and_b32_e32 v2, 0x7c000000, v32
	v_bfe_u32 v4, v32, 24, 2
	v_cmp_ne_u32_e32 vcc, s68, v2
                                        ; implicit-def: $vgpr2
	s_and_saveexec_b64 s[62:63], vcc
	s_xor_b64 s[34:35], exec, s[62:63]
	s_cbranch_execz .LBB6_7817
; %bb.7816:                             ;   in Loop: Header=BB6_5473 Depth=4
	v_ffbh_u32_e32 v20, v4
	v_min_u32_e32 v24, 32, v20
	v_subrev_u32_e32 v20, 29, v24
	v_lshlrev_b64 v[20:21], v20, v[0:1]
	v_bfe_u32 v2, v32, 26, 5
	v_sub_u32_e32 v0, 30, v24
	v_and_b32_e32 v20, 3, v20
	v_cmp_eq_u32_e32 vcc, 0, v2
	v_cndmask_b32_e32 v0, v2, v0, vcc
	v_cndmask_b32_e32 v2, v4, v20, vcc
	v_and_b32_e32 v4, 0x80000000, v32
	v_lshl_add_u32 v0, v0, 23, v4
	v_lshl_or_b32 v0, v2, 21, v0
	v_add_u32_e32 v2, 0x38000000, v0
                                        ; implicit-def: $vgpr4
.LBB6_7817:                             ;   in Loop: Header=BB6_5473 Depth=4
	s_andn2_saveexec_b64 s[34:35], s[34:35]
; %bb.7818:                             ;   in Loop: Header=BB6_5473 Depth=4
	v_cmp_lt_i32_e32 vcc, -1, v32
	v_mov_b32_e32 v0, 0xff800000
	v_mov_b32_e32 v2, 0x7f800000
	v_cndmask_b32_e32 v0, v0, v2, vcc
	v_cmp_eq_u32_e32 vcc, 0, v4
	v_mov_b32_e32 v2, 0x7f800001
	v_cndmask_b32_e32 v2, v2, v0, vcc
; %bb.7819:                             ;   in Loop: Header=BB6_5473 Depth=4
	s_or_b64 exec, exec, s[34:35]
.LBB6_7820:                             ;   in Loop: Header=BB6_5473 Depth=4
	s_or_b64 exec, exec, s[30:31]
.LBB6_7821:                             ;   in Loop: Header=BB6_5473 Depth=4
	s_or_b64 exec, exec, s[28:29]
	v_cmp_lt_u64_e32 vcc, s[56:57], v[22:23]
	s_and_saveexec_b64 s[28:29], vcc
	s_cbranch_execz .LBB6_7829
; %bb.7822:                             ;   in Loop: Header=BB6_5473 Depth=4
	v_lshrrev_b32_e32 v0, 24, v23
	v_cmp_ne_u32_e32 vcc, s97, v0
	v_bfrev_b32_e32 v1, 1
	s_and_saveexec_b64 s[30:31], vcc
	s_cbranch_execz .LBB6_7828
; %bb.7823:                             ;   in Loop: Header=BB6_5473 Depth=4
	v_and_b32_e32 v1, 0x7c000000, v23
	v_bfe_u32 v4, v23, 24, 2
	v_cmp_ne_u32_e32 vcc, s68, v1
                                        ; implicit-def: $vgpr1
	s_and_saveexec_b64 s[62:63], vcc
	s_xor_b64 s[34:35], exec, s[62:63]
	s_cbranch_execz .LBB6_7825
; %bb.7824:                             ;   in Loop: Header=BB6_5473 Depth=4
	v_ffbh_u32_e32 v1, v4
	v_min_u32_e32 v21, 32, v1
	v_subrev_u32_e32 v1, 29, v21
	v_lshlrev_b64 v[0:1], v1, v[0:1]
	v_bfe_u32 v20, v23, 26, 5
	v_sub_u32_e32 v1, 30, v21
	v_and_b32_e32 v0, 3, v0
	v_cmp_eq_u32_e32 vcc, 0, v20
	v_cndmask_b32_e32 v1, v20, v1, vcc
	v_cndmask_b32_e32 v0, v4, v0, vcc
	v_and_b32_e32 v4, 0x80000000, v23
	v_lshl_add_u32 v1, v1, 23, v4
	v_lshl_or_b32 v0, v0, 21, v1
	v_add_u32_e32 v1, 0x38000000, v0
                                        ; implicit-def: $vgpr4
                                        ; implicit-def: $vgpr22_vgpr23
.LBB6_7825:                             ;   in Loop: Header=BB6_5473 Depth=4
	s_andn2_saveexec_b64 s[34:35], s[34:35]
; %bb.7826:                             ;   in Loop: Header=BB6_5473 Depth=4
	v_cmp_lt_i64_e32 vcc, -1, v[22:23]
	v_mov_b32_e32 v0, 0xff800000
	v_mov_b32_e32 v1, 0x7f800000
	v_cndmask_b32_e32 v0, v0, v1, vcc
	v_cmp_eq_u32_e32 vcc, 0, v4
	v_mov_b32_e32 v1, 0x7f800001
	v_cndmask_b32_e32 v1, v1, v0, vcc
; %bb.7827:                             ;   in Loop: Header=BB6_5473 Depth=4
	s_or_b64 exec, exec, s[34:35]
.LBB6_7828:                             ;   in Loop: Header=BB6_5473 Depth=4
	s_or_b64 exec, exec, s[30:31]
.LBB6_7829:                             ;   in Loop: Header=BB6_5473 Depth=4
	s_or_b64 exec, exec, s[28:29]
	v_add_f32_e32 v0, v2, v1
	v_and_b32_e32 v1, 0x7f800000, v0
	v_mov_b32_e32 v2, v33
	v_cmp_ne_u64_e32 vcc, s[76:77], v[1:2]
	v_and_b32_e32 v32, 0x7fffff, v0
                                        ; implicit-def: $vgpr1
                                        ; kill: killed $vgpr1
	s_and_saveexec_b64 s[28:29], vcc
	s_xor_b64 s[30:31], exec, s[28:29]
	s_cbranch_execz .LBB6_7843
; %bb.7830:                             ;   in Loop: Header=BB6_5473 Depth=4
	v_and_b32_e32 v1, 0x7fffffff, v0
	v_mov_b32_e32 v2, v33
	v_cmp_gt_u64_e32 vcc, s[78:79], v[1:2]
	v_and_b32_sdwa v4, v0, s97 dst_sel:DWORD dst_unused:UNUSED_PAD src0_sel:BYTE_3 src1_sel:DWORD
                                        ; implicit-def: $vgpr1
                                        ; kill: killed $vgpr1
	s_and_saveexec_b64 s[28:29], vcc
	s_xor_b64 s[34:35], exec, s[28:29]
	s_cbranch_execz .LBB6_7840
; %bb.7831:                             ;   in Loop: Header=BB6_5473 Depth=4
	v_mov_b32_e32 v1, 0
	v_cmp_ne_u32_e32 vcc, 0, v0
	buffer_store_dword v1, off, s[0:3], s33 offset:384 ; 4-byte Folded Spill
	s_and_saveexec_b64 s[36:37], vcc
	s_cbranch_execz .LBB6_7839
; %bb.7832:                             ;   in Loop: Header=BB6_5473 Depth=4
	v_bfe_u32 v20, v0, 23, 8
	v_cmp_gt_u32_e64 s[28:29], s47, v20
	v_sub_u32_e32 v0, 0x71, v20
	v_cmp_eq_u32_e32 vcc, 0, v20
	v_cndmask_b32_e64 v0, 0, v0, s[28:29]
	v_mov_b32_e32 v2, 0x70
	v_cndmask_b32_e32 v21, v0, v2, vcc
	v_add_u32_e32 v2, 21, v21
	v_or_b32_e32 v1, 0x800000, v32
	v_lshlrev_b64 v[22:23], v2, -1
	v_cndmask_b32_e32 v0, v1, v32, vcc
	v_mov_b32_e32 v1, v33
	v_add_u32_e32 v2, 20, v21
	v_bfi_b32 v22, v22, 0, v0
	v_lshlrev_b64 v[35:36], v2, 1
	v_lshrrev_b64 v[0:1], v21, v[0:1]
	v_bfi_b32 v23, v23, 0, 0
	v_cmp_eq_u64_e64 s[28:29], v[22:23], v[35:36]
	v_mov_b32_e32 v2, v1
	v_mov_b32_e32 v1, v0
	s_and_saveexec_b64 s[38:39], s[28:29]
; %bb.7833:                             ;   in Loop: Header=BB6_5473 Depth=4
	v_bfe_u32 v1, v0, 21, 1
	v_add_co_u32_e64 v1, s[28:29], v0, v1
	v_add_co_u32_e64 v1, s[28:29], -1, v1
; %bb.7834:                             ;   in Loop: Header=BB6_5473 Depth=4
	s_or_b64 exec, exec, s[38:39]
	v_add_u32_e32 v2, 0xffffff81, v20
	v_mov_b32_e32 v20, 0xffffff82
	v_cndmask_b32_e32 v2, v2, v20, vcc
	v_lshrrev_b32_e32 v20, 23, v0
	v_add3_u32 v21, v21, v2, v20
	v_add_u32_e32 v20, 14, v21
	v_and_b32_e32 v1, 0x1fffff, v1
	v_add_u32_e32 v32, v1, v0
	v_cmp_ne_u32_e32 vcc, 0, v20
                                        ; implicit-def: $vgpr0_vgpr1
                                        ; implicit-def: $vgpr2
	s_and_saveexec_b64 s[28:29], vcc
	s_xor_b64 s[28:29], exec, s[28:29]
; %bb.7835:                             ;   in Loop: Header=BB6_5473 Depth=4
	v_cmp_lt_u64_e32 vcc, s[88:89], v[32:33]
	v_add_u32_e32 v0, 15, v21
	v_cndmask_b32_e32 v2, v20, v0, vcc
	v_cndmask_b32_e64 v0, 0, 1, vcc
	v_lshrrev_b64 v[0:1], v0, v[32:33]
; %bb.7836:                             ;   in Loop: Header=BB6_5473 Depth=4
	s_andn2_saveexec_b64 s[28:29], s[28:29]
; %bb.7837:                             ;   in Loop: Header=BB6_5473 Depth=4
	v_mov_b32_e32 v0, v32
	v_mov_b32_e32 v1, v33
	v_bfe_u32 v2, v32, 23, 1
; %bb.7838:                             ;   in Loop: Header=BB6_5473 Depth=4
	s_or_b64 exec, exec, s[28:29]
	v_lshrrev_b64 v[0:1], 21, v[0:1]
	v_cmp_gt_i32_e32 vcc, 32, v2
	v_cndmask_b32_e32 v1, 0, v1, vcc
	v_cndmask_b32_e32 v0, 3, v0, vcc
	v_cmp_eq_u64_e64 s[28:29], 0, v[0:1]
	v_min_i32_e32 v1, 31, v2
	v_lshlrev_b32_e32 v1, 2, v1
	v_cmp_eq_u32_e32 vcc, 0, v2
	v_and_b32_e32 v1, 0xfc, v1
	v_and_or_b32 v0, v0, 3, v1
	s_and_b64 s[28:29], vcc, s[28:29]
	v_cndmask_b32_e64 v0, v0, 0, s[28:29]
	v_or_b32_e32 v0, v0, v4
	buffer_store_dword v0, off, s[0:3], s33 offset:384 ; 4-byte Folded Spill
.LBB6_7839:                             ;   in Loop: Header=BB6_5473 Depth=4
	s_or_b64 exec, exec, s[36:37]
                                        ; implicit-def: $vgpr4
.LBB6_7840:                             ;   in Loop: Header=BB6_5473 Depth=4
	s_andn2_saveexec_b64 s[28:29], s[34:35]
	s_cbranch_execz .LBB6_7842
; %bb.7841:                             ;   in Loop: Header=BB6_5473 Depth=4
	v_or_b32_e32 v0, 0x7b, v4
	buffer_store_dword v0, off, s[0:3], s33 offset:384 ; 4-byte Folded Spill
.LBB6_7842:                             ;   in Loop: Header=BB6_5473 Depth=4
	s_or_b64 exec, exec, s[28:29]
                                        ; implicit-def: $vgpr0
.LBB6_7843:                             ;   in Loop: Header=BB6_5473 Depth=4
	s_andn2_saveexec_b64 s[28:29], s[30:31]
	s_cbranch_execz .LBB6_7849
; %bb.7844:                             ;   in Loop: Header=BB6_5473 Depth=4
	v_cmp_ne_u64_e32 vcc, 0, v[32:33]
                                        ; implicit-def: $vgpr1
                                        ; kill: killed $vgpr1
	s_and_saveexec_b64 s[62:63], vcc
	s_xor_b64 vcc, exec, s[62:63]
	s_cbranch_execz .LBB6_7846
; %bb.7845:                             ;   in Loop: Header=BB6_5473 Depth=4
	v_or_b32_sdwa v0, v0, s44 dst_sel:DWORD dst_unused:UNUSED_PAD src0_sel:BYTE_3 src1_sel:DWORD
	buffer_store_dword v0, off, s[0:3], s33 offset:384 ; 4-byte Folded Spill
                                        ; implicit-def: $vgpr0
.LBB6_7846:                             ;   in Loop: Header=BB6_5473 Depth=4
	s_andn2_saveexec_b64 s[30:31], vcc
	s_cbranch_execz .LBB6_7848
; %bb.7847:                             ;   in Loop: Header=BB6_5473 Depth=4
	v_cmp_lt_i32_e32 vcc, -1, v0
	v_bfrev_b32_e32 v0, 0.5
	v_mov_b32_e32 v1, 0x7c
	v_cndmask_b32_e32 v0, v0, v1, vcc
	buffer_store_dword v0, off, s[0:3], s33 offset:384 ; 4-byte Folded Spill
.LBB6_7848:                             ;   in Loop: Header=BB6_5473 Depth=4
	s_or_b64 exec, exec, s[30:31]
.LBB6_7849:                             ;   in Loop: Header=BB6_5473 Depth=4
	s_or_b64 exec, exec, s[28:29]
	buffer_load_dword v0, off, s[0:3], s33 offset:352 ; 4-byte Folded Reload
	buffer_load_dword v1, off, s[0:3], s33 offset:372 ; 4-byte Folded Reload
	v_cmp_ne_u32_e32 vcc, 0, v53
	s_waitcnt vmcnt(1)
	v_lshl_or_b32 v4, v0, 8, v53
	buffer_load_dword v0, off, s[0:3], s33 offset:364 ; 4-byte Folded Reload
	s_waitcnt vmcnt(1)
	v_lshlrev_b32_e32 v1, 24, v1
	s_waitcnt vmcnt(0)
	v_lshlrev_b32_e32 v0, 16, v0
	v_or3_b32 v32, v0, v1, v4
	v_mov_b32_e32 v0, 0
	v_mov_b32_e32 v1, 0
	s_and_saveexec_b64 s[30:31], vcc
	s_cbranch_execz .LBB6_7857
; %bb.7850:                             ;   in Loop: Header=BB6_5473 Depth=4
	v_cmp_ne_u32_e32 vcc, s97, v53
	v_bfrev_b32_e32 v1, 1
	s_and_saveexec_b64 s[34:35], vcc
	s_cbranch_execz .LBB6_7856
; %bb.7851:                             ;   in Loop: Header=BB6_5473 Depth=4
	v_and_b32_e32 v1, 0x7c, v53
	v_and_b32_e32 v2, 3, v53
	v_cmp_ne_u32_e32 vcc, s86, v1
                                        ; implicit-def: $vgpr1
	s_and_saveexec_b64 s[28:29], vcc
	s_xor_b64 s[28:29], exec, s[28:29]
	s_cbranch_execz .LBB6_7853
; %bb.7852:                             ;   in Loop: Header=BB6_5473 Depth=4
	v_ffbh_u32_e32 v6, v2
	v_min_u32_e32 v6, 32, v6
	v_bfe_u32 v1, v53, 2, 5
	v_subrev_u32_e32 v20, 29, v6
	v_lshlrev_b64 v[20:21], v20, v[32:33]
	v_sub_u32_e32 v6, 30, v6
	v_cmp_eq_u32_e32 vcc, 0, v1
	v_cndmask_b32_e32 v1, v1, v6, vcc
	v_lshlrev_b32_e32 v6, 24, v53
	v_and_b32_e32 v20, 3, v20
	v_and_b32_e32 v6, 0x80000000, v6
	v_cndmask_b32_e32 v2, v2, v20, vcc
	v_lshl_add_u32 v1, v1, 23, v6
	v_lshl_or_b32 v1, v2, 21, v1
	v_add_u32_e32 v1, 0x38000000, v1
                                        ; implicit-def: $vgpr2
                                        ; implicit-def: $vgpr53
.LBB6_7853:                             ;   in Loop: Header=BB6_5473 Depth=4
	s_andn2_saveexec_b64 s[36:37], s[28:29]
; %bb.7854:                             ;   in Loop: Header=BB6_5473 Depth=4
	v_and_b32_e32 v1, 0x80, v53
	v_cmp_eq_u32_e32 vcc, 0, v2
	v_cmp_eq_u32_e64 s[28:29], 0, v1
	v_mov_b32_e32 v1, 0xff800000
	v_mov_b32_e32 v2, 0x7f800000
	v_cndmask_b32_e64 v1, v1, v2, s[28:29]
	v_mov_b32_e32 v2, 0x7f800001
	v_cndmask_b32_e32 v1, v2, v1, vcc
; %bb.7855:                             ;   in Loop: Header=BB6_5473 Depth=4
	s_or_b64 exec, exec, s[36:37]
.LBB6_7856:                             ;   in Loop: Header=BB6_5473 Depth=4
	s_or_b64 exec, exec, s[34:35]
.LBB6_7857:                             ;   in Loop: Header=BB6_5473 Depth=4
	s_or_b64 exec, exec, s[30:31]
	v_cmp_ne_u16_sdwa s[62:63], v16, v33 src0_sel:BYTE_0 src1_sel:DWORD
	s_and_saveexec_b64 s[28:29], s[62:63]
	s_cbranch_execz .LBB6_7865
; %bb.7858:                             ;   in Loop: Header=BB6_5473 Depth=4
	v_cmp_ne_u16_sdwa s[62:63], sext(v16), s46 src0_sel:BYTE_0 src1_sel:DWORD
	v_bfrev_b32_e32 v0, 1
	s_and_saveexec_b64 s[30:31], s[62:63]
	s_cbranch_execz .LBB6_7864
; %bb.7859:                             ;   in Loop: Header=BB6_5473 Depth=4
	v_and_b32_e32 v0, 0x7c, v16
	v_and_b32_e32 v2, 3, v16
	v_cmp_ne_u32_e32 vcc, s86, v0
                                        ; implicit-def: $vgpr0
	s_and_saveexec_b64 s[62:63], vcc
	s_xor_b64 s[34:35], exec, s[62:63]
	s_cbranch_execz .LBB6_7861
; %bb.7860:                             ;   in Loop: Header=BB6_5473 Depth=4
	v_ffbh_u32_e32 v6, v2
	v_min_u32_e32 v6, 32, v6
	v_bfe_u32 v0, v16, 2, 5
	v_subrev_u32_e32 v20, 29, v6
	v_lshlrev_b64 v[20:21], v20, v[16:17]
	v_sub_u32_e32 v6, 30, v6
	v_cmp_eq_u32_e32 vcc, 0, v0
	v_cndmask_b32_e32 v0, v0, v6, vcc
	v_lshlrev_b32_e32 v6, 24, v16
	v_and_b32_e32 v20, 3, v20
	v_and_b32_e32 v6, 0x80000000, v6
	v_cndmask_b32_e32 v2, v2, v20, vcc
	v_lshl_add_u32 v0, v0, 23, v6
	v_lshl_or_b32 v0, v2, 21, v0
	v_add_u32_e32 v0, 0x38000000, v0
                                        ; implicit-def: $vgpr2
.LBB6_7861:                             ;   in Loop: Header=BB6_5473 Depth=4
	s_andn2_saveexec_b64 s[34:35], s[34:35]
; %bb.7862:                             ;   in Loop: Header=BB6_5473 Depth=4
	v_mov_b32_e32 v0, -1
	v_cmp_gt_i16_sdwa vcc, sext(v16), v0 src0_sel:BYTE_0 src1_sel:DWORD
	v_mov_b32_e32 v0, 0xff800000
	v_mov_b32_e32 v6, 0x7f800000
	v_cndmask_b32_e32 v0, v0, v6, vcc
	v_cmp_eq_u32_e32 vcc, 0, v2
	v_mov_b32_e32 v2, 0x7f800001
	v_cndmask_b32_e32 v0, v2, v0, vcc
; %bb.7863:                             ;   in Loop: Header=BB6_5473 Depth=4
	s_or_b64 exec, exec, s[34:35]
.LBB6_7864:                             ;   in Loop: Header=BB6_5473 Depth=4
	s_or_b64 exec, exec, s[30:31]
.LBB6_7865:                             ;   in Loop: Header=BB6_5473 Depth=4
	s_or_b64 exec, exec, s[28:29]
	v_add_f32_e32 v2, v1, v0
	v_and_b32_e32 v20, 0x7f800000, v2
	v_mov_b32_e32 v21, v33
	v_cmp_ne_u64_e32 vcc, s[76:77], v[20:21]
	v_and_b32_e32 v0, 0x7fffff, v2
	v_mov_b32_e32 v1, v33
                                        ; implicit-def: $vgpr48
	s_and_saveexec_b64 s[28:29], vcc
	s_xor_b64 s[30:31], exec, s[28:29]
	s_cbranch_execz .LBB6_7879
; %bb.7866:                             ;   in Loop: Header=BB6_5473 Depth=4
	v_and_b32_e32 v20, 0x7fffffff, v2
	v_mov_b32_e32 v21, v33
	v_cmp_gt_u64_e32 vcc, s[78:79], v[20:21]
	v_and_b32_sdwa v20, v2, s97 dst_sel:DWORD dst_unused:UNUSED_PAD src0_sel:BYTE_3 src1_sel:DWORD
                                        ; implicit-def: $vgpr48
	s_and_saveexec_b64 s[28:29], vcc
	s_xor_b64 s[34:35], exec, s[28:29]
	s_cbranch_execz .LBB6_7876
; %bb.7867:                             ;   in Loop: Header=BB6_5473 Depth=4
	v_mov_b32_e32 v48, 0
	v_cmp_ne_u32_e32 vcc, 0, v2
	s_and_saveexec_b64 s[36:37], vcc
	s_cbranch_execz .LBB6_7875
; %bb.7868:                             ;   in Loop: Header=BB6_5473 Depth=4
	v_bfe_u32 v6, v2, 23, 8
	v_cmp_gt_u32_e64 s[28:29], s47, v6
	v_sub_u32_e32 v2, 0x71, v6
	v_cmp_eq_u32_e32 vcc, 0, v6
	v_cndmask_b32_e64 v2, 0, v2, s[28:29]
	v_mov_b32_e32 v21, 0x70
	v_cndmask_b32_e32 v21, v2, v21, vcc
	v_or_b32_e32 v22, 0x800000, v0
	v_add_u32_e32 v2, 21, v21
	v_cndmask_b32_e32 v0, v22, v0, vcc
	v_lshlrev_b64 v[22:23], v2, -1
	v_add_u32_e32 v2, 20, v21
	v_bfi_b32 v22, v22, 0, v0
	v_lshlrev_b64 v[35:36], v2, 1
	v_lshrrev_b64 v[0:1], v21, v[0:1]
	v_bfi_b32 v23, v23, 0, 0
	v_cmp_eq_u64_e64 s[28:29], v[22:23], v[35:36]
	v_mov_b32_e32 v2, v1
	v_mov_b32_e32 v1, v0
	s_and_saveexec_b64 s[38:39], s[28:29]
; %bb.7869:                             ;   in Loop: Header=BB6_5473 Depth=4
	v_bfe_u32 v1, v0, 21, 1
	v_add_co_u32_e64 v1, s[28:29], v0, v1
	v_add_co_u32_e64 v1, s[28:29], -1, v1
; %bb.7870:                             ;   in Loop: Header=BB6_5473 Depth=4
	s_or_b64 exec, exec, s[38:39]
	v_add_u32_e32 v2, 0xffffff81, v6
	v_mov_b32_e32 v6, 0xffffff82
	v_cndmask_b32_e32 v2, v2, v6, vcc
	v_lshrrev_b32_e32 v6, 23, v0
	v_add3_u32 v21, v21, v2, v6
	v_add_u32_e32 v6, 14, v21
	v_and_b32_e32 v1, 0x1fffff, v1
	v_add_u32_e32 v0, v1, v0
	v_mov_b32_e32 v1, v33
	v_cmp_ne_u32_e32 vcc, 0, v6
                                        ; implicit-def: $vgpr2
	s_and_saveexec_b64 s[28:29], vcc
	s_xor_b64 s[28:29], exec, s[28:29]
; %bb.7871:                             ;   in Loop: Header=BB6_5473 Depth=4
	v_cmp_lt_u64_e32 vcc, s[88:89], v[0:1]
	v_add_u32_e32 v2, 15, v21
	v_cndmask_b32_e32 v2, v6, v2, vcc
	v_cndmask_b32_e64 v6, 0, 1, vcc
	v_lshrrev_b64 v[0:1], v6, v[0:1]
; %bb.7872:                             ;   in Loop: Header=BB6_5473 Depth=4
	s_andn2_saveexec_b64 s[28:29], s[28:29]
; %bb.7873:                             ;   in Loop: Header=BB6_5473 Depth=4
	v_bfe_u32 v2, v0, 23, 1
; %bb.7874:                             ;   in Loop: Header=BB6_5473 Depth=4
	s_or_b64 exec, exec, s[28:29]
	v_lshrrev_b64 v[0:1], 21, v[0:1]
	v_cmp_gt_i32_e32 vcc, 32, v2
	v_cndmask_b32_e32 v1, 0, v1, vcc
	v_cndmask_b32_e32 v0, 3, v0, vcc
	v_cmp_eq_u64_e64 s[28:29], 0, v[0:1]
	v_min_i32_e32 v1, 31, v2
	v_lshlrev_b32_e32 v1, 2, v1
	v_cmp_eq_u32_e32 vcc, 0, v2
	v_and_b32_e32 v1, 0xfc, v1
	v_and_or_b32 v0, v0, 3, v1
	s_and_b64 s[28:29], vcc, s[28:29]
	v_cndmask_b32_e64 v0, v0, 0, s[28:29]
	v_or_b32_e32 v48, v0, v20
.LBB6_7875:                             ;   in Loop: Header=BB6_5473 Depth=4
	s_or_b64 exec, exec, s[36:37]
                                        ; implicit-def: $vgpr20
.LBB6_7876:                             ;   in Loop: Header=BB6_5473 Depth=4
	s_andn2_saveexec_b64 s[28:29], s[34:35]
; %bb.7877:                             ;   in Loop: Header=BB6_5473 Depth=4
	v_or_b32_e32 v48, 0x7b, v20
; %bb.7878:                             ;   in Loop: Header=BB6_5473 Depth=4
	s_or_b64 exec, exec, s[28:29]
                                        ; implicit-def: $vgpr2
                                        ; implicit-def: $vgpr0_vgpr1
.LBB6_7879:                             ;   in Loop: Header=BB6_5473 Depth=4
	s_andn2_saveexec_b64 s[28:29], s[30:31]
	s_cbranch_execz .LBB6_7885
; %bb.7880:                             ;   in Loop: Header=BB6_5473 Depth=4
	v_cmp_ne_u64_e32 vcc, 0, v[0:1]
                                        ; implicit-def: $vgpr48
	s_and_saveexec_b64 s[62:63], vcc
	s_xor_b64 vcc, exec, s[62:63]
; %bb.7881:                             ;   in Loop: Header=BB6_5473 Depth=4
	v_or_b32_sdwa v48, v2, s44 dst_sel:DWORD dst_unused:UNUSED_PAD src0_sel:BYTE_3 src1_sel:DWORD
                                        ; implicit-def: $vgpr2
; %bb.7882:                             ;   in Loop: Header=BB6_5473 Depth=4
	s_andn2_saveexec_b64 s[30:31], vcc
; %bb.7883:                             ;   in Loop: Header=BB6_5473 Depth=4
	v_cmp_lt_i32_e32 vcc, -1, v2
	v_bfrev_b32_e32 v0, 0.5
	v_mov_b32_e32 v1, 0x7c
	v_cndmask_b32_e32 v48, v0, v1, vcc
; %bb.7884:                             ;   in Loop: Header=BB6_5473 Depth=4
	s_or_b64 exec, exec, s[30:31]
.LBB6_7885:                             ;   in Loop: Header=BB6_5473 Depth=4
	s_or_b64 exec, exec, s[28:29]
	v_lshrrev_b16_e32 v0, 8, v4
	v_cmp_ne_u16_e32 vcc, 0, v0
	v_mov_b32_e32 v2, 0
	v_mov_b32_e32 v20, 0
	s_and_saveexec_b64 s[28:29], vcc
	s_cbranch_execz .LBB6_7893
; %bb.7886:                             ;   in Loop: Header=BB6_5473 Depth=4
	v_cmp_ne_u16_e32 vcc, s97, v0
	v_bfrev_b32_e32 v20, 1
	s_and_saveexec_b64 s[30:31], vcc
	s_cbranch_execz .LBB6_7892
; %bb.7887:                             ;   in Loop: Header=BB6_5473 Depth=4
	v_and_b32_e32 v1, 0x7c, v0
	v_and_b32_e32 v6, 3, v0
	v_cmp_ne_u32_e32 vcc, s86, v1
                                        ; implicit-def: $vgpr20
	s_and_saveexec_b64 s[62:63], vcc
	s_xor_b64 s[34:35], exec, s[62:63]
	s_cbranch_execz .LBB6_7889
; %bb.7888:                             ;   in Loop: Header=BB6_5473 Depth=4
	v_ffbh_u32_e32 v21, v6
	v_min_u32_e32 v21, 32, v21
	v_mov_b32_e32 v1, v33
	v_subrev_u32_e32 v22, 29, v21
	v_bfe_u32 v20, v0, 2, 5
	v_lshlrev_b64 v[0:1], v22, v[0:1]
	v_sub_u32_e32 v1, 30, v21
	v_cmp_eq_u32_e32 vcc, 0, v20
	v_lshlrev_b32_e32 v4, 16, v4
	v_and_b32_e32 v0, 3, v0
	v_cndmask_b32_e32 v1, v20, v1, vcc
	v_and_b32_e32 v4, 0x80000000, v4
	v_cndmask_b32_e32 v0, v6, v0, vcc
	v_lshl_add_u32 v1, v1, 23, v4
	v_lshl_or_b32 v0, v0, 21, v1
	v_add_u32_e32 v20, 0x38000000, v0
                                        ; implicit-def: $vgpr6
                                        ; implicit-def: $vgpr4
.LBB6_7889:                             ;   in Loop: Header=BB6_5473 Depth=4
	s_andn2_saveexec_b64 s[34:35], s[34:35]
; %bb.7890:                             ;   in Loop: Header=BB6_5473 Depth=4
	v_cmp_lt_i16_e32 vcc, -1, v4
	v_mov_b32_e32 v0, 0xff800000
	v_mov_b32_e32 v1, 0x7f800000
	v_cndmask_b32_e32 v0, v0, v1, vcc
	v_cmp_eq_u32_e32 vcc, 0, v6
	v_mov_b32_e32 v1, 0x7f800001
	v_cndmask_b32_e32 v20, v1, v0, vcc
; %bb.7891:                             ;   in Loop: Header=BB6_5473 Depth=4
	s_or_b64 exec, exec, s[34:35]
.LBB6_7892:                             ;   in Loop: Header=BB6_5473 Depth=4
	s_or_b64 exec, exec, s[30:31]
.LBB6_7893:                             ;   in Loop: Header=BB6_5473 Depth=4
	s_or_b64 exec, exec, s[28:29]
	v_lshrrev_b16_e32 v0, 8, v16
	v_cmp_ne_u16_e32 vcc, 0, v0
	s_and_saveexec_b64 s[28:29], vcc
	s_cbranch_execz .LBB6_7901
; %bb.7894:                             ;   in Loop: Header=BB6_5473 Depth=4
	v_cmp_ne_u16_e32 vcc, s97, v0
	v_bfrev_b32_e32 v2, 1
	s_and_saveexec_b64 s[30:31], vcc
	s_cbranch_execz .LBB6_7900
; %bb.7895:                             ;   in Loop: Header=BB6_5473 Depth=4
	v_and_b32_e32 v1, 0x7c, v0
	v_and_b32_e32 v4, 3, v0
	v_cmp_ne_u32_e32 vcc, s86, v1
                                        ; implicit-def: $vgpr2
	s_and_saveexec_b64 s[62:63], vcc
	s_xor_b64 s[34:35], exec, s[62:63]
	s_cbranch_execz .LBB6_7897
; %bb.7896:                             ;   in Loop: Header=BB6_5473 Depth=4
	v_ffbh_u32_e32 v6, v4
	v_min_u32_e32 v6, 32, v6
	v_mov_b32_e32 v1, v33
	v_subrev_u32_e32 v21, 29, v6
	v_bfe_u32 v2, v0, 2, 5
	v_lshlrev_b64 v[0:1], v21, v[0:1]
	v_sub_u32_e32 v1, 30, v6
	v_cmp_eq_u32_e32 vcc, 0, v2
	v_cndmask_b32_e32 v1, v2, v1, vcc
	v_lshlrev_b32_e32 v2, 16, v16
	v_and_b32_e32 v0, 3, v0
	v_and_b32_e32 v2, 0x80000000, v2
	v_cndmask_b32_e32 v0, v4, v0, vcc
	v_lshl_add_u32 v1, v1, 23, v2
	v_lshl_or_b32 v0, v0, 21, v1
	v_add_u32_e32 v2, 0x38000000, v0
                                        ; implicit-def: $vgpr4
.LBB6_7897:                             ;   in Loop: Header=BB6_5473 Depth=4
	s_andn2_saveexec_b64 s[34:35], s[34:35]
; %bb.7898:                             ;   in Loop: Header=BB6_5473 Depth=4
	v_cmp_lt_i16_e32 vcc, -1, v16
	v_mov_b32_e32 v0, 0xff800000
	v_mov_b32_e32 v1, 0x7f800000
	v_cndmask_b32_e32 v0, v0, v1, vcc
	v_cmp_eq_u32_e32 vcc, 0, v4
	v_mov_b32_e32 v1, 0x7f800001
	v_cndmask_b32_e32 v2, v1, v0, vcc
; %bb.7899:                             ;   in Loop: Header=BB6_5473 Depth=4
	s_or_b64 exec, exec, s[34:35]
.LBB6_7900:                             ;   in Loop: Header=BB6_5473 Depth=4
	s_or_b64 exec, exec, s[30:31]
.LBB6_7901:                             ;   in Loop: Header=BB6_5473 Depth=4
	s_or_b64 exec, exec, s[28:29]
	v_add_f32_e32 v2, v20, v2
	v_and_b32_e32 v20, 0x7f800000, v2
	v_mov_b32_e32 v21, v33
	v_cmp_ne_u64_e32 vcc, s[76:77], v[20:21]
	v_and_b32_e32 v0, 0x7fffff, v2
	v_mov_b32_e32 v1, v33
                                        ; implicit-def: $vgpr49
	s_and_saveexec_b64 s[28:29], vcc
	s_xor_b64 s[30:31], exec, s[28:29]
	s_cbranch_execz .LBB6_7915
; %bb.7902:                             ;   in Loop: Header=BB6_5473 Depth=4
	v_and_b32_e32 v20, 0x7fffffff, v2
	v_mov_b32_e32 v21, v33
	v_cmp_gt_u64_e32 vcc, s[78:79], v[20:21]
	v_and_b32_sdwa v4, v2, s97 dst_sel:DWORD dst_unused:UNUSED_PAD src0_sel:BYTE_3 src1_sel:DWORD
                                        ; implicit-def: $vgpr49
	s_and_saveexec_b64 s[28:29], vcc
	s_xor_b64 s[34:35], exec, s[28:29]
	s_cbranch_execz .LBB6_7912
; %bb.7903:                             ;   in Loop: Header=BB6_5473 Depth=4
	v_mov_b32_e32 v49, 0
	v_cmp_ne_u32_e32 vcc, 0, v2
	s_and_saveexec_b64 s[36:37], vcc
	s_cbranch_execz .LBB6_7911
; %bb.7904:                             ;   in Loop: Header=BB6_5473 Depth=4
	v_bfe_u32 v20, v2, 23, 8
	v_cmp_gt_u32_e64 s[28:29], s47, v20
	v_sub_u32_e32 v2, 0x71, v20
	v_cmp_eq_u32_e32 vcc, 0, v20
	v_cndmask_b32_e64 v2, 0, v2, s[28:29]
	v_mov_b32_e32 v21, 0x70
	v_cndmask_b32_e32 v21, v2, v21, vcc
	v_add_u32_e32 v2, 21, v21
	v_or_b32_e32 v6, 0x800000, v0
	v_lshlrev_b64 v[22:23], v2, -1
	v_cndmask_b32_e32 v0, v6, v0, vcc
	v_add_u32_e32 v2, 20, v21
	v_bfi_b32 v22, v22, 0, v0
	v_lshlrev_b64 v[35:36], v2, 1
	v_lshrrev_b64 v[0:1], v21, v[0:1]
	v_bfi_b32 v23, v23, 0, 0
	v_cmp_eq_u64_e64 s[28:29], v[22:23], v[35:36]
	v_mov_b32_e32 v2, v1
	v_mov_b32_e32 v1, v0
	s_and_saveexec_b64 s[38:39], s[28:29]
; %bb.7905:                             ;   in Loop: Header=BB6_5473 Depth=4
	v_bfe_u32 v1, v0, 21, 1
	v_add_co_u32_e64 v1, s[28:29], v0, v1
	v_add_co_u32_e64 v1, s[28:29], -1, v1
; %bb.7906:                             ;   in Loop: Header=BB6_5473 Depth=4
	s_or_b64 exec, exec, s[38:39]
	v_add_u32_e32 v2, 0xffffff81, v20
	v_mov_b32_e32 v6, 0xffffff82
	v_cndmask_b32_e32 v2, v2, v6, vcc
	v_lshrrev_b32_e32 v6, 23, v0
	v_add3_u32 v20, v21, v2, v6
	v_add_u32_e32 v6, 14, v20
	v_and_b32_e32 v1, 0x1fffff, v1
	v_add_u32_e32 v0, v1, v0
	v_mov_b32_e32 v1, v33
	v_cmp_ne_u32_e32 vcc, 0, v6
                                        ; implicit-def: $vgpr2
	s_and_saveexec_b64 s[28:29], vcc
	s_xor_b64 s[28:29], exec, s[28:29]
; %bb.7907:                             ;   in Loop: Header=BB6_5473 Depth=4
	v_cmp_lt_u64_e32 vcc, s[88:89], v[0:1]
	v_add_u32_e32 v2, 15, v20
	v_cndmask_b32_e32 v2, v6, v2, vcc
	v_cndmask_b32_e64 v6, 0, 1, vcc
	v_lshrrev_b64 v[0:1], v6, v[0:1]
; %bb.7908:                             ;   in Loop: Header=BB6_5473 Depth=4
	s_andn2_saveexec_b64 s[28:29], s[28:29]
; %bb.7909:                             ;   in Loop: Header=BB6_5473 Depth=4
	v_bfe_u32 v2, v0, 23, 1
; %bb.7910:                             ;   in Loop: Header=BB6_5473 Depth=4
	s_or_b64 exec, exec, s[28:29]
	v_lshrrev_b64 v[0:1], 21, v[0:1]
	v_cmp_gt_i32_e32 vcc, 32, v2
	v_cndmask_b32_e32 v1, 0, v1, vcc
	v_cndmask_b32_e32 v0, 3, v0, vcc
	v_cmp_eq_u64_e64 s[28:29], 0, v[0:1]
	v_min_i32_e32 v1, 31, v2
	v_lshlrev_b32_e32 v1, 2, v1
	v_cmp_eq_u32_e32 vcc, 0, v2
	v_and_b32_e32 v1, 0xfc, v1
	v_and_or_b32 v0, v0, 3, v1
	s_and_b64 s[28:29], vcc, s[28:29]
	v_cndmask_b32_e64 v0, v0, 0, s[28:29]
	v_or_b32_e32 v49, v0, v4
.LBB6_7911:                             ;   in Loop: Header=BB6_5473 Depth=4
	s_or_b64 exec, exec, s[36:37]
                                        ; implicit-def: $vgpr4
.LBB6_7912:                             ;   in Loop: Header=BB6_5473 Depth=4
	s_andn2_saveexec_b64 s[28:29], s[34:35]
; %bb.7913:                             ;   in Loop: Header=BB6_5473 Depth=4
	v_or_b32_e32 v49, 0x7b, v4
; %bb.7914:                             ;   in Loop: Header=BB6_5473 Depth=4
	s_or_b64 exec, exec, s[28:29]
                                        ; implicit-def: $vgpr2
                                        ; implicit-def: $vgpr0_vgpr1
.LBB6_7915:                             ;   in Loop: Header=BB6_5473 Depth=4
	s_andn2_saveexec_b64 s[28:29], s[30:31]
	s_cbranch_execz .LBB6_7921
; %bb.7916:                             ;   in Loop: Header=BB6_5473 Depth=4
	v_cmp_ne_u64_e32 vcc, 0, v[0:1]
                                        ; implicit-def: $vgpr49
	s_and_saveexec_b64 s[62:63], vcc
	s_xor_b64 vcc, exec, s[62:63]
; %bb.7917:                             ;   in Loop: Header=BB6_5473 Depth=4
	v_or_b32_sdwa v49, v2, s44 dst_sel:DWORD dst_unused:UNUSED_PAD src0_sel:BYTE_3 src1_sel:DWORD
                                        ; implicit-def: $vgpr2
; %bb.7918:                             ;   in Loop: Header=BB6_5473 Depth=4
	s_andn2_saveexec_b64 s[30:31], vcc
; %bb.7919:                             ;   in Loop: Header=BB6_5473 Depth=4
	v_cmp_lt_i32_e32 vcc, -1, v2
	v_bfrev_b32_e32 v0, 0.5
	v_mov_b32_e32 v1, 0x7c
	v_cndmask_b32_e32 v49, v0, v1, vcc
; %bb.7920:                             ;   in Loop: Header=BB6_5473 Depth=4
	s_or_b64 exec, exec, s[30:31]
.LBB6_7921:                             ;   in Loop: Header=BB6_5473 Depth=4
	s_or_b64 exec, exec, s[28:29]
	v_and_b32_sdwa v4, v32, s96 dst_sel:DWORD dst_unused:UNUSED_PAD src0_sel:WORD_1 src1_sel:DWORD
	v_lshrrev_b32_e32 v0, 16, v32
	v_cmp_ne_u16_e32 vcc, 0, v4
	v_mov_b32_e32 v1, 0
	v_mov_b32_e32 v2, 0
	s_and_saveexec_b64 s[28:29], vcc
	s_cbranch_execz .LBB6_7929
; %bb.7922:                             ;   in Loop: Header=BB6_5473 Depth=4
	v_cmp_ne_u16_e32 vcc, s97, v4
	v_bfrev_b32_e32 v2, 1
	s_and_saveexec_b64 s[30:31], vcc
	s_cbranch_execz .LBB6_7928
; %bb.7923:                             ;   in Loop: Header=BB6_5473 Depth=4
	v_and_b32_e32 v2, 0x7c0000, v32
	v_bfe_u32 v4, v32, 16, 2
	v_cmp_ne_u32_e32 vcc, s45, v2
                                        ; implicit-def: $vgpr2
	s_and_saveexec_b64 s[62:63], vcc
	s_xor_b64 s[34:35], exec, s[62:63]
	s_cbranch_execz .LBB6_7925
; %bb.7924:                             ;   in Loop: Header=BB6_5473 Depth=4
	v_ffbh_u32_e32 v6, v4
	v_min_u32_e32 v6, 32, v6
	v_subrev_u32_e32 v20, 29, v6
	v_lshlrev_b64 v[20:21], v20, v[0:1]
	v_bfe_u32 v2, v32, 18, 5
	v_sub_u32_e32 v0, 30, v6
	v_and_b32_e32 v6, 3, v20
	v_cmp_eq_u32_e32 vcc, 0, v2
	v_cndmask_b32_e32 v0, v2, v0, vcc
	v_cndmask_b32_e32 v2, v4, v6, vcc
	v_lshlrev_b32_e32 v4, 8, v32
	v_and_b32_e32 v4, 0x80000000, v4
	v_lshl_add_u32 v0, v0, 23, v4
	v_lshl_or_b32 v0, v2, 21, v0
	v_add_u32_e32 v2, 0x38000000, v0
                                        ; implicit-def: $vgpr4
                                        ; implicit-def: $vgpr0
.LBB6_7925:                             ;   in Loop: Header=BB6_5473 Depth=4
	s_andn2_saveexec_b64 s[34:35], s[34:35]
; %bb.7926:                             ;   in Loop: Header=BB6_5473 Depth=4
	v_mov_b32_e32 v2, -1
	v_cmp_gt_i16_sdwa vcc, sext(v0), v2 src0_sel:BYTE_0 src1_sel:DWORD
	v_mov_b32_e32 v0, 0xff800000
	v_mov_b32_e32 v2, 0x7f800000
	v_cndmask_b32_e32 v0, v0, v2, vcc
	v_cmp_eq_u32_e32 vcc, 0, v4
	v_mov_b32_e32 v2, 0x7f800001
	v_cndmask_b32_e32 v2, v2, v0, vcc
; %bb.7927:                             ;   in Loop: Header=BB6_5473 Depth=4
	s_or_b64 exec, exec, s[34:35]
.LBB6_7928:                             ;   in Loop: Header=BB6_5473 Depth=4
	s_or_b64 exec, exec, s[30:31]
.LBB6_7929:                             ;   in Loop: Header=BB6_5473 Depth=4
	s_or_b64 exec, exec, s[28:29]
	v_lshrrev_b32_e32 v0, 16, v16
	v_cmp_ne_u16_sdwa s[62:63], v0, v33 src0_sel:BYTE_0 src1_sel:DWORD
	s_and_saveexec_b64 s[28:29], s[62:63]
	s_cbranch_execz .LBB6_7937
; %bb.7930:                             ;   in Loop: Header=BB6_5473 Depth=4
	v_cmp_ne_u16_sdwa s[62:63], v0, s97 src0_sel:BYTE_0 src1_sel:DWORD
	v_bfrev_b32_e32 v1, 1
	s_and_saveexec_b64 s[30:31], s[62:63]
	s_cbranch_execz .LBB6_7936
; %bb.7931:                             ;   in Loop: Header=BB6_5473 Depth=4
	v_and_b32_e32 v1, 0x7c0000, v16
	v_bfe_u32 v4, v16, 16, 2
	v_cmp_ne_u32_e32 vcc, s45, v1
                                        ; implicit-def: $vgpr1
	s_and_saveexec_b64 s[62:63], vcc
	s_xor_b64 s[34:35], exec, s[62:63]
	s_cbranch_execz .LBB6_7933
; %bb.7932:                             ;   in Loop: Header=BB6_5473 Depth=4
	v_ffbh_u32_e32 v1, v4
	v_min_u32_e32 v20, 32, v1
	v_subrev_u32_e32 v1, 29, v20
	v_lshlrev_b64 v[0:1], v1, v[0:1]
	v_bfe_u32 v6, v16, 18, 5
	v_and_b32_e32 v0, 3, v0
	v_cmp_eq_u32_e32 vcc, 0, v6
	v_sub_u32_e32 v1, 30, v20
	v_cndmask_b32_e32 v0, v4, v0, vcc
	v_lshlrev_b32_e32 v4, 8, v16
	v_cndmask_b32_e32 v1, v6, v1, vcc
	v_and_b32_e32 v4, 0x80000000, v4
	v_lshl_add_u32 v1, v1, 23, v4
	v_lshl_or_b32 v0, v0, 21, v1
	v_add_u32_e32 v1, 0x38000000, v0
                                        ; implicit-def: $vgpr4
                                        ; implicit-def: $vgpr0
.LBB6_7933:                             ;   in Loop: Header=BB6_5473 Depth=4
	s_andn2_saveexec_b64 s[34:35], s[34:35]
; %bb.7934:                             ;   in Loop: Header=BB6_5473 Depth=4
	v_mov_b32_e32 v1, -1
	v_cmp_gt_i16_sdwa vcc, sext(v0), v1 src0_sel:BYTE_0 src1_sel:DWORD
	v_mov_b32_e32 v0, 0xff800000
	v_mov_b32_e32 v1, 0x7f800000
	v_cndmask_b32_e32 v0, v0, v1, vcc
	v_cmp_eq_u32_e32 vcc, 0, v4
	v_mov_b32_e32 v1, 0x7f800001
	v_cndmask_b32_e32 v1, v1, v0, vcc
; %bb.7935:                             ;   in Loop: Header=BB6_5473 Depth=4
	s_or_b64 exec, exec, s[34:35]
.LBB6_7936:                             ;   in Loop: Header=BB6_5473 Depth=4
	s_or_b64 exec, exec, s[30:31]
.LBB6_7937:                             ;   in Loop: Header=BB6_5473 Depth=4
	s_or_b64 exec, exec, s[28:29]
	v_add_f32_e32 v2, v2, v1
	v_and_b32_e32 v20, 0x7f800000, v2
	v_mov_b32_e32 v21, v33
	v_cmp_ne_u64_e32 vcc, s[76:77], v[20:21]
	v_and_b32_e32 v0, 0x7fffff, v2
	v_mov_b32_e32 v1, v33
                                        ; implicit-def: $vgpr4
                                        ; kill: killed $vgpr4
	s_and_saveexec_b64 s[28:29], vcc
	s_xor_b64 s[30:31], exec, s[28:29]
	s_cbranch_execz .LBB6_7951
; %bb.7938:                             ;   in Loop: Header=BB6_5473 Depth=4
	v_and_b32_e32 v20, 0x7fffffff, v2
	v_mov_b32_e32 v21, v33
	v_cmp_gt_u64_e32 vcc, s[78:79], v[20:21]
	v_and_b32_sdwa v4, v2, s97 dst_sel:DWORD dst_unused:UNUSED_PAD src0_sel:BYTE_3 src1_sel:DWORD
                                        ; implicit-def: $vgpr6
                                        ; kill: killed $vgpr6
	s_and_saveexec_b64 s[28:29], vcc
	s_xor_b64 s[34:35], exec, s[28:29]
	s_cbranch_execz .LBB6_7948
; %bb.7939:                             ;   in Loop: Header=BB6_5473 Depth=4
	v_mov_b32_e32 v6, 0
	v_cmp_ne_u32_e32 vcc, 0, v2
	buffer_store_dword v6, off, s[0:3], s33 offset:352 ; 4-byte Folded Spill
	s_and_saveexec_b64 s[36:37], vcc
	s_cbranch_execz .LBB6_7947
; %bb.7940:                             ;   in Loop: Header=BB6_5473 Depth=4
	v_bfe_u32 v20, v2, 23, 8
	v_cmp_gt_u32_e64 s[28:29], s47, v20
	v_sub_u32_e32 v2, 0x71, v20
	v_cmp_eq_u32_e32 vcc, 0, v20
	v_cndmask_b32_e64 v2, 0, v2, s[28:29]
	v_mov_b32_e32 v21, 0x70
	v_cndmask_b32_e32 v21, v2, v21, vcc
	v_add_u32_e32 v2, 21, v21
	v_or_b32_e32 v6, 0x800000, v0
	v_lshlrev_b64 v[35:36], v2, -1
	v_cndmask_b32_e32 v0, v6, v0, vcc
	v_add_u32_e32 v2, 20, v21
	v_mov_b32_e32 v23, v49
	v_mov_b32_e32 v22, v48
	v_bfi_b32 v35, v35, 0, v0
	v_lshlrev_b64 v[48:49], v2, 1
	v_lshrrev_b64 v[0:1], v21, v[0:1]
	v_bfi_b32 v36, v36, 0, 0
	v_cmp_eq_u64_e64 s[28:29], v[35:36], v[48:49]
	v_mov_b32_e32 v2, v1
	v_mov_b32_e32 v1, v0
	s_and_saveexec_b64 s[38:39], s[28:29]
; %bb.7941:                             ;   in Loop: Header=BB6_5473 Depth=4
	v_bfe_u32 v1, v0, 21, 1
	v_add_co_u32_e64 v1, s[28:29], v0, v1
	v_add_co_u32_e64 v1, s[28:29], -1, v1
; %bb.7942:                             ;   in Loop: Header=BB6_5473 Depth=4
	s_or_b64 exec, exec, s[38:39]
	v_add_u32_e32 v2, 0xffffff81, v20
	v_mov_b32_e32 v6, 0xffffff82
	v_cndmask_b32_e32 v2, v2, v6, vcc
	v_lshrrev_b32_e32 v6, 23, v0
	v_add3_u32 v20, v21, v2, v6
	v_add_u32_e32 v6, 14, v20
	v_and_b32_e32 v1, 0x1fffff, v1
	v_add_u32_e32 v0, v1, v0
	v_mov_b32_e32 v1, v33
	v_cmp_ne_u32_e32 vcc, 0, v6
                                        ; implicit-def: $vgpr2
	s_and_saveexec_b64 s[28:29], vcc
	s_xor_b64 s[28:29], exec, s[28:29]
; %bb.7943:                             ;   in Loop: Header=BB6_5473 Depth=4
	v_cmp_lt_u64_e32 vcc, s[88:89], v[0:1]
	v_add_u32_e32 v2, 15, v20
	v_cndmask_b32_e32 v2, v6, v2, vcc
	v_cndmask_b32_e64 v6, 0, 1, vcc
	v_lshrrev_b64 v[0:1], v6, v[0:1]
; %bb.7944:                             ;   in Loop: Header=BB6_5473 Depth=4
	s_or_saveexec_b64 s[28:29], s[28:29]
	v_mov_b32_e32 v48, v22
	v_mov_b32_e32 v49, v23
	s_xor_b64 exec, exec, s[28:29]
; %bb.7945:                             ;   in Loop: Header=BB6_5473 Depth=4
	v_bfe_u32 v2, v0, 23, 1
; %bb.7946:                             ;   in Loop: Header=BB6_5473 Depth=4
	s_or_b64 exec, exec, s[28:29]
	v_lshrrev_b64 v[0:1], 21, v[0:1]
	v_cmp_gt_i32_e32 vcc, 32, v2
	v_cndmask_b32_e32 v1, 0, v1, vcc
	v_cndmask_b32_e32 v0, 3, v0, vcc
	v_cmp_eq_u64_e64 s[28:29], 0, v[0:1]
	v_min_i32_e32 v1, 31, v2
	v_lshlrev_b32_e32 v1, 2, v1
	v_cmp_eq_u32_e32 vcc, 0, v2
	v_and_b32_e32 v1, 0xfc, v1
	v_and_or_b32 v0, v0, 3, v1
	s_and_b64 s[28:29], vcc, s[28:29]
	v_cndmask_b32_e64 v0, v0, 0, s[28:29]
	v_or_b32_e32 v0, v0, v4
	buffer_store_dword v0, off, s[0:3], s33 offset:352 ; 4-byte Folded Spill
.LBB6_7947:                             ;   in Loop: Header=BB6_5473 Depth=4
	s_or_b64 exec, exec, s[36:37]
                                        ; implicit-def: $vgpr4
.LBB6_7948:                             ;   in Loop: Header=BB6_5473 Depth=4
	s_andn2_saveexec_b64 s[28:29], s[34:35]
	s_cbranch_execz .LBB6_7950
; %bb.7949:                             ;   in Loop: Header=BB6_5473 Depth=4
	v_or_b32_e32 v0, 0x7b, v4
	buffer_store_dword v0, off, s[0:3], s33 offset:352 ; 4-byte Folded Spill
.LBB6_7950:                             ;   in Loop: Header=BB6_5473 Depth=4
	s_or_b64 exec, exec, s[28:29]
                                        ; implicit-def: $vgpr2
                                        ; implicit-def: $vgpr0_vgpr1
.LBB6_7951:                             ;   in Loop: Header=BB6_5473 Depth=4
	s_andn2_saveexec_b64 s[28:29], s[30:31]
	s_cbranch_execz .LBB6_7957
; %bb.7952:                             ;   in Loop: Header=BB6_5473 Depth=4
	v_cmp_ne_u64_e32 vcc, 0, v[0:1]
                                        ; implicit-def: $vgpr0
                                        ; kill: killed $vgpr0
	s_and_saveexec_b64 s[62:63], vcc
	s_xor_b64 vcc, exec, s[62:63]
	s_cbranch_execz .LBB6_7954
; %bb.7953:                             ;   in Loop: Header=BB6_5473 Depth=4
	v_or_b32_sdwa v0, v2, s44 dst_sel:DWORD dst_unused:UNUSED_PAD src0_sel:BYTE_3 src1_sel:DWORD
	buffer_store_dword v0, off, s[0:3], s33 offset:352 ; 4-byte Folded Spill
                                        ; implicit-def: $vgpr2
.LBB6_7954:                             ;   in Loop: Header=BB6_5473 Depth=4
	s_andn2_saveexec_b64 s[30:31], vcc
	s_cbranch_execz .LBB6_7956
; %bb.7955:                             ;   in Loop: Header=BB6_5473 Depth=4
	v_cmp_lt_i32_e32 vcc, -1, v2
	v_bfrev_b32_e32 v0, 0.5
	v_mov_b32_e32 v1, 0x7c
	v_cndmask_b32_e32 v0, v0, v1, vcc
	buffer_store_dword v0, off, s[0:3], s33 offset:352 ; 4-byte Folded Spill
.LBB6_7956:                             ;   in Loop: Header=BB6_5473 Depth=4
	s_or_b64 exec, exec, s[30:31]
.LBB6_7957:                             ;   in Loop: Header=BB6_5473 Depth=4
	s_or_b64 exec, exec, s[28:29]
	v_cmp_lt_u32_e32 vcc, s57, v32
	v_mov_b32_e32 v1, 0
	v_mov_b32_e32 v2, 0
	s_and_saveexec_b64 s[28:29], vcc
	s_cbranch_execz .LBB6_7965
; %bb.7958:                             ;   in Loop: Header=BB6_5473 Depth=4
	v_lshrrev_b32_e32 v0, 24, v32
	v_cmp_ne_u32_e32 vcc, s97, v0
	v_bfrev_b32_e32 v2, 1
	s_and_saveexec_b64 s[30:31], vcc
	s_cbranch_execz .LBB6_7964
; %bb.7959:                             ;   in Loop: Header=BB6_5473 Depth=4
	v_and_b32_e32 v2, 0x7c000000, v32
	v_bfe_u32 v4, v32, 24, 2
	v_cmp_ne_u32_e32 vcc, s68, v2
                                        ; implicit-def: $vgpr2
	s_and_saveexec_b64 s[62:63], vcc
	s_xor_b64 s[34:35], exec, s[62:63]
	s_cbranch_execz .LBB6_7961
; %bb.7960:                             ;   in Loop: Header=BB6_5473 Depth=4
	v_ffbh_u32_e32 v6, v4
	v_min_u32_e32 v6, 32, v6
	v_subrev_u32_e32 v20, 29, v6
	v_lshlrev_b64 v[20:21], v20, v[0:1]
	v_bfe_u32 v2, v32, 26, 5
	v_sub_u32_e32 v0, 30, v6
	v_and_b32_e32 v6, 3, v20
	v_cmp_eq_u32_e32 vcc, 0, v2
	v_cndmask_b32_e32 v0, v2, v0, vcc
	v_cndmask_b32_e32 v2, v4, v6, vcc
	v_and_b32_e32 v4, 0x80000000, v32
	v_lshl_add_u32 v0, v0, 23, v4
	v_lshl_or_b32 v0, v2, 21, v0
	v_add_u32_e32 v2, 0x38000000, v0
                                        ; implicit-def: $vgpr4
.LBB6_7961:                             ;   in Loop: Header=BB6_5473 Depth=4
	s_andn2_saveexec_b64 s[34:35], s[34:35]
; %bb.7962:                             ;   in Loop: Header=BB6_5473 Depth=4
	v_cmp_lt_i32_e32 vcc, -1, v32
	v_mov_b32_e32 v0, 0xff800000
	v_mov_b32_e32 v2, 0x7f800000
	v_cndmask_b32_e32 v0, v0, v2, vcc
	v_cmp_eq_u32_e32 vcc, 0, v4
	v_mov_b32_e32 v2, 0x7f800001
	v_cndmask_b32_e32 v2, v2, v0, vcc
; %bb.7963:                             ;   in Loop: Header=BB6_5473 Depth=4
	s_or_b64 exec, exec, s[34:35]
.LBB6_7964:                             ;   in Loop: Header=BB6_5473 Depth=4
	s_or_b64 exec, exec, s[30:31]
.LBB6_7965:                             ;   in Loop: Header=BB6_5473 Depth=4
	s_or_b64 exec, exec, s[28:29]
	v_cmp_lt_u32_e32 vcc, s57, v16
	s_and_saveexec_b64 s[28:29], vcc
	s_cbranch_execz .LBB6_7973
; %bb.7966:                             ;   in Loop: Header=BB6_5473 Depth=4
	v_lshrrev_b32_e32 v0, 24, v16
	v_cmp_ne_u32_e32 vcc, s97, v0
	v_bfrev_b32_e32 v1, 1
	s_and_saveexec_b64 s[30:31], vcc
	s_cbranch_execz .LBB6_7972
; %bb.7967:                             ;   in Loop: Header=BB6_5473 Depth=4
	v_and_b32_e32 v1, 0x7c000000, v16
	v_bfe_u32 v4, v16, 24, 2
	v_cmp_ne_u32_e32 vcc, s68, v1
                                        ; implicit-def: $vgpr1
	s_and_saveexec_b64 s[62:63], vcc
	s_xor_b64 s[34:35], exec, s[62:63]
	s_cbranch_execz .LBB6_7969
; %bb.7968:                             ;   in Loop: Header=BB6_5473 Depth=4
	v_ffbh_u32_e32 v1, v4
	v_min_u32_e32 v20, 32, v1
	v_subrev_u32_e32 v1, 29, v20
	v_lshlrev_b64 v[0:1], v1, v[0:1]
	v_bfe_u32 v6, v16, 26, 5
	v_sub_u32_e32 v1, 30, v20
	v_and_b32_e32 v0, 3, v0
	v_cmp_eq_u32_e32 vcc, 0, v6
	v_cndmask_b32_e32 v1, v6, v1, vcc
	v_cndmask_b32_e32 v0, v4, v0, vcc
	v_and_b32_e32 v4, 0x80000000, v16
	v_lshl_add_u32 v1, v1, 23, v4
	v_lshl_or_b32 v0, v0, 21, v1
	v_add_u32_e32 v1, 0x38000000, v0
                                        ; implicit-def: $vgpr4
.LBB6_7969:                             ;   in Loop: Header=BB6_5473 Depth=4
	s_andn2_saveexec_b64 s[34:35], s[34:35]
; %bb.7970:                             ;   in Loop: Header=BB6_5473 Depth=4
	v_cmp_lt_i32_e32 vcc, -1, v16
	v_mov_b32_e32 v0, 0xff800000
	v_mov_b32_e32 v1, 0x7f800000
	v_cndmask_b32_e32 v0, v0, v1, vcc
	v_cmp_eq_u32_e32 vcc, 0, v4
	v_mov_b32_e32 v1, 0x7f800001
	v_cndmask_b32_e32 v1, v1, v0, vcc
; %bb.7971:                             ;   in Loop: Header=BB6_5473 Depth=4
	s_or_b64 exec, exec, s[34:35]
.LBB6_7972:                             ;   in Loop: Header=BB6_5473 Depth=4
	s_or_b64 exec, exec, s[30:31]
.LBB6_7973:                             ;   in Loop: Header=BB6_5473 Depth=4
	s_or_b64 exec, exec, s[28:29]
	v_add_f32_e32 v0, v2, v1
	v_and_b32_e32 v1, 0x7f800000, v0
	v_mov_b32_e32 v2, v33
	v_cmp_ne_u64_e32 vcc, s[76:77], v[1:2]
	v_and_b32_e32 v32, 0x7fffff, v0
                                        ; implicit-def: $vgpr1
                                        ; kill: killed $vgpr1
	s_and_saveexec_b64 s[28:29], vcc
	s_xor_b64 s[30:31], exec, s[28:29]
	s_cbranch_execz .LBB6_7987
; %bb.7974:                             ;   in Loop: Header=BB6_5473 Depth=4
	v_and_b32_e32 v1, 0x7fffffff, v0
	v_mov_b32_e32 v2, v33
	v_cmp_gt_u64_e32 vcc, s[78:79], v[1:2]
	v_and_b32_sdwa v4, v0, s97 dst_sel:DWORD dst_unused:UNUSED_PAD src0_sel:BYTE_3 src1_sel:DWORD
                                        ; implicit-def: $vgpr1
                                        ; kill: killed $vgpr1
	s_and_saveexec_b64 s[28:29], vcc
	s_xor_b64 s[34:35], exec, s[28:29]
	s_cbranch_execz .LBB6_7984
; %bb.7975:                             ;   in Loop: Header=BB6_5473 Depth=4
	v_mov_b32_e32 v1, 0
	v_cmp_ne_u32_e32 vcc, 0, v0
	buffer_store_dword v1, off, s[0:3], s33 offset:364 ; 4-byte Folded Spill
	s_and_saveexec_b64 s[36:37], vcc
	s_cbranch_execz .LBB6_7983
; %bb.7976:                             ;   in Loop: Header=BB6_5473 Depth=4
	v_bfe_u32 v20, v0, 23, 8
	v_cmp_gt_u32_e64 s[28:29], s47, v20
	v_sub_u32_e32 v0, 0x71, v20
	v_cmp_eq_u32_e32 vcc, 0, v20
	v_cndmask_b32_e64 v0, 0, v0, s[28:29]
	v_mov_b32_e32 v2, 0x70
	v_cndmask_b32_e32 v21, v0, v2, vcc
	v_add_u32_e32 v2, 21, v21
	v_mov_b32_e32 v23, v49
	v_mov_b32_e32 v22, v48
	v_or_b32_e32 v1, 0x800000, v32
	v_lshlrev_b64 v[48:49], v2, -1
	v_cndmask_b32_e32 v0, v1, v32, vcc
	v_mov_b32_e32 v1, v33
	v_add_u32_e32 v2, 20, v21
	v_bfi_b32 v48, v48, 0, v0
	v_lshlrev_b64 v[51:52], v2, 1
	v_lshrrev_b64 v[0:1], v21, v[0:1]
	v_bfi_b32 v49, v49, 0, 0
	v_cmp_eq_u64_e64 s[28:29], v[48:49], v[51:52]
	v_mov_b32_e32 v2, v1
	v_mov_b32_e32 v1, v0
	s_and_saveexec_b64 s[38:39], s[28:29]
; %bb.7977:                             ;   in Loop: Header=BB6_5473 Depth=4
	v_bfe_u32 v1, v0, 21, 1
	v_add_co_u32_e64 v1, s[28:29], v0, v1
	v_add_co_u32_e64 v1, s[28:29], -1, v1
; %bb.7978:                             ;   in Loop: Header=BB6_5473 Depth=4
	s_or_b64 exec, exec, s[38:39]
	v_add_u32_e32 v2, 0xffffff81, v20
	v_mov_b32_e32 v6, 0xffffff82
	v_cndmask_b32_e32 v2, v2, v6, vcc
	v_lshrrev_b32_e32 v6, 23, v0
	v_add3_u32 v20, v21, v2, v6
	v_add_u32_e32 v6, 14, v20
	v_and_b32_e32 v1, 0x1fffff, v1
	v_add_u32_e32 v32, v1, v0
	v_cmp_ne_u32_e32 vcc, 0, v6
                                        ; implicit-def: $vgpr0_vgpr1
                                        ; implicit-def: $vgpr2
	s_and_saveexec_b64 s[28:29], vcc
	s_xor_b64 s[28:29], exec, s[28:29]
; %bb.7979:                             ;   in Loop: Header=BB6_5473 Depth=4
	v_cmp_lt_u64_e32 vcc, s[88:89], v[32:33]
	v_add_u32_e32 v0, 15, v20
	v_cndmask_b32_e32 v2, v6, v0, vcc
	v_cndmask_b32_e64 v0, 0, 1, vcc
	v_lshrrev_b64 v[0:1], v0, v[32:33]
; %bb.7980:                             ;   in Loop: Header=BB6_5473 Depth=4
	s_or_saveexec_b64 s[28:29], s[28:29]
	v_mov_b32_e32 v48, v22
	v_mov_b32_e32 v49, v23
	s_xor_b64 exec, exec, s[28:29]
; %bb.7981:                             ;   in Loop: Header=BB6_5473 Depth=4
	v_mov_b32_e32 v0, v32
	v_mov_b32_e32 v1, v33
	v_bfe_u32 v2, v32, 23, 1
; %bb.7982:                             ;   in Loop: Header=BB6_5473 Depth=4
	s_or_b64 exec, exec, s[28:29]
	v_lshrrev_b64 v[0:1], 21, v[0:1]
	v_cmp_gt_i32_e32 vcc, 32, v2
	v_cndmask_b32_e32 v1, 0, v1, vcc
	v_cndmask_b32_e32 v0, 3, v0, vcc
	v_cmp_eq_u64_e64 s[28:29], 0, v[0:1]
	v_min_i32_e32 v1, 31, v2
	v_lshlrev_b32_e32 v1, 2, v1
	v_cmp_eq_u32_e32 vcc, 0, v2
	v_and_b32_e32 v1, 0xfc, v1
	v_and_or_b32 v0, v0, 3, v1
	s_and_b64 s[28:29], vcc, s[28:29]
	v_cndmask_b32_e64 v0, v0, 0, s[28:29]
	v_or_b32_e32 v0, v0, v4
	buffer_store_dword v0, off, s[0:3], s33 offset:364 ; 4-byte Folded Spill
.LBB6_7983:                             ;   in Loop: Header=BB6_5473 Depth=4
	s_or_b64 exec, exec, s[36:37]
                                        ; implicit-def: $vgpr4
.LBB6_7984:                             ;   in Loop: Header=BB6_5473 Depth=4
	s_andn2_saveexec_b64 s[28:29], s[34:35]
	s_cbranch_execz .LBB6_7986
; %bb.7985:                             ;   in Loop: Header=BB6_5473 Depth=4
	v_or_b32_e32 v0, 0x7b, v4
	buffer_store_dword v0, off, s[0:3], s33 offset:364 ; 4-byte Folded Spill
.LBB6_7986:                             ;   in Loop: Header=BB6_5473 Depth=4
	s_or_b64 exec, exec, s[28:29]
                                        ; implicit-def: $vgpr0
.LBB6_7987:                             ;   in Loop: Header=BB6_5473 Depth=4
	s_andn2_saveexec_b64 s[28:29], s[30:31]
	s_cbranch_execz .LBB6_7993
; %bb.7988:                             ;   in Loop: Header=BB6_5473 Depth=4
	v_cmp_ne_u64_e32 vcc, 0, v[32:33]
                                        ; implicit-def: $vgpr1
                                        ; kill: killed $vgpr1
	s_and_saveexec_b64 s[62:63], vcc
	s_xor_b64 vcc, exec, s[62:63]
	s_cbranch_execz .LBB6_7990
; %bb.7989:                             ;   in Loop: Header=BB6_5473 Depth=4
	v_or_b32_sdwa v0, v0, s44 dst_sel:DWORD dst_unused:UNUSED_PAD src0_sel:BYTE_3 src1_sel:DWORD
	buffer_store_dword v0, off, s[0:3], s33 offset:364 ; 4-byte Folded Spill
                                        ; implicit-def: $vgpr0
.LBB6_7990:                             ;   in Loop: Header=BB6_5473 Depth=4
	s_andn2_saveexec_b64 s[30:31], vcc
	s_cbranch_execz .LBB6_7992
; %bb.7991:                             ;   in Loop: Header=BB6_5473 Depth=4
	v_cmp_lt_i32_e32 vcc, -1, v0
	v_bfrev_b32_e32 v0, 0.5
	v_mov_b32_e32 v1, 0x7c
	v_cndmask_b32_e32 v0, v0, v1, vcc
	buffer_store_dword v0, off, s[0:3], s33 offset:364 ; 4-byte Folded Spill
.LBB6_7992:                             ;   in Loop: Header=BB6_5473 Depth=4
	s_or_b64 exec, exec, s[30:31]
.LBB6_7993:                             ;   in Loop: Header=BB6_5473 Depth=4
	s_or_b64 exec, exec, s[28:29]
	buffer_load_dword v0, off, s[0:3], s33 offset:336 ; 4-byte Folded Reload
	buffer_load_dword v1, off, s[0:3], s33 offset:360 ; 4-byte Folded Reload
	v_cmp_ne_u32_e32 vcc, 0, v39
	s_waitcnt vmcnt(1)
	v_lshl_or_b32 v4, v0, 8, v39
	buffer_load_dword v0, off, s[0:3], s33 offset:348 ; 4-byte Folded Reload
	s_waitcnt vmcnt(1)
	v_lshlrev_b32_e32 v1, 24, v1
	s_waitcnt vmcnt(0)
	v_lshlrev_b32_e32 v0, 16, v0
	v_or3_b32 v32, v0, v1, v4
	v_mov_b32_e32 v0, 0
	v_mov_b32_e32 v1, 0
	s_and_saveexec_b64 s[30:31], vcc
	s_cbranch_execz .LBB6_8001
; %bb.7994:                             ;   in Loop: Header=BB6_5473 Depth=4
	v_cmp_ne_u32_e32 vcc, s97, v39
	v_bfrev_b32_e32 v1, 1
	s_and_saveexec_b64 s[34:35], vcc
	s_cbranch_execz .LBB6_8000
; %bb.7995:                             ;   in Loop: Header=BB6_5473 Depth=4
	v_and_b32_e32 v1, 0x7c, v39
	v_and_b32_e32 v2, 3, v39
	v_cmp_ne_u32_e32 vcc, s86, v1
                                        ; implicit-def: $vgpr1
	s_and_saveexec_b64 s[28:29], vcc
	s_xor_b64 s[28:29], exec, s[28:29]
	s_cbranch_execz .LBB6_7997
; %bb.7996:                             ;   in Loop: Header=BB6_5473 Depth=4
	v_ffbh_u32_e32 v6, v2
	v_min_u32_e32 v6, 32, v6
	v_bfe_u32 v1, v39, 2, 5
	v_subrev_u32_e32 v20, 29, v6
	v_lshlrev_b64 v[20:21], v20, v[32:33]
	v_sub_u32_e32 v6, 30, v6
	v_cmp_eq_u32_e32 vcc, 0, v1
	v_cndmask_b32_e32 v1, v1, v6, vcc
	v_lshlrev_b32_e32 v6, 24, v39
	v_and_b32_e32 v20, 3, v20
	v_and_b32_e32 v6, 0x80000000, v6
	v_cndmask_b32_e32 v2, v2, v20, vcc
	v_lshl_add_u32 v1, v1, 23, v6
	v_lshl_or_b32 v1, v2, 21, v1
	v_add_u32_e32 v1, 0x38000000, v1
                                        ; implicit-def: $vgpr2
                                        ; implicit-def: $vgpr39
.LBB6_7997:                             ;   in Loop: Header=BB6_5473 Depth=4
	s_andn2_saveexec_b64 s[36:37], s[28:29]
; %bb.7998:                             ;   in Loop: Header=BB6_5473 Depth=4
	v_and_b32_e32 v1, 0x80, v39
	v_cmp_eq_u32_e32 vcc, 0, v2
	v_cmp_eq_u32_e64 s[28:29], 0, v1
	v_mov_b32_e32 v1, 0xff800000
	v_mov_b32_e32 v2, 0x7f800000
	v_cndmask_b32_e64 v1, v1, v2, s[28:29]
	v_mov_b32_e32 v2, 0x7f800001
	v_cndmask_b32_e32 v1, v2, v1, vcc
; %bb.7999:                             ;   in Loop: Header=BB6_5473 Depth=4
	s_or_b64 exec, exec, s[36:37]
.LBB6_8000:                             ;   in Loop: Header=BB6_5473 Depth=4
	s_or_b64 exec, exec, s[34:35]
.LBB6_8001:                             ;   in Loop: Header=BB6_5473 Depth=4
	s_or_b64 exec, exec, s[30:31]
	v_cmp_ne_u16_sdwa s[62:63], v17, v33 src0_sel:BYTE_0 src1_sel:DWORD
	s_and_saveexec_b64 s[28:29], s[62:63]
	s_cbranch_execz .LBB6_8009
; %bb.8002:                             ;   in Loop: Header=BB6_5473 Depth=4
	v_cmp_ne_u16_sdwa s[62:63], v17, s97 src0_sel:BYTE_0 src1_sel:DWORD
	v_bfrev_b32_e32 v0, 1
	s_and_saveexec_b64 s[30:31], s[62:63]
	s_cbranch_execz .LBB6_8008
; %bb.8003:                             ;   in Loop: Header=BB6_5473 Depth=4
	v_and_b32_e32 v0, 0x7c, v17
	v_and_b32_e32 v2, 3, v17
	v_cmp_ne_u32_e32 vcc, s86, v0
                                        ; implicit-def: $vgpr0
	s_and_saveexec_b64 s[62:63], vcc
	s_xor_b64 s[34:35], exec, s[62:63]
	s_cbranch_execz .LBB6_8005
; %bb.8004:                             ;   in Loop: Header=BB6_5473 Depth=4
	v_ffbh_u32_e32 v6, v2
	v_min_u32_e32 v6, 32, v6
	v_mov_b32_e32 v20, v17
	v_mov_b32_e32 v21, v33
	v_bfe_u32 v0, v17, 2, 5
	v_subrev_u32_e32 v22, 29, v6
	v_lshlrev_b64 v[20:21], v22, v[20:21]
	v_sub_u32_e32 v6, 30, v6
	v_cmp_eq_u32_e32 vcc, 0, v0
	v_cndmask_b32_e32 v0, v0, v6, vcc
	v_lshlrev_b32_e32 v6, 24, v17
	v_and_b32_e32 v20, 3, v20
	v_and_b32_e32 v6, 0x80000000, v6
	v_cndmask_b32_e32 v2, v2, v20, vcc
	v_lshl_add_u32 v0, v0, 23, v6
	v_lshl_or_b32 v0, v2, 21, v0
	v_add_u32_e32 v0, 0x38000000, v0
                                        ; implicit-def: $vgpr2
.LBB6_8005:                             ;   in Loop: Header=BB6_5473 Depth=4
	s_andn2_saveexec_b64 s[34:35], s[34:35]
; %bb.8006:                             ;   in Loop: Header=BB6_5473 Depth=4
	v_mov_b32_e32 v0, -1
	v_cmp_gt_i16_sdwa vcc, sext(v17), v0 src0_sel:BYTE_0 src1_sel:DWORD
	v_mov_b32_e32 v0, 0xff800000
	v_mov_b32_e32 v6, 0x7f800000
	v_cndmask_b32_e32 v0, v0, v6, vcc
	v_cmp_eq_u32_e32 vcc, 0, v2
	v_mov_b32_e32 v2, 0x7f800001
	v_cndmask_b32_e32 v0, v2, v0, vcc
; %bb.8007:                             ;   in Loop: Header=BB6_5473 Depth=4
	s_or_b64 exec, exec, s[34:35]
.LBB6_8008:                             ;   in Loop: Header=BB6_5473 Depth=4
	s_or_b64 exec, exec, s[30:31]
.LBB6_8009:                             ;   in Loop: Header=BB6_5473 Depth=4
	s_or_b64 exec, exec, s[28:29]
	v_add_f32_e32 v2, v1, v0
	v_and_b32_e32 v20, 0x7f800000, v2
	v_mov_b32_e32 v21, v33
	v_cmp_ne_u64_e32 vcc, s[76:77], v[20:21]
	v_and_b32_e32 v0, 0x7fffff, v2
	v_mov_b32_e32 v1, v33
                                        ; implicit-def: $vgpr6
                                        ; kill: killed $vgpr6
	s_and_saveexec_b64 s[28:29], vcc
	s_xor_b64 s[30:31], exec, s[28:29]
	s_cbranch_execz .LBB6_8023
; %bb.8010:                             ;   in Loop: Header=BB6_5473 Depth=4
	v_and_b32_e32 v20, 0x7fffffff, v2
	v_mov_b32_e32 v21, v33
	v_cmp_gt_u64_e32 vcc, s[78:79], v[20:21]
	v_and_b32_sdwa v20, v2, s97 dst_sel:DWORD dst_unused:UNUSED_PAD src0_sel:BYTE_3 src1_sel:DWORD
                                        ; implicit-def: $vgpr6
                                        ; kill: killed $vgpr6
	s_and_saveexec_b64 s[28:29], vcc
	s_xor_b64 s[34:35], exec, s[28:29]
	s_cbranch_execz .LBB6_8020
; %bb.8011:                             ;   in Loop: Header=BB6_5473 Depth=4
	v_mov_b32_e32 v6, 0
	v_cmp_ne_u32_e32 vcc, 0, v2
	buffer_store_dword v6, off, s[0:3], s33 offset:336 ; 4-byte Folded Spill
	s_and_saveexec_b64 s[36:37], vcc
	s_cbranch_execz .LBB6_8019
; %bb.8012:                             ;   in Loop: Header=BB6_5473 Depth=4
	v_bfe_u32 v21, v2, 23, 8
	v_cmp_gt_u32_e64 s[28:29], s47, v21
	v_sub_u32_e32 v2, 0x71, v21
	v_cmp_eq_u32_e32 vcc, 0, v21
	v_cndmask_b32_e64 v2, 0, v2, s[28:29]
	v_mov_b32_e32 v22, 0x70
	v_cndmask_b32_e32 v22, v2, v22, vcc
	v_add_u32_e32 v2, 21, v22
	v_mov_b32_e32 v24, v49
	v_mov_b32_e32 v23, v48
	v_or_b32_e32 v6, 0x800000, v0
	v_lshlrev_b64 v[48:49], v2, -1
	v_cndmask_b32_e32 v0, v6, v0, vcc
	v_add_u32_e32 v2, 20, v22
	v_bfi_b32 v48, v48, 0, v0
	v_lshlrev_b64 v[51:52], v2, 1
	v_lshrrev_b64 v[0:1], v22, v[0:1]
	v_bfi_b32 v49, v49, 0, 0
	v_cmp_eq_u64_e64 s[28:29], v[48:49], v[51:52]
	v_mov_b32_e32 v2, v1
	v_mov_b32_e32 v1, v0
	s_and_saveexec_b64 s[38:39], s[28:29]
; %bb.8013:                             ;   in Loop: Header=BB6_5473 Depth=4
	v_bfe_u32 v1, v0, 21, 1
	v_add_co_u32_e64 v1, s[28:29], v0, v1
	v_add_co_u32_e64 v1, s[28:29], -1, v1
; %bb.8014:                             ;   in Loop: Header=BB6_5473 Depth=4
	s_or_b64 exec, exec, s[38:39]
	v_add_u32_e32 v2, 0xffffff81, v21
	v_mov_b32_e32 v6, 0xffffff82
	v_cndmask_b32_e32 v2, v2, v6, vcc
	v_lshrrev_b32_e32 v6, 23, v0
	v_add3_u32 v21, v22, v2, v6
	v_add_u32_e32 v6, 14, v21
	v_and_b32_e32 v1, 0x1fffff, v1
	v_add_u32_e32 v0, v1, v0
	v_mov_b32_e32 v1, v33
	v_cmp_ne_u32_e32 vcc, 0, v6
                                        ; implicit-def: $vgpr2
	s_and_saveexec_b64 s[28:29], vcc
	s_xor_b64 s[28:29], exec, s[28:29]
; %bb.8015:                             ;   in Loop: Header=BB6_5473 Depth=4
	v_cmp_lt_u64_e32 vcc, s[88:89], v[0:1]
	v_add_u32_e32 v2, 15, v21
	v_cndmask_b32_e32 v2, v6, v2, vcc
	v_cndmask_b32_e64 v6, 0, 1, vcc
	v_lshrrev_b64 v[0:1], v6, v[0:1]
; %bb.8016:                             ;   in Loop: Header=BB6_5473 Depth=4
	s_or_saveexec_b64 s[28:29], s[28:29]
	v_mov_b32_e32 v48, v23
	v_mov_b32_e32 v49, v24
	s_xor_b64 exec, exec, s[28:29]
; %bb.8017:                             ;   in Loop: Header=BB6_5473 Depth=4
	v_bfe_u32 v2, v0, 23, 1
; %bb.8018:                             ;   in Loop: Header=BB6_5473 Depth=4
	s_or_b64 exec, exec, s[28:29]
	v_lshrrev_b64 v[0:1], 21, v[0:1]
	v_cmp_gt_i32_e32 vcc, 32, v2
	v_cndmask_b32_e32 v1, 0, v1, vcc
	v_cndmask_b32_e32 v0, 3, v0, vcc
	v_cmp_eq_u64_e64 s[28:29], 0, v[0:1]
	v_min_i32_e32 v1, 31, v2
	v_lshlrev_b32_e32 v1, 2, v1
	v_cmp_eq_u32_e32 vcc, 0, v2
	v_and_b32_e32 v1, 0xfc, v1
	v_and_or_b32 v0, v0, 3, v1
	s_and_b64 s[28:29], vcc, s[28:29]
	v_cndmask_b32_e64 v0, v0, 0, s[28:29]
	v_or_b32_e32 v0, v0, v20
	buffer_store_dword v0, off, s[0:3], s33 offset:336 ; 4-byte Folded Spill
.LBB6_8019:                             ;   in Loop: Header=BB6_5473 Depth=4
	s_or_b64 exec, exec, s[36:37]
                                        ; implicit-def: $vgpr20
.LBB6_8020:                             ;   in Loop: Header=BB6_5473 Depth=4
	s_andn2_saveexec_b64 s[28:29], s[34:35]
	s_cbranch_execz .LBB6_8022
; %bb.8021:                             ;   in Loop: Header=BB6_5473 Depth=4
	v_or_b32_e32 v0, 0x7b, v20
	buffer_store_dword v0, off, s[0:3], s33 offset:336 ; 4-byte Folded Spill
.LBB6_8022:                             ;   in Loop: Header=BB6_5473 Depth=4
	s_or_b64 exec, exec, s[28:29]
                                        ; implicit-def: $vgpr2
                                        ; implicit-def: $vgpr0_vgpr1
.LBB6_8023:                             ;   in Loop: Header=BB6_5473 Depth=4
	s_andn2_saveexec_b64 s[28:29], s[30:31]
	s_cbranch_execz .LBB6_8029
; %bb.8024:                             ;   in Loop: Header=BB6_5473 Depth=4
	v_cmp_ne_u64_e32 vcc, 0, v[0:1]
                                        ; implicit-def: $vgpr0
                                        ; kill: killed $vgpr0
	s_and_saveexec_b64 s[62:63], vcc
	s_xor_b64 vcc, exec, s[62:63]
	s_cbranch_execz .LBB6_8026
; %bb.8025:                             ;   in Loop: Header=BB6_5473 Depth=4
	v_or_b32_sdwa v0, v2, s44 dst_sel:DWORD dst_unused:UNUSED_PAD src0_sel:BYTE_3 src1_sel:DWORD
	buffer_store_dword v0, off, s[0:3], s33 offset:336 ; 4-byte Folded Spill
                                        ; implicit-def: $vgpr2
.LBB6_8026:                             ;   in Loop: Header=BB6_5473 Depth=4
	s_andn2_saveexec_b64 s[30:31], vcc
	s_cbranch_execz .LBB6_8028
; %bb.8027:                             ;   in Loop: Header=BB6_5473 Depth=4
	v_cmp_lt_i32_e32 vcc, -1, v2
	v_bfrev_b32_e32 v0, 0.5
	v_mov_b32_e32 v1, 0x7c
	v_cndmask_b32_e32 v0, v0, v1, vcc
	buffer_store_dword v0, off, s[0:3], s33 offset:336 ; 4-byte Folded Spill
.LBB6_8028:                             ;   in Loop: Header=BB6_5473 Depth=4
	s_or_b64 exec, exec, s[30:31]
.LBB6_8029:                             ;   in Loop: Header=BB6_5473 Depth=4
	s_or_b64 exec, exec, s[28:29]
	v_lshrrev_b16_e32 v0, 8, v4
	v_cmp_ne_u16_e32 vcc, 0, v0
	v_mov_b32_e32 v2, 0
	v_mov_b32_e32 v20, 0
	s_and_saveexec_b64 s[28:29], vcc
	s_cbranch_execz .LBB6_8037
; %bb.8030:                             ;   in Loop: Header=BB6_5473 Depth=4
	v_cmp_ne_u16_e32 vcc, s97, v0
	v_bfrev_b32_e32 v20, 1
	s_and_saveexec_b64 s[30:31], vcc
	s_cbranch_execz .LBB6_8036
; %bb.8031:                             ;   in Loop: Header=BB6_5473 Depth=4
	v_and_b32_e32 v1, 0x7c, v0
	v_and_b32_e32 v6, 3, v0
	v_cmp_ne_u32_e32 vcc, s86, v1
                                        ; implicit-def: $vgpr20
	s_and_saveexec_b64 s[62:63], vcc
	s_xor_b64 s[34:35], exec, s[62:63]
	s_cbranch_execz .LBB6_8033
; %bb.8032:                             ;   in Loop: Header=BB6_5473 Depth=4
	v_ffbh_u32_e32 v21, v6
	v_min_u32_e32 v21, 32, v21
	v_mov_b32_e32 v1, v33
	v_subrev_u32_e32 v22, 29, v21
	v_bfe_u32 v20, v0, 2, 5
	v_lshlrev_b64 v[0:1], v22, v[0:1]
	v_sub_u32_e32 v1, 30, v21
	v_cmp_eq_u32_e32 vcc, 0, v20
	v_lshlrev_b32_e32 v4, 16, v4
	v_and_b32_e32 v0, 3, v0
	v_cndmask_b32_e32 v1, v20, v1, vcc
	v_and_b32_e32 v4, 0x80000000, v4
	v_cndmask_b32_e32 v0, v6, v0, vcc
	v_lshl_add_u32 v1, v1, 23, v4
	v_lshl_or_b32 v0, v0, 21, v1
	v_add_u32_e32 v20, 0x38000000, v0
                                        ; implicit-def: $vgpr6
                                        ; implicit-def: $vgpr4
.LBB6_8033:                             ;   in Loop: Header=BB6_5473 Depth=4
	s_andn2_saveexec_b64 s[34:35], s[34:35]
; %bb.8034:                             ;   in Loop: Header=BB6_5473 Depth=4
	v_cmp_lt_i16_e32 vcc, -1, v4
	v_mov_b32_e32 v0, 0xff800000
	v_mov_b32_e32 v1, 0x7f800000
	v_cndmask_b32_e32 v0, v0, v1, vcc
	v_cmp_eq_u32_e32 vcc, 0, v6
	v_mov_b32_e32 v1, 0x7f800001
	v_cndmask_b32_e32 v20, v1, v0, vcc
; %bb.8035:                             ;   in Loop: Header=BB6_5473 Depth=4
	s_or_b64 exec, exec, s[34:35]
.LBB6_8036:                             ;   in Loop: Header=BB6_5473 Depth=4
	s_or_b64 exec, exec, s[30:31]
.LBB6_8037:                             ;   in Loop: Header=BB6_5473 Depth=4
	s_or_b64 exec, exec, s[28:29]
	v_lshrrev_b16_e32 v0, 8, v17
	v_cmp_ne_u16_e32 vcc, 0, v0
	s_and_saveexec_b64 s[28:29], vcc
	s_cbranch_execz .LBB6_8045
; %bb.8038:                             ;   in Loop: Header=BB6_5473 Depth=4
	v_cmp_ne_u16_e32 vcc, s97, v0
	v_bfrev_b32_e32 v2, 1
	s_and_saveexec_b64 s[30:31], vcc
	s_cbranch_execz .LBB6_8044
; %bb.8039:                             ;   in Loop: Header=BB6_5473 Depth=4
	v_and_b32_e32 v1, 0x7c, v0
	v_and_b32_e32 v4, 3, v0
	v_cmp_ne_u32_e32 vcc, s86, v1
                                        ; implicit-def: $vgpr2
	s_and_saveexec_b64 s[62:63], vcc
	s_xor_b64 s[34:35], exec, s[62:63]
	s_cbranch_execz .LBB6_8041
; %bb.8040:                             ;   in Loop: Header=BB6_5473 Depth=4
	v_ffbh_u32_e32 v6, v4
	v_min_u32_e32 v6, 32, v6
	v_mov_b32_e32 v1, v33
	v_subrev_u32_e32 v21, 29, v6
	v_bfe_u32 v2, v0, 2, 5
	v_lshlrev_b64 v[0:1], v21, v[0:1]
	v_sub_u32_e32 v1, 30, v6
	v_cmp_eq_u32_e32 vcc, 0, v2
	v_cndmask_b32_e32 v1, v2, v1, vcc
	v_lshlrev_b32_e32 v2, 16, v17
	v_and_b32_e32 v0, 3, v0
	v_and_b32_e32 v2, 0x80000000, v2
	v_cndmask_b32_e32 v0, v4, v0, vcc
	v_lshl_add_u32 v1, v1, 23, v2
	v_lshl_or_b32 v0, v0, 21, v1
	v_add_u32_e32 v2, 0x38000000, v0
                                        ; implicit-def: $vgpr4
.LBB6_8041:                             ;   in Loop: Header=BB6_5473 Depth=4
	s_andn2_saveexec_b64 s[34:35], s[34:35]
; %bb.8042:                             ;   in Loop: Header=BB6_5473 Depth=4
	v_cmp_lt_i16_e32 vcc, -1, v17
	v_mov_b32_e32 v0, 0xff800000
	v_mov_b32_e32 v1, 0x7f800000
	v_cndmask_b32_e32 v0, v0, v1, vcc
	v_cmp_eq_u32_e32 vcc, 0, v4
	v_mov_b32_e32 v1, 0x7f800001
	v_cndmask_b32_e32 v2, v1, v0, vcc
; %bb.8043:                             ;   in Loop: Header=BB6_5473 Depth=4
	s_or_b64 exec, exec, s[34:35]
.LBB6_8044:                             ;   in Loop: Header=BB6_5473 Depth=4
	s_or_b64 exec, exec, s[30:31]
.LBB6_8045:                             ;   in Loop: Header=BB6_5473 Depth=4
	s_or_b64 exec, exec, s[28:29]
	v_add_f32_e32 v2, v20, v2
	v_and_b32_e32 v20, 0x7f800000, v2
	v_mov_b32_e32 v21, v33
	v_cmp_ne_u64_e32 vcc, s[76:77], v[20:21]
	v_and_b32_e32 v0, 0x7fffff, v2
	v_mov_b32_e32 v1, v33
                                        ; implicit-def: $vgpr4
                                        ; kill: killed $vgpr4
	s_and_saveexec_b64 s[28:29], vcc
	s_xor_b64 s[30:31], exec, s[28:29]
	s_cbranch_execz .LBB6_8059
; %bb.8046:                             ;   in Loop: Header=BB6_5473 Depth=4
	v_and_b32_e32 v20, 0x7fffffff, v2
	v_mov_b32_e32 v21, v33
	v_cmp_gt_u64_e32 vcc, s[78:79], v[20:21]
	v_and_b32_sdwa v4, v2, s97 dst_sel:DWORD dst_unused:UNUSED_PAD src0_sel:BYTE_3 src1_sel:DWORD
                                        ; implicit-def: $vgpr6
                                        ; kill: killed $vgpr6
	s_and_saveexec_b64 s[28:29], vcc
	s_xor_b64 s[34:35], exec, s[28:29]
	s_cbranch_execz .LBB6_8056
; %bb.8047:                             ;   in Loop: Header=BB6_5473 Depth=4
	v_mov_b32_e32 v6, 0
	v_cmp_ne_u32_e32 vcc, 0, v2
	buffer_store_dword v6, off, s[0:3], s33 offset:348 ; 4-byte Folded Spill
	s_and_saveexec_b64 s[36:37], vcc
	s_cbranch_execz .LBB6_8055
; %bb.8048:                             ;   in Loop: Header=BB6_5473 Depth=4
	v_bfe_u32 v20, v2, 23, 8
	v_cmp_gt_u32_e64 s[28:29], s47, v20
	v_sub_u32_e32 v2, 0x71, v20
	v_cmp_eq_u32_e32 vcc, 0, v20
	v_cndmask_b32_e64 v2, 0, v2, s[28:29]
	v_mov_b32_e32 v21, 0x70
	v_cndmask_b32_e32 v21, v2, v21, vcc
	v_add_u32_e32 v2, 21, v21
	v_mov_b32_e32 v23, v49
	v_mov_b32_e32 v22, v48
	v_or_b32_e32 v6, 0x800000, v0
	v_lshlrev_b64 v[48:49], v2, -1
	v_cndmask_b32_e32 v0, v6, v0, vcc
	v_add_u32_e32 v2, 20, v21
	v_bfi_b32 v48, v48, 0, v0
	v_lshlrev_b64 v[51:52], v2, 1
	v_lshrrev_b64 v[0:1], v21, v[0:1]
	v_bfi_b32 v49, v49, 0, 0
	v_cmp_eq_u64_e64 s[28:29], v[48:49], v[51:52]
	v_mov_b32_e32 v2, v1
	v_mov_b32_e32 v1, v0
	s_and_saveexec_b64 s[38:39], s[28:29]
; %bb.8049:                             ;   in Loop: Header=BB6_5473 Depth=4
	v_bfe_u32 v1, v0, 21, 1
	v_add_co_u32_e64 v1, s[28:29], v0, v1
	v_add_co_u32_e64 v1, s[28:29], -1, v1
; %bb.8050:                             ;   in Loop: Header=BB6_5473 Depth=4
	s_or_b64 exec, exec, s[38:39]
	v_add_u32_e32 v2, 0xffffff81, v20
	v_mov_b32_e32 v6, 0xffffff82
	v_cndmask_b32_e32 v2, v2, v6, vcc
	v_lshrrev_b32_e32 v6, 23, v0
	v_add3_u32 v20, v21, v2, v6
	v_add_u32_e32 v6, 14, v20
	v_and_b32_e32 v1, 0x1fffff, v1
	v_add_u32_e32 v0, v1, v0
	v_mov_b32_e32 v1, v33
	v_cmp_ne_u32_e32 vcc, 0, v6
                                        ; implicit-def: $vgpr2
	s_and_saveexec_b64 s[28:29], vcc
	s_xor_b64 s[28:29], exec, s[28:29]
; %bb.8051:                             ;   in Loop: Header=BB6_5473 Depth=4
	v_cmp_lt_u64_e32 vcc, s[88:89], v[0:1]
	v_add_u32_e32 v2, 15, v20
	v_cndmask_b32_e32 v2, v6, v2, vcc
	v_cndmask_b32_e64 v6, 0, 1, vcc
	v_lshrrev_b64 v[0:1], v6, v[0:1]
; %bb.8052:                             ;   in Loop: Header=BB6_5473 Depth=4
	s_or_saveexec_b64 s[28:29], s[28:29]
	v_mov_b32_e32 v48, v22
	v_mov_b32_e32 v49, v23
	s_xor_b64 exec, exec, s[28:29]
; %bb.8053:                             ;   in Loop: Header=BB6_5473 Depth=4
	v_bfe_u32 v2, v0, 23, 1
; %bb.8054:                             ;   in Loop: Header=BB6_5473 Depth=4
	s_or_b64 exec, exec, s[28:29]
	v_lshrrev_b64 v[0:1], 21, v[0:1]
	v_cmp_gt_i32_e32 vcc, 32, v2
	v_cndmask_b32_e32 v1, 0, v1, vcc
	v_cndmask_b32_e32 v0, 3, v0, vcc
	v_cmp_eq_u64_e64 s[28:29], 0, v[0:1]
	v_min_i32_e32 v1, 31, v2
	v_lshlrev_b32_e32 v1, 2, v1
	v_cmp_eq_u32_e32 vcc, 0, v2
	v_and_b32_e32 v1, 0xfc, v1
	v_and_or_b32 v0, v0, 3, v1
	s_and_b64 s[28:29], vcc, s[28:29]
	v_cndmask_b32_e64 v0, v0, 0, s[28:29]
	v_or_b32_e32 v0, v0, v4
	buffer_store_dword v0, off, s[0:3], s33 offset:348 ; 4-byte Folded Spill
.LBB6_8055:                             ;   in Loop: Header=BB6_5473 Depth=4
	s_or_b64 exec, exec, s[36:37]
                                        ; implicit-def: $vgpr4
.LBB6_8056:                             ;   in Loop: Header=BB6_5473 Depth=4
	s_andn2_saveexec_b64 s[28:29], s[34:35]
	s_cbranch_execz .LBB6_8058
; %bb.8057:                             ;   in Loop: Header=BB6_5473 Depth=4
	v_or_b32_e32 v0, 0x7b, v4
	buffer_store_dword v0, off, s[0:3], s33 offset:348 ; 4-byte Folded Spill
.LBB6_8058:                             ;   in Loop: Header=BB6_5473 Depth=4
	s_or_b64 exec, exec, s[28:29]
                                        ; implicit-def: $vgpr2
                                        ; implicit-def: $vgpr0_vgpr1
.LBB6_8059:                             ;   in Loop: Header=BB6_5473 Depth=4
	s_andn2_saveexec_b64 s[28:29], s[30:31]
	s_cbranch_execz .LBB6_8065
; %bb.8060:                             ;   in Loop: Header=BB6_5473 Depth=4
	v_cmp_ne_u64_e32 vcc, 0, v[0:1]
                                        ; implicit-def: $vgpr0
                                        ; kill: killed $vgpr0
	s_and_saveexec_b64 s[62:63], vcc
	s_xor_b64 vcc, exec, s[62:63]
	s_cbranch_execz .LBB6_8062
; %bb.8061:                             ;   in Loop: Header=BB6_5473 Depth=4
	v_or_b32_sdwa v0, v2, s44 dst_sel:DWORD dst_unused:UNUSED_PAD src0_sel:BYTE_3 src1_sel:DWORD
	buffer_store_dword v0, off, s[0:3], s33 offset:348 ; 4-byte Folded Spill
                                        ; implicit-def: $vgpr2
.LBB6_8062:                             ;   in Loop: Header=BB6_5473 Depth=4
	s_andn2_saveexec_b64 s[30:31], vcc
	s_cbranch_execz .LBB6_8064
; %bb.8063:                             ;   in Loop: Header=BB6_5473 Depth=4
	v_cmp_lt_i32_e32 vcc, -1, v2
	v_bfrev_b32_e32 v0, 0.5
	v_mov_b32_e32 v1, 0x7c
	v_cndmask_b32_e32 v0, v0, v1, vcc
	buffer_store_dword v0, off, s[0:3], s33 offset:348 ; 4-byte Folded Spill
.LBB6_8064:                             ;   in Loop: Header=BB6_5473 Depth=4
	s_or_b64 exec, exec, s[30:31]
.LBB6_8065:                             ;   in Loop: Header=BB6_5473 Depth=4
	s_or_b64 exec, exec, s[28:29]
	v_and_b32_sdwa v4, v32, s96 dst_sel:DWORD dst_unused:UNUSED_PAD src0_sel:WORD_1 src1_sel:DWORD
	v_lshrrev_b32_e32 v0, 16, v32
	v_cmp_ne_u16_e32 vcc, 0, v4
	v_mov_b32_e32 v1, 0
	v_mov_b32_e32 v2, 0
	s_and_saveexec_b64 s[28:29], vcc
	s_cbranch_execz .LBB6_8073
; %bb.8066:                             ;   in Loop: Header=BB6_5473 Depth=4
	v_cmp_ne_u16_e32 vcc, s97, v4
	v_bfrev_b32_e32 v2, 1
	s_and_saveexec_b64 s[30:31], vcc
	s_cbranch_execz .LBB6_8072
; %bb.8067:                             ;   in Loop: Header=BB6_5473 Depth=4
	v_and_b32_e32 v2, 0x7c0000, v32
	v_bfe_u32 v4, v32, 16, 2
	v_cmp_ne_u32_e32 vcc, s45, v2
                                        ; implicit-def: $vgpr2
	s_and_saveexec_b64 s[62:63], vcc
	s_xor_b64 s[34:35], exec, s[62:63]
	s_cbranch_execz .LBB6_8069
; %bb.8068:                             ;   in Loop: Header=BB6_5473 Depth=4
	v_ffbh_u32_e32 v6, v4
	v_min_u32_e32 v6, 32, v6
	v_subrev_u32_e32 v20, 29, v6
	v_lshlrev_b64 v[20:21], v20, v[0:1]
	v_bfe_u32 v2, v32, 18, 5
	v_sub_u32_e32 v0, 30, v6
	v_and_b32_e32 v6, 3, v20
	v_cmp_eq_u32_e32 vcc, 0, v2
	v_cndmask_b32_e32 v0, v2, v0, vcc
	v_cndmask_b32_e32 v2, v4, v6, vcc
	v_lshlrev_b32_e32 v4, 8, v32
	v_and_b32_e32 v4, 0x80000000, v4
	v_lshl_add_u32 v0, v0, 23, v4
	v_lshl_or_b32 v0, v2, 21, v0
	v_add_u32_e32 v2, 0x38000000, v0
                                        ; implicit-def: $vgpr4
                                        ; implicit-def: $vgpr0
.LBB6_8069:                             ;   in Loop: Header=BB6_5473 Depth=4
	s_andn2_saveexec_b64 s[34:35], s[34:35]
; %bb.8070:                             ;   in Loop: Header=BB6_5473 Depth=4
	v_mov_b32_e32 v2, -1
	v_cmp_gt_i16_sdwa vcc, sext(v0), v2 src0_sel:BYTE_0 src1_sel:DWORD
	v_mov_b32_e32 v0, 0xff800000
	v_mov_b32_e32 v2, 0x7f800000
	v_cndmask_b32_e32 v0, v0, v2, vcc
	v_cmp_eq_u32_e32 vcc, 0, v4
	v_mov_b32_e32 v2, 0x7f800001
	v_cndmask_b32_e32 v2, v2, v0, vcc
; %bb.8071:                             ;   in Loop: Header=BB6_5473 Depth=4
	s_or_b64 exec, exec, s[34:35]
.LBB6_8072:                             ;   in Loop: Header=BB6_5473 Depth=4
	s_or_b64 exec, exec, s[30:31]
.LBB6_8073:                             ;   in Loop: Header=BB6_5473 Depth=4
	s_or_b64 exec, exec, s[28:29]
	v_lshrrev_b32_e32 v0, 16, v17
	v_cmp_ne_u16_sdwa s[62:63], v0, v33 src0_sel:BYTE_0 src1_sel:DWORD
	s_and_saveexec_b64 s[28:29], s[62:63]
	s_cbranch_execz .LBB6_8081
; %bb.8074:                             ;   in Loop: Header=BB6_5473 Depth=4
	v_cmp_ne_u16_sdwa s[62:63], v0, s97 src0_sel:BYTE_0 src1_sel:DWORD
	v_bfrev_b32_e32 v1, 1
	s_and_saveexec_b64 s[30:31], s[62:63]
	s_cbranch_execz .LBB6_8080
; %bb.8075:                             ;   in Loop: Header=BB6_5473 Depth=4
	v_and_b32_e32 v1, 0x7c0000, v17
	v_bfe_u32 v4, v17, 16, 2
	v_cmp_ne_u32_e32 vcc, s45, v1
                                        ; implicit-def: $vgpr1
	s_and_saveexec_b64 s[62:63], vcc
	s_xor_b64 s[34:35], exec, s[62:63]
	s_cbranch_execz .LBB6_8077
; %bb.8076:                             ;   in Loop: Header=BB6_5473 Depth=4
	v_ffbh_u32_e32 v1, v4
	v_min_u32_e32 v20, 32, v1
	v_subrev_u32_e32 v1, 29, v20
	v_lshlrev_b64 v[0:1], v1, v[0:1]
	v_bfe_u32 v6, v17, 18, 5
	v_and_b32_e32 v0, 3, v0
	v_cmp_eq_u32_e32 vcc, 0, v6
	v_sub_u32_e32 v1, 30, v20
	v_cndmask_b32_e32 v0, v4, v0, vcc
	v_lshlrev_b32_e32 v4, 8, v17
	v_cndmask_b32_e32 v1, v6, v1, vcc
	v_and_b32_e32 v4, 0x80000000, v4
	v_lshl_add_u32 v1, v1, 23, v4
	v_lshl_or_b32 v0, v0, 21, v1
	v_add_u32_e32 v1, 0x38000000, v0
                                        ; implicit-def: $vgpr4
                                        ; implicit-def: $vgpr0
.LBB6_8077:                             ;   in Loop: Header=BB6_5473 Depth=4
	s_andn2_saveexec_b64 s[34:35], s[34:35]
; %bb.8078:                             ;   in Loop: Header=BB6_5473 Depth=4
	v_mov_b32_e32 v1, -1
	v_cmp_gt_i16_sdwa vcc, sext(v0), v1 src0_sel:BYTE_0 src1_sel:DWORD
	v_mov_b32_e32 v0, 0xff800000
	v_mov_b32_e32 v1, 0x7f800000
	v_cndmask_b32_e32 v0, v0, v1, vcc
	v_cmp_eq_u32_e32 vcc, 0, v4
	v_mov_b32_e32 v1, 0x7f800001
	v_cndmask_b32_e32 v1, v1, v0, vcc
; %bb.8079:                             ;   in Loop: Header=BB6_5473 Depth=4
	s_or_b64 exec, exec, s[34:35]
.LBB6_8080:                             ;   in Loop: Header=BB6_5473 Depth=4
	s_or_b64 exec, exec, s[30:31]
.LBB6_8081:                             ;   in Loop: Header=BB6_5473 Depth=4
	s_or_b64 exec, exec, s[28:29]
	v_add_f32_e32 v2, v2, v1
	v_and_b32_e32 v20, 0x7f800000, v2
	v_mov_b32_e32 v21, v33
	v_cmp_ne_u64_e32 vcc, s[76:77], v[20:21]
	v_and_b32_e32 v0, 0x7fffff, v2
	v_mov_b32_e32 v1, v33
                                        ; implicit-def: $vgpr4
                                        ; kill: killed $vgpr4
	s_and_saveexec_b64 s[28:29], vcc
	s_xor_b64 s[30:31], exec, s[28:29]
	s_cbranch_execz .LBB6_8095
; %bb.8082:                             ;   in Loop: Header=BB6_5473 Depth=4
	v_and_b32_e32 v20, 0x7fffffff, v2
	v_mov_b32_e32 v21, v33
	v_cmp_gt_u64_e32 vcc, s[78:79], v[20:21]
	v_and_b32_sdwa v4, v2, s97 dst_sel:DWORD dst_unused:UNUSED_PAD src0_sel:BYTE_3 src1_sel:DWORD
                                        ; implicit-def: $vgpr6
                                        ; kill: killed $vgpr6
	s_and_saveexec_b64 s[28:29], vcc
	s_xor_b64 s[34:35], exec, s[28:29]
	s_cbranch_execz .LBB6_8092
; %bb.8083:                             ;   in Loop: Header=BB6_5473 Depth=4
	v_mov_b32_e32 v6, 0
	v_cmp_ne_u32_e32 vcc, 0, v2
	buffer_store_dword v6, off, s[0:3], s33 offset:360 ; 4-byte Folded Spill
	s_and_saveexec_b64 s[36:37], vcc
	s_cbranch_execz .LBB6_8091
; %bb.8084:                             ;   in Loop: Header=BB6_5473 Depth=4
	v_bfe_u32 v20, v2, 23, 8
	v_cmp_gt_u32_e64 s[28:29], s47, v20
	v_sub_u32_e32 v2, 0x71, v20
	v_cmp_eq_u32_e32 vcc, 0, v20
	v_cndmask_b32_e64 v2, 0, v2, s[28:29]
	v_mov_b32_e32 v21, 0x70
	v_cndmask_b32_e32 v21, v2, v21, vcc
	v_add_u32_e32 v2, 21, v21
	v_or_b32_e32 v6, 0x800000, v0
	v_lshlrev_b64 v[51:52], v2, -1
	v_cndmask_b32_e32 v0, v6, v0, vcc
	v_add_u32_e32 v2, 20, v21
	v_bfi_b32 v51, v51, 0, v0
	v_lshlrev_b64 v[53:54], v2, 1
	v_lshrrev_b64 v[0:1], v21, v[0:1]
	v_bfi_b32 v52, v52, 0, 0
	v_cmp_eq_u64_e64 s[28:29], v[51:52], v[53:54]
	v_mov_b32_e32 v2, v1
	v_mov_b32_e32 v1, v0
	s_and_saveexec_b64 s[38:39], s[28:29]
; %bb.8085:                             ;   in Loop: Header=BB6_5473 Depth=4
	v_bfe_u32 v1, v0, 21, 1
	v_add_co_u32_e64 v1, s[28:29], v0, v1
	v_add_co_u32_e64 v1, s[28:29], -1, v1
; %bb.8086:                             ;   in Loop: Header=BB6_5473 Depth=4
	s_or_b64 exec, exec, s[38:39]
	v_add_u32_e32 v2, 0xffffff81, v20
	v_mov_b32_e32 v6, 0xffffff82
	v_cndmask_b32_e32 v2, v2, v6, vcc
	v_lshrrev_b32_e32 v6, 23, v0
	v_add3_u32 v20, v21, v2, v6
	v_add_u32_e32 v6, 14, v20
	v_and_b32_e32 v1, 0x1fffff, v1
	v_add_u32_e32 v0, v1, v0
	v_mov_b32_e32 v1, v33
	v_cmp_ne_u32_e32 vcc, 0, v6
                                        ; implicit-def: $vgpr2
	s_and_saveexec_b64 s[28:29], vcc
	s_xor_b64 s[28:29], exec, s[28:29]
; %bb.8087:                             ;   in Loop: Header=BB6_5473 Depth=4
	v_cmp_lt_u64_e32 vcc, s[88:89], v[0:1]
	v_add_u32_e32 v2, 15, v20
	v_cndmask_b32_e32 v2, v6, v2, vcc
	v_cndmask_b32_e64 v6, 0, 1, vcc
	v_lshrrev_b64 v[0:1], v6, v[0:1]
; %bb.8088:                             ;   in Loop: Header=BB6_5473 Depth=4
	s_andn2_saveexec_b64 s[28:29], s[28:29]
; %bb.8089:                             ;   in Loop: Header=BB6_5473 Depth=4
	v_bfe_u32 v2, v0, 23, 1
; %bb.8090:                             ;   in Loop: Header=BB6_5473 Depth=4
	s_or_b64 exec, exec, s[28:29]
	v_lshrrev_b64 v[0:1], 21, v[0:1]
	v_cmp_gt_i32_e32 vcc, 32, v2
	v_cndmask_b32_e32 v1, 0, v1, vcc
	v_cndmask_b32_e32 v0, 3, v0, vcc
	v_cmp_eq_u64_e64 s[28:29], 0, v[0:1]
	v_min_i32_e32 v1, 31, v2
	v_lshlrev_b32_e32 v1, 2, v1
	v_cmp_eq_u32_e32 vcc, 0, v2
	v_and_b32_e32 v1, 0xfc, v1
	v_and_or_b32 v0, v0, 3, v1
	s_and_b64 s[28:29], vcc, s[28:29]
	v_cndmask_b32_e64 v0, v0, 0, s[28:29]
	v_or_b32_e32 v0, v0, v4
	buffer_store_dword v0, off, s[0:3], s33 offset:360 ; 4-byte Folded Spill
.LBB6_8091:                             ;   in Loop: Header=BB6_5473 Depth=4
	s_or_b64 exec, exec, s[36:37]
                                        ; implicit-def: $vgpr4
.LBB6_8092:                             ;   in Loop: Header=BB6_5473 Depth=4
	s_andn2_saveexec_b64 s[28:29], s[34:35]
	s_cbranch_execz .LBB6_8094
; %bb.8093:                             ;   in Loop: Header=BB6_5473 Depth=4
	v_or_b32_e32 v0, 0x7b, v4
	buffer_store_dword v0, off, s[0:3], s33 offset:360 ; 4-byte Folded Spill
.LBB6_8094:                             ;   in Loop: Header=BB6_5473 Depth=4
	s_or_b64 exec, exec, s[28:29]
                                        ; implicit-def: $vgpr2
                                        ; implicit-def: $vgpr0_vgpr1
.LBB6_8095:                             ;   in Loop: Header=BB6_5473 Depth=4
	s_andn2_saveexec_b64 s[28:29], s[30:31]
	s_cbranch_execz .LBB6_8101
; %bb.8096:                             ;   in Loop: Header=BB6_5473 Depth=4
	v_cmp_ne_u64_e32 vcc, 0, v[0:1]
                                        ; implicit-def: $vgpr0
                                        ; kill: killed $vgpr0
	s_and_saveexec_b64 s[62:63], vcc
	s_xor_b64 vcc, exec, s[62:63]
	s_cbranch_execz .LBB6_8098
; %bb.8097:                             ;   in Loop: Header=BB6_5473 Depth=4
	v_or_b32_sdwa v0, v2, s44 dst_sel:DWORD dst_unused:UNUSED_PAD src0_sel:BYTE_3 src1_sel:DWORD
	buffer_store_dword v0, off, s[0:3], s33 offset:360 ; 4-byte Folded Spill
                                        ; implicit-def: $vgpr2
.LBB6_8098:                             ;   in Loop: Header=BB6_5473 Depth=4
	s_andn2_saveexec_b64 s[30:31], vcc
	s_cbranch_execz .LBB6_8100
; %bb.8099:                             ;   in Loop: Header=BB6_5473 Depth=4
	v_cmp_lt_i32_e32 vcc, -1, v2
	v_bfrev_b32_e32 v0, 0.5
	v_mov_b32_e32 v1, 0x7c
	v_cndmask_b32_e32 v0, v0, v1, vcc
	buffer_store_dword v0, off, s[0:3], s33 offset:360 ; 4-byte Folded Spill
.LBB6_8100:                             ;   in Loop: Header=BB6_5473 Depth=4
	s_or_b64 exec, exec, s[30:31]
.LBB6_8101:                             ;   in Loop: Header=BB6_5473 Depth=4
	s_or_b64 exec, exec, s[28:29]
	v_cmp_lt_u32_e32 vcc, s57, v32
	v_mov_b32_e32 v1, 0
	v_mov_b32_e32 v2, 0
	s_and_saveexec_b64 s[28:29], vcc
	s_cbranch_execz .LBB6_8109
; %bb.8102:                             ;   in Loop: Header=BB6_5473 Depth=4
	v_lshrrev_b32_e32 v0, 24, v32
	v_cmp_ne_u32_e32 vcc, s97, v0
	v_bfrev_b32_e32 v2, 1
	s_and_saveexec_b64 s[30:31], vcc
	s_cbranch_execz .LBB6_8108
; %bb.8103:                             ;   in Loop: Header=BB6_5473 Depth=4
	v_and_b32_e32 v2, 0x7c000000, v32
	v_bfe_u32 v4, v32, 24, 2
	v_cmp_ne_u32_e32 vcc, s68, v2
                                        ; implicit-def: $vgpr2
	s_and_saveexec_b64 s[62:63], vcc
	s_xor_b64 s[34:35], exec, s[62:63]
	s_cbranch_execz .LBB6_8105
; %bb.8104:                             ;   in Loop: Header=BB6_5473 Depth=4
	v_ffbh_u32_e32 v6, v4
	v_min_u32_e32 v6, 32, v6
	v_subrev_u32_e32 v20, 29, v6
	v_lshlrev_b64 v[20:21], v20, v[0:1]
	v_bfe_u32 v2, v32, 26, 5
	v_sub_u32_e32 v0, 30, v6
	v_and_b32_e32 v6, 3, v20
	v_cmp_eq_u32_e32 vcc, 0, v2
	v_cndmask_b32_e32 v0, v2, v0, vcc
	v_cndmask_b32_e32 v2, v4, v6, vcc
	v_and_b32_e32 v4, 0x80000000, v32
	v_lshl_add_u32 v0, v0, 23, v4
	v_lshl_or_b32 v0, v2, 21, v0
	v_add_u32_e32 v2, 0x38000000, v0
                                        ; implicit-def: $vgpr4
.LBB6_8105:                             ;   in Loop: Header=BB6_5473 Depth=4
	s_andn2_saveexec_b64 s[34:35], s[34:35]
; %bb.8106:                             ;   in Loop: Header=BB6_5473 Depth=4
	v_cmp_lt_i32_e32 vcc, -1, v32
	v_mov_b32_e32 v0, 0xff800000
	v_mov_b32_e32 v2, 0x7f800000
	v_cndmask_b32_e32 v0, v0, v2, vcc
	v_cmp_eq_u32_e32 vcc, 0, v4
	v_mov_b32_e32 v2, 0x7f800001
	v_cndmask_b32_e32 v2, v2, v0, vcc
; %bb.8107:                             ;   in Loop: Header=BB6_5473 Depth=4
	s_or_b64 exec, exec, s[34:35]
.LBB6_8108:                             ;   in Loop: Header=BB6_5473 Depth=4
	s_or_b64 exec, exec, s[30:31]
.LBB6_8109:                             ;   in Loop: Header=BB6_5473 Depth=4
	s_or_b64 exec, exec, s[28:29]
	v_cmp_lt_u64_e32 vcc, s[56:57], v[16:17]
	s_and_saveexec_b64 s[28:29], vcc
	s_cbranch_execz .LBB6_8117
; %bb.8110:                             ;   in Loop: Header=BB6_5473 Depth=4
	v_lshrrev_b32_e32 v0, 24, v17
	v_cmp_ne_u32_e32 vcc, s97, v0
	v_bfrev_b32_e32 v1, 1
	s_and_saveexec_b64 s[30:31], vcc
	s_cbranch_execz .LBB6_8116
; %bb.8111:                             ;   in Loop: Header=BB6_5473 Depth=4
	v_and_b32_e32 v1, 0x7c000000, v17
	v_bfe_u32 v4, v17, 24, 2
	v_cmp_ne_u32_e32 vcc, s68, v1
                                        ; implicit-def: $vgpr1
	s_and_saveexec_b64 s[62:63], vcc
	s_xor_b64 s[34:35], exec, s[62:63]
	s_cbranch_execz .LBB6_8113
; %bb.8112:                             ;   in Loop: Header=BB6_5473 Depth=4
	v_ffbh_u32_e32 v1, v4
	v_min_u32_e32 v20, 32, v1
	v_subrev_u32_e32 v1, 29, v20
	v_lshlrev_b64 v[0:1], v1, v[0:1]
	v_bfe_u32 v6, v17, 26, 5
	v_sub_u32_e32 v1, 30, v20
	v_and_b32_e32 v0, 3, v0
	v_cmp_eq_u32_e32 vcc, 0, v6
	v_cndmask_b32_e32 v1, v6, v1, vcc
	v_cndmask_b32_e32 v0, v4, v0, vcc
	v_and_b32_e32 v4, 0x80000000, v17
	v_lshl_add_u32 v1, v1, 23, v4
	v_lshl_or_b32 v0, v0, 21, v1
	v_add_u32_e32 v1, 0x38000000, v0
                                        ; implicit-def: $vgpr4
.LBB6_8113:                             ;   in Loop: Header=BB6_5473 Depth=4
	s_andn2_saveexec_b64 s[34:35], s[34:35]
; %bb.8114:                             ;   in Loop: Header=BB6_5473 Depth=4
	v_cmp_lt_i64_e32 vcc, -1, v[16:17]
	v_mov_b32_e32 v0, 0xff800000
	v_mov_b32_e32 v1, 0x7f800000
	v_cndmask_b32_e32 v0, v0, v1, vcc
	v_cmp_eq_u32_e32 vcc, 0, v4
	v_mov_b32_e32 v1, 0x7f800001
	v_cndmask_b32_e32 v1, v1, v0, vcc
; %bb.8115:                             ;   in Loop: Header=BB6_5473 Depth=4
	s_or_b64 exec, exec, s[34:35]
.LBB6_8116:                             ;   in Loop: Header=BB6_5473 Depth=4
	s_or_b64 exec, exec, s[30:31]
.LBB6_8117:                             ;   in Loop: Header=BB6_5473 Depth=4
	s_or_b64 exec, exec, s[28:29]
	v_add_f32_e32 v0, v2, v1
	v_and_b32_e32 v1, 0x7f800000, v0
	v_mov_b32_e32 v2, v33
	v_cmp_ne_u64_e32 vcc, s[76:77], v[1:2]
	v_and_b32_e32 v32, 0x7fffff, v0
                                        ; implicit-def: $vgpr1
                                        ; kill: killed $vgpr1
	s_and_saveexec_b64 s[28:29], vcc
	s_xor_b64 s[30:31], exec, s[28:29]
	s_cbranch_execz .LBB6_8131
; %bb.8118:                             ;   in Loop: Header=BB6_5473 Depth=4
	v_and_b32_e32 v1, 0x7fffffff, v0
	v_mov_b32_e32 v2, v33
	v_cmp_gt_u64_e32 vcc, s[78:79], v[1:2]
	v_and_b32_sdwa v4, v0, s97 dst_sel:DWORD dst_unused:UNUSED_PAD src0_sel:BYTE_3 src1_sel:DWORD
                                        ; implicit-def: $vgpr1
                                        ; kill: killed $vgpr1
	s_and_saveexec_b64 s[28:29], vcc
	s_xor_b64 s[34:35], exec, s[28:29]
	s_cbranch_execz .LBB6_8128
; %bb.8119:                             ;   in Loop: Header=BB6_5473 Depth=4
	v_mov_b32_e32 v1, 0
	v_cmp_ne_u32_e32 vcc, 0, v0
	buffer_store_dword v1, off, s[0:3], s33 offset:372 ; 4-byte Folded Spill
	s_and_saveexec_b64 s[36:37], vcc
	s_cbranch_execz .LBB6_8127
; %bb.8120:                             ;   in Loop: Header=BB6_5473 Depth=4
	v_bfe_u32 v16, v0, 23, 8
	v_cmp_gt_u32_e64 s[28:29], s47, v16
	v_sub_u32_e32 v0, 0x71, v16
	v_cmp_eq_u32_e32 vcc, 0, v16
	v_cndmask_b32_e64 v0, 0, v0, s[28:29]
	v_mov_b32_e32 v2, 0x70
	v_cndmask_b32_e32 v17, v0, v2, vcc
	v_add_u32_e32 v2, 21, v17
	v_or_b32_e32 v1, 0x800000, v32
	v_lshlrev_b64 v[20:21], v2, -1
	v_cndmask_b32_e32 v0, v1, v32, vcc
	v_mov_b32_e32 v1, v33
	v_add_u32_e32 v2, 20, v17
	v_bfi_b32 v20, v20, 0, v0
	v_lshlrev_b64 v[51:52], v2, 1
	v_lshrrev_b64 v[0:1], v17, v[0:1]
	v_bfi_b32 v21, v21, 0, 0
	v_cmp_eq_u64_e64 s[28:29], v[20:21], v[51:52]
	v_mov_b32_e32 v2, v1
	v_mov_b32_e32 v1, v0
	s_and_saveexec_b64 s[38:39], s[28:29]
; %bb.8121:                             ;   in Loop: Header=BB6_5473 Depth=4
	v_bfe_u32 v1, v0, 21, 1
	v_add_co_u32_e64 v1, s[28:29], v0, v1
	v_add_co_u32_e64 v1, s[28:29], -1, v1
; %bb.8122:                             ;   in Loop: Header=BB6_5473 Depth=4
	s_or_b64 exec, exec, s[38:39]
	v_add_u32_e32 v2, 0xffffff81, v16
	v_mov_b32_e32 v6, 0xffffff82
	v_cndmask_b32_e32 v2, v2, v6, vcc
	v_lshrrev_b32_e32 v6, 23, v0
	v_add3_u32 v16, v17, v2, v6
	v_add_u32_e32 v6, 14, v16
	v_and_b32_e32 v1, 0x1fffff, v1
	v_add_u32_e32 v32, v1, v0
	v_cmp_ne_u32_e32 vcc, 0, v6
                                        ; implicit-def: $vgpr0_vgpr1
                                        ; implicit-def: $vgpr2
	s_and_saveexec_b64 s[28:29], vcc
	s_xor_b64 s[28:29], exec, s[28:29]
; %bb.8123:                             ;   in Loop: Header=BB6_5473 Depth=4
	v_cmp_lt_u64_e32 vcc, s[88:89], v[32:33]
	v_add_u32_e32 v0, 15, v16
	v_cndmask_b32_e32 v2, v6, v0, vcc
	v_cndmask_b32_e64 v0, 0, 1, vcc
	v_lshrrev_b64 v[0:1], v0, v[32:33]
; %bb.8124:                             ;   in Loop: Header=BB6_5473 Depth=4
	s_andn2_saveexec_b64 s[28:29], s[28:29]
; %bb.8125:                             ;   in Loop: Header=BB6_5473 Depth=4
	v_mov_b32_e32 v0, v32
	v_mov_b32_e32 v1, v33
	v_bfe_u32 v2, v32, 23, 1
; %bb.8126:                             ;   in Loop: Header=BB6_5473 Depth=4
	s_or_b64 exec, exec, s[28:29]
	v_lshrrev_b64 v[0:1], 21, v[0:1]
	v_cmp_gt_i32_e32 vcc, 32, v2
	v_cndmask_b32_e32 v1, 0, v1, vcc
	v_cndmask_b32_e32 v0, 3, v0, vcc
	v_cmp_eq_u64_e64 s[28:29], 0, v[0:1]
	v_min_i32_e32 v1, 31, v2
	v_lshlrev_b32_e32 v1, 2, v1
	v_cmp_eq_u32_e32 vcc, 0, v2
	v_and_b32_e32 v1, 0xfc, v1
	v_and_or_b32 v0, v0, 3, v1
	s_and_b64 s[28:29], vcc, s[28:29]
	v_cndmask_b32_e64 v0, v0, 0, s[28:29]
	v_or_b32_e32 v0, v0, v4
	buffer_store_dword v0, off, s[0:3], s33 offset:372 ; 4-byte Folded Spill
.LBB6_8127:                             ;   in Loop: Header=BB6_5473 Depth=4
	s_or_b64 exec, exec, s[36:37]
                                        ; implicit-def: $vgpr4
.LBB6_8128:                             ;   in Loop: Header=BB6_5473 Depth=4
	s_andn2_saveexec_b64 s[28:29], s[34:35]
	s_cbranch_execz .LBB6_8130
; %bb.8129:                             ;   in Loop: Header=BB6_5473 Depth=4
	v_or_b32_e32 v0, 0x7b, v4
	buffer_store_dword v0, off, s[0:3], s33 offset:372 ; 4-byte Folded Spill
.LBB6_8130:                             ;   in Loop: Header=BB6_5473 Depth=4
	s_or_b64 exec, exec, s[28:29]
                                        ; implicit-def: $vgpr0
.LBB6_8131:                             ;   in Loop: Header=BB6_5473 Depth=4
	s_andn2_saveexec_b64 s[28:29], s[30:31]
	s_cbranch_execz .LBB6_8137
; %bb.8132:                             ;   in Loop: Header=BB6_5473 Depth=4
	v_cmp_ne_u64_e32 vcc, 0, v[32:33]
                                        ; implicit-def: $vgpr1
                                        ; kill: killed $vgpr1
	s_and_saveexec_b64 s[62:63], vcc
	s_xor_b64 vcc, exec, s[62:63]
	s_cbranch_execz .LBB6_8134
; %bb.8133:                             ;   in Loop: Header=BB6_5473 Depth=4
	v_or_b32_sdwa v0, v0, s44 dst_sel:DWORD dst_unused:UNUSED_PAD src0_sel:BYTE_3 src1_sel:DWORD
	buffer_store_dword v0, off, s[0:3], s33 offset:372 ; 4-byte Folded Spill
                                        ; implicit-def: $vgpr0
.LBB6_8134:                             ;   in Loop: Header=BB6_5473 Depth=4
	s_andn2_saveexec_b64 s[30:31], vcc
	s_cbranch_execz .LBB6_8136
; %bb.8135:                             ;   in Loop: Header=BB6_5473 Depth=4
	v_cmp_lt_i32_e32 vcc, -1, v0
	v_bfrev_b32_e32 v0, 0.5
	v_mov_b32_e32 v1, 0x7c
	v_cndmask_b32_e32 v0, v0, v1, vcc
	buffer_store_dword v0, off, s[0:3], s33 offset:372 ; 4-byte Folded Spill
.LBB6_8136:                             ;   in Loop: Header=BB6_5473 Depth=4
	s_or_b64 exec, exec, s[30:31]
.LBB6_8137:                             ;   in Loop: Header=BB6_5473 Depth=4
	s_or_b64 exec, exec, s[28:29]
	buffer_load_dword v0, off, s[0:3], s33 offset:320 ; 4-byte Folded Reload
	buffer_load_dword v1, off, s[0:3], s33 offset:344 ; 4-byte Folded Reload
	v_cmp_ne_u32_e32 vcc, 0, v31
	s_waitcnt vmcnt(1)
	v_lshl_or_b32 v4, v0, 8, v31
	buffer_load_dword v0, off, s[0:3], s33 offset:328 ; 4-byte Folded Reload
	s_waitcnt vmcnt(1)
	v_lshlrev_b32_e32 v1, 24, v1
	s_waitcnt vmcnt(0)
	v_lshlrev_b32_e32 v0, 16, v0
	v_or3_b32 v32, v0, v1, v4
	v_mov_b32_e32 v0, 0
	v_mov_b32_e32 v1, 0
	s_and_saveexec_b64 s[30:31], vcc
	s_cbranch_execz .LBB6_8145
; %bb.8138:                             ;   in Loop: Header=BB6_5473 Depth=4
	v_cmp_ne_u32_e32 vcc, s97, v31
	v_bfrev_b32_e32 v1, 1
	s_and_saveexec_b64 s[34:35], vcc
	s_cbranch_execz .LBB6_8144
; %bb.8139:                             ;   in Loop: Header=BB6_5473 Depth=4
	v_and_b32_e32 v1, 0x7c, v31
	v_and_b32_e32 v2, 3, v31
	v_cmp_ne_u32_e32 vcc, s86, v1
                                        ; implicit-def: $vgpr1
	s_and_saveexec_b64 s[28:29], vcc
	s_xor_b64 s[28:29], exec, s[28:29]
	s_cbranch_execz .LBB6_8141
; %bb.8140:                             ;   in Loop: Header=BB6_5473 Depth=4
	v_ffbh_u32_e32 v6, v2
	v_min_u32_e32 v6, 32, v6
	v_bfe_u32 v1, v31, 2, 5
	v_subrev_u32_e32 v17, 29, v6
	v_lshlrev_b64 v[20:21], v17, v[32:33]
	v_sub_u32_e32 v6, 30, v6
	v_cmp_eq_u32_e32 vcc, 0, v1
	v_cndmask_b32_e32 v1, v1, v6, vcc
	v_lshlrev_b32_e32 v6, 24, v31
	v_and_b32_e32 v17, 3, v20
	v_and_b32_e32 v6, 0x80000000, v6
	v_cndmask_b32_e32 v2, v2, v17, vcc
	v_lshl_add_u32 v1, v1, 23, v6
	v_lshl_or_b32 v1, v2, 21, v1
	v_add_u32_e32 v1, 0x38000000, v1
                                        ; implicit-def: $vgpr2
                                        ; implicit-def: $vgpr31
.LBB6_8141:                             ;   in Loop: Header=BB6_5473 Depth=4
	s_andn2_saveexec_b64 s[36:37], s[28:29]
; %bb.8142:                             ;   in Loop: Header=BB6_5473 Depth=4
	v_and_b32_e32 v1, 0x80, v31
	v_cmp_eq_u32_e32 vcc, 0, v2
	v_cmp_eq_u32_e64 s[28:29], 0, v1
	v_mov_b32_e32 v1, 0xff800000
	v_mov_b32_e32 v2, 0x7f800000
	v_cndmask_b32_e64 v1, v1, v2, s[28:29]
	v_mov_b32_e32 v2, 0x7f800001
	v_cndmask_b32_e32 v1, v2, v1, vcc
; %bb.8143:                             ;   in Loop: Header=BB6_5473 Depth=4
	s_or_b64 exec, exec, s[36:37]
.LBB6_8144:                             ;   in Loop: Header=BB6_5473 Depth=4
	s_or_b64 exec, exec, s[34:35]
.LBB6_8145:                             ;   in Loop: Header=BB6_5473 Depth=4
	s_or_b64 exec, exec, s[30:31]
	v_cmp_ne_u16_sdwa s[62:63], v18, v33 src0_sel:BYTE_0 src1_sel:DWORD
	s_and_saveexec_b64 s[28:29], s[62:63]
	s_cbranch_execz .LBB6_8153
; %bb.8146:                             ;   in Loop: Header=BB6_5473 Depth=4
	v_cmp_ne_u16_sdwa s[62:63], sext(v18), s46 src0_sel:BYTE_0 src1_sel:DWORD
	v_bfrev_b32_e32 v0, 1
	s_and_saveexec_b64 s[30:31], s[62:63]
	s_cbranch_execz .LBB6_8152
; %bb.8147:                             ;   in Loop: Header=BB6_5473 Depth=4
	v_and_b32_e32 v0, 0x7c, v18
	v_and_b32_e32 v2, 3, v18
	v_cmp_ne_u32_e32 vcc, s86, v0
                                        ; implicit-def: $vgpr0
	s_and_saveexec_b64 s[62:63], vcc
	s_xor_b64 s[34:35], exec, s[62:63]
	s_cbranch_execz .LBB6_8149
; %bb.8148:                             ;   in Loop: Header=BB6_5473 Depth=4
	v_ffbh_u32_e32 v6, v2
	v_min_u32_e32 v6, 32, v6
	v_bfe_u32 v0, v18, 2, 5
	v_subrev_u32_e32 v17, 29, v6
	v_lshlrev_b64 v[20:21], v17, v[18:19]
	v_sub_u32_e32 v6, 30, v6
	v_cmp_eq_u32_e32 vcc, 0, v0
	v_cndmask_b32_e32 v0, v0, v6, vcc
	v_lshlrev_b32_e32 v6, 24, v18
	v_and_b32_e32 v17, 3, v20
	v_and_b32_e32 v6, 0x80000000, v6
	v_cndmask_b32_e32 v2, v2, v17, vcc
	v_lshl_add_u32 v0, v0, 23, v6
	v_lshl_or_b32 v0, v2, 21, v0
	v_add_u32_e32 v0, 0x38000000, v0
                                        ; implicit-def: $vgpr2
.LBB6_8149:                             ;   in Loop: Header=BB6_5473 Depth=4
	s_andn2_saveexec_b64 s[34:35], s[34:35]
; %bb.8150:                             ;   in Loop: Header=BB6_5473 Depth=4
	v_mov_b32_e32 v0, -1
	v_cmp_gt_i16_sdwa vcc, sext(v18), v0 src0_sel:BYTE_0 src1_sel:DWORD
	v_mov_b32_e32 v0, 0xff800000
	v_mov_b32_e32 v6, 0x7f800000
	v_cndmask_b32_e32 v0, v0, v6, vcc
	v_cmp_eq_u32_e32 vcc, 0, v2
	v_mov_b32_e32 v2, 0x7f800001
	v_cndmask_b32_e32 v0, v2, v0, vcc
; %bb.8151:                             ;   in Loop: Header=BB6_5473 Depth=4
	s_or_b64 exec, exec, s[34:35]
.LBB6_8152:                             ;   in Loop: Header=BB6_5473 Depth=4
	s_or_b64 exec, exec, s[30:31]
.LBB6_8153:                             ;   in Loop: Header=BB6_5473 Depth=4
	s_or_b64 exec, exec, s[28:29]
	v_add_f32_e32 v2, v1, v0
	v_and_b32_e32 v20, 0x7f800000, v2
	v_mov_b32_e32 v21, v33
	v_cmp_ne_u64_e32 vcc, s[76:77], v[20:21]
	v_and_b32_e32 v0, 0x7fffff, v2
	v_mov_b32_e32 v1, v33
                                        ; implicit-def: $vgpr17
	s_and_saveexec_b64 s[28:29], vcc
	s_xor_b64 s[30:31], exec, s[28:29]
	s_cbranch_execz .LBB6_8167
; %bb.8154:                             ;   in Loop: Header=BB6_5473 Depth=4
	v_and_b32_e32 v20, 0x7fffffff, v2
	v_mov_b32_e32 v21, v33
	v_cmp_gt_u64_e32 vcc, s[78:79], v[20:21]
	v_and_b32_sdwa v20, v2, s97 dst_sel:DWORD dst_unused:UNUSED_PAD src0_sel:BYTE_3 src1_sel:DWORD
                                        ; implicit-def: $vgpr17
	s_and_saveexec_b64 s[28:29], vcc
	s_xor_b64 s[34:35], exec, s[28:29]
	s_cbranch_execz .LBB6_8164
; %bb.8155:                             ;   in Loop: Header=BB6_5473 Depth=4
	v_mov_b32_e32 v17, 0
	v_cmp_ne_u32_e32 vcc, 0, v2
	s_and_saveexec_b64 s[36:37], vcc
	s_cbranch_execz .LBB6_8163
; %bb.8156:                             ;   in Loop: Header=BB6_5473 Depth=4
	v_bfe_u32 v17, v2, 23, 8
	v_cmp_gt_u32_e64 s[28:29], s47, v17
	v_sub_u32_e32 v2, 0x71, v17
	v_cmp_eq_u32_e32 vcc, 0, v17
	v_cndmask_b32_e64 v2, 0, v2, s[28:29]
	v_mov_b32_e32 v21, 0x70
	v_cndmask_b32_e32 v21, v2, v21, vcc
	v_add_u32_e32 v2, 21, v21
	v_or_b32_e32 v6, 0x800000, v0
	v_lshlrev_b64 v[30:31], v2, -1
	v_cndmask_b32_e32 v0, v6, v0, vcc
	v_add_u32_e32 v2, 20, v21
	v_bfi_b32 v30, v30, 0, v0
	v_lshlrev_b64 v[51:52], v2, 1
	v_lshrrev_b64 v[0:1], v21, v[0:1]
	v_bfi_b32 v31, v31, 0, 0
	v_cmp_eq_u64_e64 s[28:29], v[30:31], v[51:52]
	v_mov_b32_e32 v2, v1
	v_mov_b32_e32 v1, v0
	s_and_saveexec_b64 s[38:39], s[28:29]
; %bb.8157:                             ;   in Loop: Header=BB6_5473 Depth=4
	v_bfe_u32 v1, v0, 21, 1
	v_add_co_u32_e64 v1, s[28:29], v0, v1
	v_add_co_u32_e64 v1, s[28:29], -1, v1
; %bb.8158:                             ;   in Loop: Header=BB6_5473 Depth=4
	s_or_b64 exec, exec, s[38:39]
	v_add_u32_e32 v2, 0xffffff81, v17
	v_mov_b32_e32 v6, 0xffffff82
	v_cndmask_b32_e32 v2, v2, v6, vcc
	v_lshrrev_b32_e32 v6, 23, v0
	v_add3_u32 v17, v21, v2, v6
	v_add_u32_e32 v6, 14, v17
	v_and_b32_e32 v1, 0x1fffff, v1
	v_add_u32_e32 v0, v1, v0
	v_mov_b32_e32 v1, v33
	v_cmp_ne_u32_e32 vcc, 0, v6
                                        ; implicit-def: $vgpr2
	s_and_saveexec_b64 s[28:29], vcc
	s_xor_b64 s[28:29], exec, s[28:29]
; %bb.8159:                             ;   in Loop: Header=BB6_5473 Depth=4
	v_cmp_lt_u64_e32 vcc, s[88:89], v[0:1]
	v_add_u32_e32 v2, 15, v17
	v_cndmask_b32_e32 v2, v6, v2, vcc
	v_cndmask_b32_e64 v6, 0, 1, vcc
	v_lshrrev_b64 v[0:1], v6, v[0:1]
; %bb.8160:                             ;   in Loop: Header=BB6_5473 Depth=4
	s_andn2_saveexec_b64 s[28:29], s[28:29]
; %bb.8161:                             ;   in Loop: Header=BB6_5473 Depth=4
	v_bfe_u32 v2, v0, 23, 1
; %bb.8162:                             ;   in Loop: Header=BB6_5473 Depth=4
	s_or_b64 exec, exec, s[28:29]
	v_lshrrev_b64 v[0:1], 21, v[0:1]
	v_cmp_gt_i32_e32 vcc, 32, v2
	v_cndmask_b32_e32 v1, 0, v1, vcc
	v_cndmask_b32_e32 v0, 3, v0, vcc
	v_cmp_eq_u64_e64 s[28:29], 0, v[0:1]
	v_min_i32_e32 v1, 31, v2
	v_lshlrev_b32_e32 v1, 2, v1
	v_cmp_eq_u32_e32 vcc, 0, v2
	v_and_b32_e32 v1, 0xfc, v1
	v_and_or_b32 v0, v0, 3, v1
	s_and_b64 s[28:29], vcc, s[28:29]
	v_cndmask_b32_e64 v0, v0, 0, s[28:29]
	v_or_b32_e32 v17, v0, v20
.LBB6_8163:                             ;   in Loop: Header=BB6_5473 Depth=4
	s_or_b64 exec, exec, s[36:37]
                                        ; implicit-def: $vgpr20
.LBB6_8164:                             ;   in Loop: Header=BB6_5473 Depth=4
	s_andn2_saveexec_b64 s[28:29], s[34:35]
; %bb.8165:                             ;   in Loop: Header=BB6_5473 Depth=4
	v_or_b32_e32 v17, 0x7b, v20
; %bb.8166:                             ;   in Loop: Header=BB6_5473 Depth=4
	s_or_b64 exec, exec, s[28:29]
                                        ; implicit-def: $vgpr2
                                        ; implicit-def: $vgpr0_vgpr1
.LBB6_8167:                             ;   in Loop: Header=BB6_5473 Depth=4
	s_andn2_saveexec_b64 s[28:29], s[30:31]
	s_cbranch_execz .LBB6_8173
; %bb.8168:                             ;   in Loop: Header=BB6_5473 Depth=4
	v_cmp_ne_u64_e32 vcc, 0, v[0:1]
                                        ; implicit-def: $vgpr17
	s_and_saveexec_b64 s[62:63], vcc
	s_xor_b64 vcc, exec, s[62:63]
; %bb.8169:                             ;   in Loop: Header=BB6_5473 Depth=4
	v_or_b32_sdwa v17, v2, s44 dst_sel:DWORD dst_unused:UNUSED_PAD src0_sel:BYTE_3 src1_sel:DWORD
                                        ; implicit-def: $vgpr2
; %bb.8170:                             ;   in Loop: Header=BB6_5473 Depth=4
	s_andn2_saveexec_b64 s[30:31], vcc
; %bb.8171:                             ;   in Loop: Header=BB6_5473 Depth=4
	v_cmp_lt_i32_e32 vcc, -1, v2
	v_bfrev_b32_e32 v0, 0.5
	v_mov_b32_e32 v1, 0x7c
	v_cndmask_b32_e32 v17, v0, v1, vcc
; %bb.8172:                             ;   in Loop: Header=BB6_5473 Depth=4
	s_or_b64 exec, exec, s[30:31]
.LBB6_8173:                             ;   in Loop: Header=BB6_5473 Depth=4
	s_or_b64 exec, exec, s[28:29]
	v_lshrrev_b16_e32 v0, 8, v4
	v_cmp_ne_u16_e32 vcc, 0, v0
	v_mov_b32_e32 v2, 0
	v_mov_b32_e32 v20, 0
	s_and_saveexec_b64 s[28:29], vcc
	s_cbranch_execz .LBB6_8181
; %bb.8174:                             ;   in Loop: Header=BB6_5473 Depth=4
	v_cmp_ne_u16_e32 vcc, s97, v0
	v_bfrev_b32_e32 v20, 1
	s_and_saveexec_b64 s[30:31], vcc
	s_cbranch_execz .LBB6_8180
; %bb.8175:                             ;   in Loop: Header=BB6_5473 Depth=4
	v_and_b32_e32 v1, 0x7c, v0
	v_and_b32_e32 v6, 3, v0
	v_cmp_ne_u32_e32 vcc, s86, v1
                                        ; implicit-def: $vgpr20
	s_and_saveexec_b64 s[62:63], vcc
	s_xor_b64 s[34:35], exec, s[62:63]
	s_cbranch_execz .LBB6_8177
; %bb.8176:                             ;   in Loop: Header=BB6_5473 Depth=4
	v_ffbh_u32_e32 v21, v6
	v_min_u32_e32 v21, 32, v21
	v_mov_b32_e32 v1, v33
	v_subrev_u32_e32 v22, 29, v21
	v_bfe_u32 v20, v0, 2, 5
	v_lshlrev_b64 v[0:1], v22, v[0:1]
	v_sub_u32_e32 v1, 30, v21
	v_cmp_eq_u32_e32 vcc, 0, v20
	v_lshlrev_b32_e32 v4, 16, v4
	v_and_b32_e32 v0, 3, v0
	v_cndmask_b32_e32 v1, v20, v1, vcc
	v_and_b32_e32 v4, 0x80000000, v4
	v_cndmask_b32_e32 v0, v6, v0, vcc
	v_lshl_add_u32 v1, v1, 23, v4
	v_lshl_or_b32 v0, v0, 21, v1
	v_add_u32_e32 v20, 0x38000000, v0
                                        ; implicit-def: $vgpr6
                                        ; implicit-def: $vgpr4
.LBB6_8177:                             ;   in Loop: Header=BB6_5473 Depth=4
	s_andn2_saveexec_b64 s[34:35], s[34:35]
; %bb.8178:                             ;   in Loop: Header=BB6_5473 Depth=4
	v_cmp_lt_i16_e32 vcc, -1, v4
	v_mov_b32_e32 v0, 0xff800000
	v_mov_b32_e32 v1, 0x7f800000
	v_cndmask_b32_e32 v0, v0, v1, vcc
	v_cmp_eq_u32_e32 vcc, 0, v6
	v_mov_b32_e32 v1, 0x7f800001
	v_cndmask_b32_e32 v20, v1, v0, vcc
; %bb.8179:                             ;   in Loop: Header=BB6_5473 Depth=4
	s_or_b64 exec, exec, s[34:35]
.LBB6_8180:                             ;   in Loop: Header=BB6_5473 Depth=4
	s_or_b64 exec, exec, s[30:31]
.LBB6_8181:                             ;   in Loop: Header=BB6_5473 Depth=4
	s_or_b64 exec, exec, s[28:29]
	v_lshrrev_b16_e32 v0, 8, v18
	v_cmp_ne_u16_e32 vcc, 0, v0
	s_and_saveexec_b64 s[28:29], vcc
	s_cbranch_execz .LBB6_8189
; %bb.8182:                             ;   in Loop: Header=BB6_5473 Depth=4
	v_cmp_ne_u16_e32 vcc, s97, v0
	v_bfrev_b32_e32 v2, 1
	s_and_saveexec_b64 s[30:31], vcc
	s_cbranch_execz .LBB6_8188
; %bb.8183:                             ;   in Loop: Header=BB6_5473 Depth=4
	v_and_b32_e32 v1, 0x7c, v0
	v_and_b32_e32 v4, 3, v0
	v_cmp_ne_u32_e32 vcc, s86, v1
                                        ; implicit-def: $vgpr2
	s_and_saveexec_b64 s[62:63], vcc
	s_xor_b64 s[34:35], exec, s[62:63]
	s_cbranch_execz .LBB6_8185
; %bb.8184:                             ;   in Loop: Header=BB6_5473 Depth=4
	v_ffbh_u32_e32 v6, v4
	v_min_u32_e32 v6, 32, v6
	v_mov_b32_e32 v1, v33
	v_subrev_u32_e32 v21, 29, v6
	v_bfe_u32 v2, v0, 2, 5
	v_lshlrev_b64 v[0:1], v21, v[0:1]
	v_sub_u32_e32 v1, 30, v6
	v_cmp_eq_u32_e32 vcc, 0, v2
	v_cndmask_b32_e32 v1, v2, v1, vcc
	v_lshlrev_b32_e32 v2, 16, v18
	v_and_b32_e32 v0, 3, v0
	v_and_b32_e32 v2, 0x80000000, v2
	v_cndmask_b32_e32 v0, v4, v0, vcc
	v_lshl_add_u32 v1, v1, 23, v2
	v_lshl_or_b32 v0, v0, 21, v1
	v_add_u32_e32 v2, 0x38000000, v0
                                        ; implicit-def: $vgpr4
.LBB6_8185:                             ;   in Loop: Header=BB6_5473 Depth=4
	s_andn2_saveexec_b64 s[34:35], s[34:35]
; %bb.8186:                             ;   in Loop: Header=BB6_5473 Depth=4
	v_cmp_lt_i16_e32 vcc, -1, v18
	v_mov_b32_e32 v0, 0xff800000
	v_mov_b32_e32 v1, 0x7f800000
	v_cndmask_b32_e32 v0, v0, v1, vcc
	v_cmp_eq_u32_e32 vcc, 0, v4
	v_mov_b32_e32 v1, 0x7f800001
	v_cndmask_b32_e32 v2, v1, v0, vcc
; %bb.8187:                             ;   in Loop: Header=BB6_5473 Depth=4
	s_or_b64 exec, exec, s[34:35]
.LBB6_8188:                             ;   in Loop: Header=BB6_5473 Depth=4
	s_or_b64 exec, exec, s[30:31]
.LBB6_8189:                             ;   in Loop: Header=BB6_5473 Depth=4
	s_or_b64 exec, exec, s[28:29]
	v_add_f32_e32 v2, v20, v2
	v_and_b32_e32 v20, 0x7f800000, v2
	v_mov_b32_e32 v21, v33
	v_cmp_ne_u64_e32 vcc, s[76:77], v[20:21]
	v_and_b32_e32 v0, 0x7fffff, v2
	v_mov_b32_e32 v1, v33
                                        ; implicit-def: $vgpr31
	s_and_saveexec_b64 s[28:29], vcc
	s_xor_b64 s[30:31], exec, s[28:29]
	s_cbranch_execz .LBB6_8203
; %bb.8190:                             ;   in Loop: Header=BB6_5473 Depth=4
	v_and_b32_e32 v20, 0x7fffffff, v2
	v_mov_b32_e32 v21, v33
	v_cmp_gt_u64_e32 vcc, s[78:79], v[20:21]
	v_and_b32_sdwa v4, v2, s97 dst_sel:DWORD dst_unused:UNUSED_PAD src0_sel:BYTE_3 src1_sel:DWORD
                                        ; implicit-def: $vgpr31
	s_and_saveexec_b64 s[28:29], vcc
	s_xor_b64 s[34:35], exec, s[28:29]
	s_cbranch_execz .LBB6_8200
; %bb.8191:                             ;   in Loop: Header=BB6_5473 Depth=4
	v_mov_b32_e32 v31, 0
	v_cmp_ne_u32_e32 vcc, 0, v2
	s_and_saveexec_b64 s[36:37], vcc
	s_cbranch_execz .LBB6_8199
; %bb.8192:                             ;   in Loop: Header=BB6_5473 Depth=4
	v_bfe_u32 v20, v2, 23, 8
	v_cmp_gt_u32_e64 s[28:29], s47, v20
	v_sub_u32_e32 v2, 0x71, v20
	v_cmp_eq_u32_e32 vcc, 0, v20
	v_cndmask_b32_e64 v2, 0, v2, s[28:29]
	v_mov_b32_e32 v21, 0x70
	v_cndmask_b32_e32 v21, v2, v21, vcc
	v_add_u32_e32 v2, 21, v21
	v_or_b32_e32 v6, 0x800000, v0
	v_lshlrev_b64 v[30:31], v2, -1
	v_cndmask_b32_e32 v0, v6, v0, vcc
	v_add_u32_e32 v2, 20, v21
	v_bfi_b32 v30, v30, 0, v0
	v_lshlrev_b64 v[51:52], v2, 1
	v_lshrrev_b64 v[0:1], v21, v[0:1]
	v_bfi_b32 v31, v31, 0, 0
	v_cmp_eq_u64_e64 s[28:29], v[30:31], v[51:52]
	v_mov_b32_e32 v2, v1
	v_mov_b32_e32 v1, v0
	s_and_saveexec_b64 s[38:39], s[28:29]
; %bb.8193:                             ;   in Loop: Header=BB6_5473 Depth=4
	v_bfe_u32 v1, v0, 21, 1
	v_add_co_u32_e64 v1, s[28:29], v0, v1
	v_add_co_u32_e64 v1, s[28:29], -1, v1
; %bb.8194:                             ;   in Loop: Header=BB6_5473 Depth=4
	s_or_b64 exec, exec, s[38:39]
	v_add_u32_e32 v2, 0xffffff81, v20
	v_mov_b32_e32 v6, 0xffffff82
	v_cndmask_b32_e32 v2, v2, v6, vcc
	v_lshrrev_b32_e32 v6, 23, v0
	v_add3_u32 v20, v21, v2, v6
	v_add_u32_e32 v6, 14, v20
	v_and_b32_e32 v1, 0x1fffff, v1
	v_add_u32_e32 v0, v1, v0
	v_mov_b32_e32 v1, v33
	v_cmp_ne_u32_e32 vcc, 0, v6
                                        ; implicit-def: $vgpr2
	s_and_saveexec_b64 s[28:29], vcc
	s_xor_b64 s[28:29], exec, s[28:29]
; %bb.8195:                             ;   in Loop: Header=BB6_5473 Depth=4
	v_cmp_lt_u64_e32 vcc, s[88:89], v[0:1]
	v_add_u32_e32 v2, 15, v20
	v_cndmask_b32_e32 v2, v6, v2, vcc
	v_cndmask_b32_e64 v6, 0, 1, vcc
	v_lshrrev_b64 v[0:1], v6, v[0:1]
; %bb.8196:                             ;   in Loop: Header=BB6_5473 Depth=4
	s_andn2_saveexec_b64 s[28:29], s[28:29]
; %bb.8197:                             ;   in Loop: Header=BB6_5473 Depth=4
	v_bfe_u32 v2, v0, 23, 1
; %bb.8198:                             ;   in Loop: Header=BB6_5473 Depth=4
	s_or_b64 exec, exec, s[28:29]
	v_lshrrev_b64 v[0:1], 21, v[0:1]
	v_cmp_gt_i32_e32 vcc, 32, v2
	v_cndmask_b32_e32 v1, 0, v1, vcc
	v_cndmask_b32_e32 v0, 3, v0, vcc
	v_cmp_eq_u64_e64 s[28:29], 0, v[0:1]
	v_min_i32_e32 v1, 31, v2
	v_lshlrev_b32_e32 v1, 2, v1
	v_cmp_eq_u32_e32 vcc, 0, v2
	v_and_b32_e32 v1, 0xfc, v1
	v_and_or_b32 v0, v0, 3, v1
	s_and_b64 s[28:29], vcc, s[28:29]
	v_cndmask_b32_e64 v0, v0, 0, s[28:29]
	v_or_b32_e32 v31, v0, v4
.LBB6_8199:                             ;   in Loop: Header=BB6_5473 Depth=4
	s_or_b64 exec, exec, s[36:37]
                                        ; implicit-def: $vgpr4
.LBB6_8200:                             ;   in Loop: Header=BB6_5473 Depth=4
	s_andn2_saveexec_b64 s[28:29], s[34:35]
; %bb.8201:                             ;   in Loop: Header=BB6_5473 Depth=4
	v_or_b32_e32 v31, 0x7b, v4
; %bb.8202:                             ;   in Loop: Header=BB6_5473 Depth=4
	s_or_b64 exec, exec, s[28:29]
                                        ; implicit-def: $vgpr2
                                        ; implicit-def: $vgpr0_vgpr1
.LBB6_8203:                             ;   in Loop: Header=BB6_5473 Depth=4
	s_andn2_saveexec_b64 s[28:29], s[30:31]
	s_cbranch_execz .LBB6_8209
; %bb.8204:                             ;   in Loop: Header=BB6_5473 Depth=4
	v_cmp_ne_u64_e32 vcc, 0, v[0:1]
                                        ; implicit-def: $vgpr31
	s_and_saveexec_b64 s[62:63], vcc
	s_xor_b64 vcc, exec, s[62:63]
; %bb.8205:                             ;   in Loop: Header=BB6_5473 Depth=4
	v_or_b32_sdwa v31, v2, s44 dst_sel:DWORD dst_unused:UNUSED_PAD src0_sel:BYTE_3 src1_sel:DWORD
                                        ; implicit-def: $vgpr2
; %bb.8206:                             ;   in Loop: Header=BB6_5473 Depth=4
	s_andn2_saveexec_b64 s[30:31], vcc
; %bb.8207:                             ;   in Loop: Header=BB6_5473 Depth=4
	v_cmp_lt_i32_e32 vcc, -1, v2
	v_bfrev_b32_e32 v0, 0.5
	v_mov_b32_e32 v1, 0x7c
	v_cndmask_b32_e32 v31, v0, v1, vcc
; %bb.8208:                             ;   in Loop: Header=BB6_5473 Depth=4
	s_or_b64 exec, exec, s[30:31]
.LBB6_8209:                             ;   in Loop: Header=BB6_5473 Depth=4
	s_or_b64 exec, exec, s[28:29]
	v_and_b32_sdwa v4, v32, s96 dst_sel:DWORD dst_unused:UNUSED_PAD src0_sel:WORD_1 src1_sel:DWORD
	v_lshrrev_b32_e32 v0, 16, v32
	v_cmp_ne_u16_e32 vcc, 0, v4
	v_mov_b32_e32 v1, 0
	v_mov_b32_e32 v2, 0
	s_and_saveexec_b64 s[28:29], vcc
	s_cbranch_execz .LBB6_8217
; %bb.8210:                             ;   in Loop: Header=BB6_5473 Depth=4
	v_cmp_ne_u16_e32 vcc, s97, v4
	v_bfrev_b32_e32 v2, 1
	s_and_saveexec_b64 s[30:31], vcc
	s_cbranch_execz .LBB6_8216
; %bb.8211:                             ;   in Loop: Header=BB6_5473 Depth=4
	v_and_b32_e32 v2, 0x7c0000, v32
	v_bfe_u32 v4, v32, 16, 2
	v_cmp_ne_u32_e32 vcc, s45, v2
                                        ; implicit-def: $vgpr2
	s_and_saveexec_b64 s[62:63], vcc
	s_xor_b64 s[34:35], exec, s[62:63]
	s_cbranch_execz .LBB6_8213
; %bb.8212:                             ;   in Loop: Header=BB6_5473 Depth=4
	v_ffbh_u32_e32 v6, v4
	v_min_u32_e32 v6, 32, v6
	v_subrev_u32_e32 v20, 29, v6
	v_lshlrev_b64 v[20:21], v20, v[0:1]
	v_bfe_u32 v2, v32, 18, 5
	v_sub_u32_e32 v0, 30, v6
	v_and_b32_e32 v6, 3, v20
	v_cmp_eq_u32_e32 vcc, 0, v2
	v_cndmask_b32_e32 v0, v2, v0, vcc
	v_cndmask_b32_e32 v2, v4, v6, vcc
	v_lshlrev_b32_e32 v4, 8, v32
	v_and_b32_e32 v4, 0x80000000, v4
	v_lshl_add_u32 v0, v0, 23, v4
	v_lshl_or_b32 v0, v2, 21, v0
	v_add_u32_e32 v2, 0x38000000, v0
                                        ; implicit-def: $vgpr4
                                        ; implicit-def: $vgpr0
.LBB6_8213:                             ;   in Loop: Header=BB6_5473 Depth=4
	s_andn2_saveexec_b64 s[34:35], s[34:35]
; %bb.8214:                             ;   in Loop: Header=BB6_5473 Depth=4
	v_mov_b32_e32 v2, -1
	v_cmp_gt_i16_sdwa vcc, sext(v0), v2 src0_sel:BYTE_0 src1_sel:DWORD
	v_mov_b32_e32 v0, 0xff800000
	v_mov_b32_e32 v2, 0x7f800000
	v_cndmask_b32_e32 v0, v0, v2, vcc
	v_cmp_eq_u32_e32 vcc, 0, v4
	v_mov_b32_e32 v2, 0x7f800001
	v_cndmask_b32_e32 v2, v2, v0, vcc
; %bb.8215:                             ;   in Loop: Header=BB6_5473 Depth=4
	s_or_b64 exec, exec, s[34:35]
.LBB6_8216:                             ;   in Loop: Header=BB6_5473 Depth=4
	s_or_b64 exec, exec, s[30:31]
.LBB6_8217:                             ;   in Loop: Header=BB6_5473 Depth=4
	s_or_b64 exec, exec, s[28:29]
	v_lshrrev_b32_e32 v0, 16, v18
	v_cmp_ne_u16_sdwa s[62:63], v0, v33 src0_sel:BYTE_0 src1_sel:DWORD
	s_and_saveexec_b64 s[28:29], s[62:63]
	s_cbranch_execz .LBB6_8225
; %bb.8218:                             ;   in Loop: Header=BB6_5473 Depth=4
	v_cmp_ne_u16_sdwa s[62:63], v0, s97 src0_sel:BYTE_0 src1_sel:DWORD
	v_bfrev_b32_e32 v1, 1
	s_and_saveexec_b64 s[30:31], s[62:63]
	s_cbranch_execz .LBB6_8224
; %bb.8219:                             ;   in Loop: Header=BB6_5473 Depth=4
	v_and_b32_e32 v1, 0x7c0000, v18
	v_bfe_u32 v4, v18, 16, 2
	v_cmp_ne_u32_e32 vcc, s45, v1
                                        ; implicit-def: $vgpr1
	s_and_saveexec_b64 s[62:63], vcc
	s_xor_b64 s[34:35], exec, s[62:63]
	s_cbranch_execz .LBB6_8221
; %bb.8220:                             ;   in Loop: Header=BB6_5473 Depth=4
	v_ffbh_u32_e32 v1, v4
	v_min_u32_e32 v20, 32, v1
	v_subrev_u32_e32 v1, 29, v20
	v_lshlrev_b64 v[0:1], v1, v[0:1]
	v_bfe_u32 v6, v18, 18, 5
	v_and_b32_e32 v0, 3, v0
	v_cmp_eq_u32_e32 vcc, 0, v6
	v_sub_u32_e32 v1, 30, v20
	v_cndmask_b32_e32 v0, v4, v0, vcc
	v_lshlrev_b32_e32 v4, 8, v18
	v_cndmask_b32_e32 v1, v6, v1, vcc
	v_and_b32_e32 v4, 0x80000000, v4
	v_lshl_add_u32 v1, v1, 23, v4
	v_lshl_or_b32 v0, v0, 21, v1
	v_add_u32_e32 v1, 0x38000000, v0
                                        ; implicit-def: $vgpr4
                                        ; implicit-def: $vgpr0
.LBB6_8221:                             ;   in Loop: Header=BB6_5473 Depth=4
	s_andn2_saveexec_b64 s[34:35], s[34:35]
; %bb.8222:                             ;   in Loop: Header=BB6_5473 Depth=4
	v_mov_b32_e32 v1, -1
	v_cmp_gt_i16_sdwa vcc, sext(v0), v1 src0_sel:BYTE_0 src1_sel:DWORD
	v_mov_b32_e32 v0, 0xff800000
	v_mov_b32_e32 v1, 0x7f800000
	v_cndmask_b32_e32 v0, v0, v1, vcc
	v_cmp_eq_u32_e32 vcc, 0, v4
	v_mov_b32_e32 v1, 0x7f800001
	v_cndmask_b32_e32 v1, v1, v0, vcc
; %bb.8223:                             ;   in Loop: Header=BB6_5473 Depth=4
	s_or_b64 exec, exec, s[34:35]
.LBB6_8224:                             ;   in Loop: Header=BB6_5473 Depth=4
	s_or_b64 exec, exec, s[30:31]
.LBB6_8225:                             ;   in Loop: Header=BB6_5473 Depth=4
	s_or_b64 exec, exec, s[28:29]
	v_add_f32_e32 v2, v2, v1
	v_and_b32_e32 v20, 0x7f800000, v2
	v_mov_b32_e32 v21, v33
	v_cmp_ne_u64_e32 vcc, s[76:77], v[20:21]
	v_and_b32_e32 v0, 0x7fffff, v2
	v_mov_b32_e32 v1, v33
                                        ; implicit-def: $vgpr51
	s_and_saveexec_b64 s[28:29], vcc
	s_xor_b64 s[30:31], exec, s[28:29]
	s_cbranch_execz .LBB6_8239
; %bb.8226:                             ;   in Loop: Header=BB6_5473 Depth=4
	v_and_b32_e32 v20, 0x7fffffff, v2
	v_mov_b32_e32 v21, v33
	v_cmp_gt_u64_e32 vcc, s[78:79], v[20:21]
	v_and_b32_sdwa v4, v2, s97 dst_sel:DWORD dst_unused:UNUSED_PAD src0_sel:BYTE_3 src1_sel:DWORD
                                        ; implicit-def: $vgpr51
	s_and_saveexec_b64 s[28:29], vcc
	s_xor_b64 s[34:35], exec, s[28:29]
	s_cbranch_execz .LBB6_8236
; %bb.8227:                             ;   in Loop: Header=BB6_5473 Depth=4
	v_mov_b32_e32 v51, 0
	v_cmp_ne_u32_e32 vcc, 0, v2
	s_and_saveexec_b64 s[36:37], vcc
	s_cbranch_execz .LBB6_8235
; %bb.8228:                             ;   in Loop: Header=BB6_5473 Depth=4
	v_bfe_u32 v20, v2, 23, 8
	v_cmp_gt_u32_e64 s[28:29], s47, v20
	v_sub_u32_e32 v2, 0x71, v20
	v_cmp_eq_u32_e32 vcc, 0, v20
	v_cndmask_b32_e64 v2, 0, v2, s[28:29]
	v_mov_b32_e32 v21, 0x70
	v_cndmask_b32_e32 v21, v2, v21, vcc
	v_add_u32_e32 v2, 21, v21
	v_or_b32_e32 v6, 0x800000, v0
	v_lshlrev_b64 v[51:52], v2, -1
	v_cndmask_b32_e32 v0, v6, v0, vcc
	v_add_u32_e32 v2, 20, v21
	v_bfi_b32 v51, v51, 0, v0
	v_lshlrev_b64 v[53:54], v2, 1
	v_lshrrev_b64 v[0:1], v21, v[0:1]
	v_bfi_b32 v52, v52, 0, 0
	v_cmp_eq_u64_e64 s[28:29], v[51:52], v[53:54]
	v_mov_b32_e32 v2, v1
	v_mov_b32_e32 v1, v0
	s_and_saveexec_b64 s[38:39], s[28:29]
; %bb.8229:                             ;   in Loop: Header=BB6_5473 Depth=4
	v_bfe_u32 v1, v0, 21, 1
	v_add_co_u32_e64 v1, s[28:29], v0, v1
	v_add_co_u32_e64 v1, s[28:29], -1, v1
; %bb.8230:                             ;   in Loop: Header=BB6_5473 Depth=4
	s_or_b64 exec, exec, s[38:39]
	v_add_u32_e32 v2, 0xffffff81, v20
	v_mov_b32_e32 v6, 0xffffff82
	v_cndmask_b32_e32 v2, v2, v6, vcc
	v_lshrrev_b32_e32 v6, 23, v0
	v_add3_u32 v20, v21, v2, v6
	v_add_u32_e32 v6, 14, v20
	v_and_b32_e32 v1, 0x1fffff, v1
	v_add_u32_e32 v0, v1, v0
	v_mov_b32_e32 v1, v33
	v_cmp_ne_u32_e32 vcc, 0, v6
                                        ; implicit-def: $vgpr2
	s_and_saveexec_b64 s[28:29], vcc
	s_xor_b64 s[28:29], exec, s[28:29]
; %bb.8231:                             ;   in Loop: Header=BB6_5473 Depth=4
	v_cmp_lt_u64_e32 vcc, s[88:89], v[0:1]
	v_add_u32_e32 v2, 15, v20
	v_cndmask_b32_e32 v2, v6, v2, vcc
	v_cndmask_b32_e64 v6, 0, 1, vcc
	v_lshrrev_b64 v[0:1], v6, v[0:1]
; %bb.8232:                             ;   in Loop: Header=BB6_5473 Depth=4
	s_andn2_saveexec_b64 s[28:29], s[28:29]
; %bb.8233:                             ;   in Loop: Header=BB6_5473 Depth=4
	v_bfe_u32 v2, v0, 23, 1
; %bb.8234:                             ;   in Loop: Header=BB6_5473 Depth=4
	s_or_b64 exec, exec, s[28:29]
	v_lshrrev_b64 v[0:1], 21, v[0:1]
	v_cmp_gt_i32_e32 vcc, 32, v2
	v_cndmask_b32_e32 v1, 0, v1, vcc
	v_cndmask_b32_e32 v0, 3, v0, vcc
	v_cmp_eq_u64_e64 s[28:29], 0, v[0:1]
	v_min_i32_e32 v1, 31, v2
	v_lshlrev_b32_e32 v1, 2, v1
	v_cmp_eq_u32_e32 vcc, 0, v2
	v_and_b32_e32 v1, 0xfc, v1
	v_and_or_b32 v0, v0, 3, v1
	s_and_b64 s[28:29], vcc, s[28:29]
	v_cndmask_b32_e64 v0, v0, 0, s[28:29]
	v_or_b32_e32 v51, v0, v4
.LBB6_8235:                             ;   in Loop: Header=BB6_5473 Depth=4
	s_or_b64 exec, exec, s[36:37]
                                        ; implicit-def: $vgpr4
.LBB6_8236:                             ;   in Loop: Header=BB6_5473 Depth=4
	s_andn2_saveexec_b64 s[28:29], s[34:35]
; %bb.8237:                             ;   in Loop: Header=BB6_5473 Depth=4
	v_or_b32_e32 v51, 0x7b, v4
; %bb.8238:                             ;   in Loop: Header=BB6_5473 Depth=4
	s_or_b64 exec, exec, s[28:29]
                                        ; implicit-def: $vgpr2
                                        ; implicit-def: $vgpr0_vgpr1
.LBB6_8239:                             ;   in Loop: Header=BB6_5473 Depth=4
	s_andn2_saveexec_b64 s[28:29], s[30:31]
	s_cbranch_execz .LBB6_8245
; %bb.8240:                             ;   in Loop: Header=BB6_5473 Depth=4
	v_cmp_ne_u64_e32 vcc, 0, v[0:1]
                                        ; implicit-def: $vgpr51
	s_and_saveexec_b64 s[62:63], vcc
	s_xor_b64 vcc, exec, s[62:63]
; %bb.8241:                             ;   in Loop: Header=BB6_5473 Depth=4
	v_or_b32_sdwa v51, v2, s44 dst_sel:DWORD dst_unused:UNUSED_PAD src0_sel:BYTE_3 src1_sel:DWORD
                                        ; implicit-def: $vgpr2
; %bb.8242:                             ;   in Loop: Header=BB6_5473 Depth=4
	s_andn2_saveexec_b64 s[30:31], vcc
; %bb.8243:                             ;   in Loop: Header=BB6_5473 Depth=4
	v_cmp_lt_i32_e32 vcc, -1, v2
	v_bfrev_b32_e32 v0, 0.5
	v_mov_b32_e32 v1, 0x7c
	v_cndmask_b32_e32 v51, v0, v1, vcc
; %bb.8244:                             ;   in Loop: Header=BB6_5473 Depth=4
	s_or_b64 exec, exec, s[30:31]
.LBB6_8245:                             ;   in Loop: Header=BB6_5473 Depth=4
	s_or_b64 exec, exec, s[28:29]
	v_cmp_lt_u32_e32 vcc, s57, v32
	v_mov_b32_e32 v1, 0
	v_mov_b32_e32 v2, 0
	s_and_saveexec_b64 s[28:29], vcc
	s_cbranch_execz .LBB6_8253
; %bb.8246:                             ;   in Loop: Header=BB6_5473 Depth=4
	v_lshrrev_b32_e32 v0, 24, v32
	v_cmp_ne_u32_e32 vcc, s97, v0
	v_bfrev_b32_e32 v2, 1
	s_and_saveexec_b64 s[30:31], vcc
	s_cbranch_execz .LBB6_8252
; %bb.8247:                             ;   in Loop: Header=BB6_5473 Depth=4
	v_and_b32_e32 v2, 0x7c000000, v32
	v_bfe_u32 v4, v32, 24, 2
	v_cmp_ne_u32_e32 vcc, s68, v2
                                        ; implicit-def: $vgpr2
	s_and_saveexec_b64 s[62:63], vcc
	s_xor_b64 s[34:35], exec, s[62:63]
	s_cbranch_execz .LBB6_8249
; %bb.8248:                             ;   in Loop: Header=BB6_5473 Depth=4
	v_ffbh_u32_e32 v6, v4
	v_min_u32_e32 v6, 32, v6
	v_subrev_u32_e32 v20, 29, v6
	v_lshlrev_b64 v[20:21], v20, v[0:1]
	v_bfe_u32 v2, v32, 26, 5
	v_sub_u32_e32 v0, 30, v6
	v_and_b32_e32 v6, 3, v20
	v_cmp_eq_u32_e32 vcc, 0, v2
	v_cndmask_b32_e32 v0, v2, v0, vcc
	v_cndmask_b32_e32 v2, v4, v6, vcc
	v_and_b32_e32 v4, 0x80000000, v32
	v_lshl_add_u32 v0, v0, 23, v4
	v_lshl_or_b32 v0, v2, 21, v0
	v_add_u32_e32 v2, 0x38000000, v0
                                        ; implicit-def: $vgpr4
.LBB6_8249:                             ;   in Loop: Header=BB6_5473 Depth=4
	s_andn2_saveexec_b64 s[34:35], s[34:35]
; %bb.8250:                             ;   in Loop: Header=BB6_5473 Depth=4
	v_cmp_lt_i32_e32 vcc, -1, v32
	v_mov_b32_e32 v0, 0xff800000
	v_mov_b32_e32 v2, 0x7f800000
	v_cndmask_b32_e32 v0, v0, v2, vcc
	v_cmp_eq_u32_e32 vcc, 0, v4
	v_mov_b32_e32 v2, 0x7f800001
	v_cndmask_b32_e32 v2, v2, v0, vcc
; %bb.8251:                             ;   in Loop: Header=BB6_5473 Depth=4
	s_or_b64 exec, exec, s[34:35]
.LBB6_8252:                             ;   in Loop: Header=BB6_5473 Depth=4
	s_or_b64 exec, exec, s[30:31]
.LBB6_8253:                             ;   in Loop: Header=BB6_5473 Depth=4
	s_or_b64 exec, exec, s[28:29]
	v_cmp_lt_u32_e32 vcc, s57, v18
	s_and_saveexec_b64 s[28:29], vcc
	s_cbranch_execz .LBB6_8261
; %bb.8254:                             ;   in Loop: Header=BB6_5473 Depth=4
	v_lshrrev_b32_e32 v0, 24, v18
	v_cmp_ne_u32_e32 vcc, s97, v0
	v_bfrev_b32_e32 v1, 1
	s_and_saveexec_b64 s[30:31], vcc
	s_cbranch_execz .LBB6_8260
; %bb.8255:                             ;   in Loop: Header=BB6_5473 Depth=4
	v_and_b32_e32 v1, 0x7c000000, v18
	v_bfe_u32 v4, v18, 24, 2
	v_cmp_ne_u32_e32 vcc, s68, v1
                                        ; implicit-def: $vgpr1
	s_and_saveexec_b64 s[62:63], vcc
	s_xor_b64 s[34:35], exec, s[62:63]
	s_cbranch_execz .LBB6_8257
; %bb.8256:                             ;   in Loop: Header=BB6_5473 Depth=4
	v_ffbh_u32_e32 v1, v4
	v_min_u32_e32 v20, 32, v1
	v_subrev_u32_e32 v1, 29, v20
	v_lshlrev_b64 v[0:1], v1, v[0:1]
	v_bfe_u32 v6, v18, 26, 5
	v_sub_u32_e32 v1, 30, v20
	v_and_b32_e32 v0, 3, v0
	v_cmp_eq_u32_e32 vcc, 0, v6
	v_cndmask_b32_e32 v1, v6, v1, vcc
	v_cndmask_b32_e32 v0, v4, v0, vcc
	v_and_b32_e32 v4, 0x80000000, v18
	v_lshl_add_u32 v1, v1, 23, v4
	v_lshl_or_b32 v0, v0, 21, v1
	v_add_u32_e32 v1, 0x38000000, v0
                                        ; implicit-def: $vgpr4
.LBB6_8257:                             ;   in Loop: Header=BB6_5473 Depth=4
	s_andn2_saveexec_b64 s[34:35], s[34:35]
; %bb.8258:                             ;   in Loop: Header=BB6_5473 Depth=4
	v_cmp_lt_i32_e32 vcc, -1, v18
	v_mov_b32_e32 v0, 0xff800000
	v_mov_b32_e32 v1, 0x7f800000
	v_cndmask_b32_e32 v0, v0, v1, vcc
	v_cmp_eq_u32_e32 vcc, 0, v4
	v_mov_b32_e32 v1, 0x7f800001
	v_cndmask_b32_e32 v1, v1, v0, vcc
; %bb.8259:                             ;   in Loop: Header=BB6_5473 Depth=4
	s_or_b64 exec, exec, s[34:35]
.LBB6_8260:                             ;   in Loop: Header=BB6_5473 Depth=4
	s_or_b64 exec, exec, s[30:31]
.LBB6_8261:                             ;   in Loop: Header=BB6_5473 Depth=4
	s_or_b64 exec, exec, s[28:29]
	v_add_f32_e32 v0, v2, v1
	v_and_b32_e32 v1, 0x7f800000, v0
	v_mov_b32_e32 v2, v33
	v_cmp_ne_u64_e32 vcc, s[76:77], v[1:2]
	v_and_b32_e32 v32, 0x7fffff, v0
                                        ; implicit-def: $vgpr53
	s_and_saveexec_b64 s[28:29], vcc
	s_xor_b64 s[30:31], exec, s[28:29]
	s_cbranch_execz .LBB6_8275
; %bb.8262:                             ;   in Loop: Header=BB6_5473 Depth=4
	v_and_b32_e32 v1, 0x7fffffff, v0
	v_mov_b32_e32 v2, v33
	v_cmp_gt_u64_e32 vcc, s[78:79], v[1:2]
	v_and_b32_sdwa v4, v0, s97 dst_sel:DWORD dst_unused:UNUSED_PAD src0_sel:BYTE_3 src1_sel:DWORD
                                        ; implicit-def: $vgpr53
	s_and_saveexec_b64 s[28:29], vcc
	s_xor_b64 s[34:35], exec, s[28:29]
	s_cbranch_execz .LBB6_8272
; %bb.8263:                             ;   in Loop: Header=BB6_5473 Depth=4
	v_mov_b32_e32 v53, 0
	v_cmp_ne_u32_e32 vcc, 0, v0
	s_and_saveexec_b64 s[36:37], vcc
	s_cbranch_execz .LBB6_8271
; %bb.8264:                             ;   in Loop: Header=BB6_5473 Depth=4
	v_bfe_u32 v20, v0, 23, 8
	v_cmp_gt_u32_e64 s[28:29], s47, v20
	v_sub_u32_e32 v0, 0x71, v20
	v_cmp_eq_u32_e32 vcc, 0, v20
	v_cndmask_b32_e64 v0, 0, v0, s[28:29]
	v_mov_b32_e32 v2, 0x70
	v_cndmask_b32_e32 v21, v0, v2, vcc
	v_add_u32_e32 v2, 21, v21
	v_or_b32_e32 v1, 0x800000, v32
	v_lshlrev_b64 v[52:53], v2, -1
	v_cndmask_b32_e32 v0, v1, v32, vcc
	v_mov_b32_e32 v1, v33
	v_add_u32_e32 v2, 20, v21
	v_bfi_b32 v52, v52, 0, v0
	v_lshlrev_b64 v[40:41], v2, 1
	v_lshrrev_b64 v[0:1], v21, v[0:1]
	v_bfi_b32 v53, v53, 0, 0
	v_cmp_eq_u64_e64 s[28:29], v[52:53], v[40:41]
	v_mov_b32_e32 v2, v1
	v_mov_b32_e32 v1, v0
	s_and_saveexec_b64 s[38:39], s[28:29]
; %bb.8265:                             ;   in Loop: Header=BB6_5473 Depth=4
	v_bfe_u32 v1, v0, 21, 1
	v_add_co_u32_e64 v1, s[28:29], v0, v1
	v_add_co_u32_e64 v1, s[28:29], -1, v1
; %bb.8266:                             ;   in Loop: Header=BB6_5473 Depth=4
	s_or_b64 exec, exec, s[38:39]
	v_add_u32_e32 v2, 0xffffff81, v20
	v_mov_b32_e32 v6, 0xffffff82
	v_cndmask_b32_e32 v2, v2, v6, vcc
	v_lshrrev_b32_e32 v6, 23, v0
	v_add3_u32 v20, v21, v2, v6
	v_add_u32_e32 v6, 14, v20
	v_and_b32_e32 v1, 0x1fffff, v1
	v_add_u32_e32 v32, v1, v0
	v_cmp_ne_u32_e32 vcc, 0, v6
                                        ; implicit-def: $vgpr0_vgpr1
                                        ; implicit-def: $vgpr2
	s_and_saveexec_b64 s[28:29], vcc
	s_xor_b64 s[28:29], exec, s[28:29]
; %bb.8267:                             ;   in Loop: Header=BB6_5473 Depth=4
	v_cmp_lt_u64_e32 vcc, s[88:89], v[32:33]
	v_add_u32_e32 v0, 15, v20
	v_cndmask_b32_e32 v2, v6, v0, vcc
	v_cndmask_b32_e64 v0, 0, 1, vcc
	v_lshrrev_b64 v[0:1], v0, v[32:33]
; %bb.8268:                             ;   in Loop: Header=BB6_5473 Depth=4
	s_andn2_saveexec_b64 s[28:29], s[28:29]
; %bb.8269:                             ;   in Loop: Header=BB6_5473 Depth=4
	v_mov_b32_e32 v0, v32
	v_mov_b32_e32 v1, v33
	v_bfe_u32 v2, v32, 23, 1
; %bb.8270:                             ;   in Loop: Header=BB6_5473 Depth=4
	s_or_b64 exec, exec, s[28:29]
	v_lshrrev_b64 v[0:1], 21, v[0:1]
	v_cmp_gt_i32_e32 vcc, 32, v2
	v_cndmask_b32_e32 v1, 0, v1, vcc
	v_cndmask_b32_e32 v0, 3, v0, vcc
	v_cmp_eq_u64_e64 s[28:29], 0, v[0:1]
	v_min_i32_e32 v1, 31, v2
	v_lshlrev_b32_e32 v1, 2, v1
	v_cmp_eq_u32_e32 vcc, 0, v2
	v_and_b32_e32 v1, 0xfc, v1
	v_and_or_b32 v0, v0, 3, v1
	s_and_b64 s[28:29], vcc, s[28:29]
	v_cndmask_b32_e64 v0, v0, 0, s[28:29]
	v_or_b32_e32 v53, v0, v4
.LBB6_8271:                             ;   in Loop: Header=BB6_5473 Depth=4
	s_or_b64 exec, exec, s[36:37]
                                        ; implicit-def: $vgpr4
.LBB6_8272:                             ;   in Loop: Header=BB6_5473 Depth=4
	s_andn2_saveexec_b64 s[28:29], s[34:35]
; %bb.8273:                             ;   in Loop: Header=BB6_5473 Depth=4
	v_or_b32_e32 v53, 0x7b, v4
; %bb.8274:                             ;   in Loop: Header=BB6_5473 Depth=4
	s_or_b64 exec, exec, s[28:29]
                                        ; implicit-def: $vgpr0
.LBB6_8275:                             ;   in Loop: Header=BB6_5473 Depth=4
	s_andn2_saveexec_b64 s[28:29], s[30:31]
	s_cbranch_execz .LBB6_8281
; %bb.8276:                             ;   in Loop: Header=BB6_5473 Depth=4
	v_cmp_ne_u64_e32 vcc, 0, v[32:33]
                                        ; implicit-def: $vgpr53
	s_and_saveexec_b64 s[62:63], vcc
	s_xor_b64 vcc, exec, s[62:63]
; %bb.8277:                             ;   in Loop: Header=BB6_5473 Depth=4
	v_or_b32_sdwa v53, v0, s44 dst_sel:DWORD dst_unused:UNUSED_PAD src0_sel:BYTE_3 src1_sel:DWORD
                                        ; implicit-def: $vgpr0
; %bb.8278:                             ;   in Loop: Header=BB6_5473 Depth=4
	s_andn2_saveexec_b64 s[30:31], vcc
; %bb.8279:                             ;   in Loop: Header=BB6_5473 Depth=4
	v_cmp_lt_i32_e32 vcc, -1, v0
	v_bfrev_b32_e32 v0, 0.5
	v_mov_b32_e32 v1, 0x7c
	v_cndmask_b32_e32 v53, v0, v1, vcc
; %bb.8280:                             ;   in Loop: Header=BB6_5473 Depth=4
	s_or_b64 exec, exec, s[30:31]
.LBB6_8281:                             ;   in Loop: Header=BB6_5473 Depth=4
	s_or_b64 exec, exec, s[28:29]
	buffer_load_dword v0, off, s[0:3], s33 offset:332 ; 4-byte Folded Reload
	buffer_load_dword v1, off, s[0:3], s33 offset:316 ; 4-byte Folded Reload
	v_lshl_or_b32 v4, v46, 8, v59
	v_cmp_ne_u32_e32 vcc, 0, v59
	s_waitcnt vmcnt(1)
	v_lshlrev_b32_e32 v0, 24, v0
	s_waitcnt vmcnt(0)
	v_lshlrev_b32_e32 v1, 16, v1
	v_or3_b32 v32, v1, v0, v4
	v_mov_b32_e32 v0, 0
	v_mov_b32_e32 v1, 0
	s_and_saveexec_b64 s[30:31], vcc
	s_cbranch_execz .LBB6_8289
; %bb.8282:                             ;   in Loop: Header=BB6_5473 Depth=4
	v_cmp_ne_u32_e32 vcc, s97, v59
	v_bfrev_b32_e32 v1, 1
	s_and_saveexec_b64 s[34:35], vcc
	s_cbranch_execz .LBB6_8288
; %bb.8283:                             ;   in Loop: Header=BB6_5473 Depth=4
	v_and_b32_e32 v1, 0x7c, v59
	v_and_b32_e32 v2, 3, v59
	v_cmp_ne_u32_e32 vcc, s86, v1
                                        ; implicit-def: $vgpr1
	s_and_saveexec_b64 s[28:29], vcc
	s_xor_b64 s[28:29], exec, s[28:29]
	s_cbranch_execz .LBB6_8285
; %bb.8284:                             ;   in Loop: Header=BB6_5473 Depth=4
	v_ffbh_u32_e32 v6, v2
	v_min_u32_e32 v6, 32, v6
	v_bfe_u32 v1, v59, 2, 5
	v_subrev_u32_e32 v20, 29, v6
	v_lshlrev_b64 v[20:21], v20, v[32:33]
	v_sub_u32_e32 v6, 30, v6
	v_cmp_eq_u32_e32 vcc, 0, v1
	v_cndmask_b32_e32 v1, v1, v6, vcc
	v_lshlrev_b32_e32 v6, 24, v59
	v_and_b32_e32 v20, 3, v20
	v_and_b32_e32 v6, 0x80000000, v6
	v_cndmask_b32_e32 v2, v2, v20, vcc
	v_lshl_add_u32 v1, v1, 23, v6
	v_lshl_or_b32 v1, v2, 21, v1
	v_add_u32_e32 v1, 0x38000000, v1
                                        ; implicit-def: $vgpr2
                                        ; implicit-def: $vgpr59
.LBB6_8285:                             ;   in Loop: Header=BB6_5473 Depth=4
	s_andn2_saveexec_b64 s[36:37], s[28:29]
; %bb.8286:                             ;   in Loop: Header=BB6_5473 Depth=4
	v_and_b32_e32 v1, 0x80, v59
	v_cmp_eq_u32_e32 vcc, 0, v2
	v_cmp_eq_u32_e64 s[28:29], 0, v1
	v_mov_b32_e32 v1, 0xff800000
	v_mov_b32_e32 v2, 0x7f800000
	v_cndmask_b32_e64 v1, v1, v2, s[28:29]
	v_mov_b32_e32 v2, 0x7f800001
	v_cndmask_b32_e32 v1, v2, v1, vcc
; %bb.8287:                             ;   in Loop: Header=BB6_5473 Depth=4
	s_or_b64 exec, exec, s[36:37]
.LBB6_8288:                             ;   in Loop: Header=BB6_5473 Depth=4
	s_or_b64 exec, exec, s[34:35]
.LBB6_8289:                             ;   in Loop: Header=BB6_5473 Depth=4
	s_or_b64 exec, exec, s[30:31]
	v_cmp_ne_u16_sdwa s[62:63], v19, v33 src0_sel:BYTE_0 src1_sel:DWORD
	s_and_saveexec_b64 s[28:29], s[62:63]
	s_cbranch_execz .LBB6_8297
; %bb.8290:                             ;   in Loop: Header=BB6_5473 Depth=4
	v_cmp_ne_u16_sdwa s[62:63], v19, s97 src0_sel:BYTE_0 src1_sel:DWORD
	v_bfrev_b32_e32 v0, 1
	s_and_saveexec_b64 s[30:31], s[62:63]
	s_cbranch_execz .LBB6_8296
; %bb.8291:                             ;   in Loop: Header=BB6_5473 Depth=4
	v_and_b32_e32 v0, 0x7c, v19
	v_and_b32_e32 v2, 3, v19
	v_cmp_ne_u32_e32 vcc, s86, v0
                                        ; implicit-def: $vgpr0
	s_and_saveexec_b64 s[62:63], vcc
	s_xor_b64 s[34:35], exec, s[62:63]
	s_cbranch_execz .LBB6_8293
; %bb.8292:                             ;   in Loop: Header=BB6_5473 Depth=4
	v_ffbh_u32_e32 v6, v2
	v_min_u32_e32 v6, 32, v6
	v_mov_b32_e32 v20, v19
	v_mov_b32_e32 v21, v33
	v_bfe_u32 v0, v19, 2, 5
	v_subrev_u32_e32 v22, 29, v6
	v_lshlrev_b64 v[20:21], v22, v[20:21]
	v_sub_u32_e32 v6, 30, v6
	v_cmp_eq_u32_e32 vcc, 0, v0
	v_cndmask_b32_e32 v0, v0, v6, vcc
	v_lshlrev_b32_e32 v6, 24, v19
	v_and_b32_e32 v20, 3, v20
	v_and_b32_e32 v6, 0x80000000, v6
	v_cndmask_b32_e32 v2, v2, v20, vcc
	v_lshl_add_u32 v0, v0, 23, v6
	v_lshl_or_b32 v0, v2, 21, v0
	v_add_u32_e32 v0, 0x38000000, v0
                                        ; implicit-def: $vgpr2
.LBB6_8293:                             ;   in Loop: Header=BB6_5473 Depth=4
	s_andn2_saveexec_b64 s[34:35], s[34:35]
; %bb.8294:                             ;   in Loop: Header=BB6_5473 Depth=4
	v_mov_b32_e32 v0, -1
	v_cmp_gt_i16_sdwa vcc, sext(v19), v0 src0_sel:BYTE_0 src1_sel:DWORD
	v_mov_b32_e32 v0, 0xff800000
	v_mov_b32_e32 v6, 0x7f800000
	v_cndmask_b32_e32 v0, v0, v6, vcc
	v_cmp_eq_u32_e32 vcc, 0, v2
	v_mov_b32_e32 v2, 0x7f800001
	v_cndmask_b32_e32 v0, v2, v0, vcc
; %bb.8295:                             ;   in Loop: Header=BB6_5473 Depth=4
	s_or_b64 exec, exec, s[34:35]
.LBB6_8296:                             ;   in Loop: Header=BB6_5473 Depth=4
	s_or_b64 exec, exec, s[30:31]
.LBB6_8297:                             ;   in Loop: Header=BB6_5473 Depth=4
	s_or_b64 exec, exec, s[28:29]
	v_add_f32_e32 v2, v1, v0
	v_and_b32_e32 v20, 0x7f800000, v2
	v_mov_b32_e32 v21, v33
	v_cmp_ne_u64_e32 vcc, s[76:77], v[20:21]
	v_and_b32_e32 v0, 0x7fffff, v2
	v_mov_b32_e32 v1, v33
                                        ; implicit-def: $vgpr54
	s_and_saveexec_b64 s[28:29], vcc
	s_xor_b64 s[30:31], exec, s[28:29]
	s_cbranch_execz .LBB6_8311
; %bb.8298:                             ;   in Loop: Header=BB6_5473 Depth=4
	v_and_b32_e32 v20, 0x7fffffff, v2
	v_mov_b32_e32 v21, v33
	v_cmp_gt_u64_e32 vcc, s[78:79], v[20:21]
	v_and_b32_sdwa v20, v2, s97 dst_sel:DWORD dst_unused:UNUSED_PAD src0_sel:BYTE_3 src1_sel:DWORD
                                        ; implicit-def: $vgpr54
	s_and_saveexec_b64 s[28:29], vcc
	s_xor_b64 s[34:35], exec, s[28:29]
	s_cbranch_execz .LBB6_8308
; %bb.8299:                             ;   in Loop: Header=BB6_5473 Depth=4
	v_mov_b32_e32 v54, 0
	v_cmp_ne_u32_e32 vcc, 0, v2
	s_and_saveexec_b64 s[36:37], vcc
	s_cbranch_execz .LBB6_8307
; %bb.8300:                             ;   in Loop: Header=BB6_5473 Depth=4
	v_bfe_u32 v21, v2, 23, 8
	v_cmp_gt_u32_e64 s[28:29], s47, v21
	v_sub_u32_e32 v2, 0x71, v21
	v_cmp_eq_u32_e32 vcc, 0, v21
	v_cndmask_b32_e64 v2, 0, v2, s[28:29]
	v_mov_b32_e32 v22, 0x70
	v_cndmask_b32_e32 v22, v2, v22, vcc
	v_add_u32_e32 v2, 21, v22
	v_or_b32_e32 v6, 0x800000, v0
	v_lshlrev_b64 v[40:41], v2, -1
	v_cndmask_b32_e32 v0, v6, v0, vcc
	v_add_u32_e32 v2, 20, v22
	v_bfi_b32 v40, v40, 0, v0
	v_lshlrev_b64 v[42:43], v2, 1
	v_lshrrev_b64 v[0:1], v22, v[0:1]
	v_bfi_b32 v41, v41, 0, 0
	v_cmp_eq_u64_e64 s[28:29], v[40:41], v[42:43]
	v_mov_b32_e32 v2, v1
	v_mov_b32_e32 v1, v0
	s_and_saveexec_b64 s[38:39], s[28:29]
; %bb.8301:                             ;   in Loop: Header=BB6_5473 Depth=4
	v_bfe_u32 v1, v0, 21, 1
	v_add_co_u32_e64 v1, s[28:29], v0, v1
	v_add_co_u32_e64 v1, s[28:29], -1, v1
; %bb.8302:                             ;   in Loop: Header=BB6_5473 Depth=4
	s_or_b64 exec, exec, s[38:39]
	v_add_u32_e32 v2, 0xffffff81, v21
	v_mov_b32_e32 v6, 0xffffff82
	v_cndmask_b32_e32 v2, v2, v6, vcc
	v_lshrrev_b32_e32 v6, 23, v0
	v_add3_u32 v21, v22, v2, v6
	v_add_u32_e32 v6, 14, v21
	v_and_b32_e32 v1, 0x1fffff, v1
	v_add_u32_e32 v0, v1, v0
	v_mov_b32_e32 v1, v33
	v_cmp_ne_u32_e32 vcc, 0, v6
                                        ; implicit-def: $vgpr2
	s_and_saveexec_b64 s[28:29], vcc
	s_xor_b64 s[28:29], exec, s[28:29]
; %bb.8303:                             ;   in Loop: Header=BB6_5473 Depth=4
	v_cmp_lt_u64_e32 vcc, s[88:89], v[0:1]
	v_add_u32_e32 v2, 15, v21
	v_cndmask_b32_e32 v2, v6, v2, vcc
	v_cndmask_b32_e64 v6, 0, 1, vcc
	v_lshrrev_b64 v[0:1], v6, v[0:1]
; %bb.8304:                             ;   in Loop: Header=BB6_5473 Depth=4
	s_andn2_saveexec_b64 s[28:29], s[28:29]
; %bb.8305:                             ;   in Loop: Header=BB6_5473 Depth=4
	v_bfe_u32 v2, v0, 23, 1
; %bb.8306:                             ;   in Loop: Header=BB6_5473 Depth=4
	s_or_b64 exec, exec, s[28:29]
	v_lshrrev_b64 v[0:1], 21, v[0:1]
	v_cmp_gt_i32_e32 vcc, 32, v2
	v_cndmask_b32_e32 v1, 0, v1, vcc
	v_cndmask_b32_e32 v0, 3, v0, vcc
	v_cmp_eq_u64_e64 s[28:29], 0, v[0:1]
	v_min_i32_e32 v1, 31, v2
	v_lshlrev_b32_e32 v1, 2, v1
	v_cmp_eq_u32_e32 vcc, 0, v2
	v_and_b32_e32 v1, 0xfc, v1
	v_and_or_b32 v0, v0, 3, v1
	s_and_b64 s[28:29], vcc, s[28:29]
	v_cndmask_b32_e64 v0, v0, 0, s[28:29]
	v_or_b32_e32 v54, v0, v20
.LBB6_8307:                             ;   in Loop: Header=BB6_5473 Depth=4
	s_or_b64 exec, exec, s[36:37]
                                        ; implicit-def: $vgpr20
.LBB6_8308:                             ;   in Loop: Header=BB6_5473 Depth=4
	s_andn2_saveexec_b64 s[28:29], s[34:35]
; %bb.8309:                             ;   in Loop: Header=BB6_5473 Depth=4
	v_or_b32_e32 v54, 0x7b, v20
; %bb.8310:                             ;   in Loop: Header=BB6_5473 Depth=4
	s_or_b64 exec, exec, s[28:29]
                                        ; implicit-def: $vgpr2
                                        ; implicit-def: $vgpr0_vgpr1
.LBB6_8311:                             ;   in Loop: Header=BB6_5473 Depth=4
	s_andn2_saveexec_b64 s[28:29], s[30:31]
	s_cbranch_execz .LBB6_8317
; %bb.8312:                             ;   in Loop: Header=BB6_5473 Depth=4
	v_cmp_ne_u64_e32 vcc, 0, v[0:1]
                                        ; implicit-def: $vgpr54
	s_and_saveexec_b64 s[62:63], vcc
	s_xor_b64 vcc, exec, s[62:63]
; %bb.8313:                             ;   in Loop: Header=BB6_5473 Depth=4
	v_or_b32_sdwa v54, v2, s44 dst_sel:DWORD dst_unused:UNUSED_PAD src0_sel:BYTE_3 src1_sel:DWORD
                                        ; implicit-def: $vgpr2
; %bb.8314:                             ;   in Loop: Header=BB6_5473 Depth=4
	s_andn2_saveexec_b64 s[30:31], vcc
; %bb.8315:                             ;   in Loop: Header=BB6_5473 Depth=4
	v_cmp_lt_i32_e32 vcc, -1, v2
	v_bfrev_b32_e32 v0, 0.5
	v_mov_b32_e32 v1, 0x7c
	v_cndmask_b32_e32 v54, v0, v1, vcc
; %bb.8316:                             ;   in Loop: Header=BB6_5473 Depth=4
	s_or_b64 exec, exec, s[30:31]
.LBB6_8317:                             ;   in Loop: Header=BB6_5473 Depth=4
	s_or_b64 exec, exec, s[28:29]
	v_lshrrev_b16_e32 v0, 8, v4
	v_cmp_ne_u16_e32 vcc, 0, v0
	v_mov_b32_e32 v2, 0
	v_mov_b32_e32 v20, 0
	s_and_saveexec_b64 s[28:29], vcc
	s_cbranch_execz .LBB6_8325
; %bb.8318:                             ;   in Loop: Header=BB6_5473 Depth=4
	v_cmp_ne_u16_e32 vcc, s97, v0
	v_bfrev_b32_e32 v20, 1
	s_and_saveexec_b64 s[30:31], vcc
	s_cbranch_execz .LBB6_8324
; %bb.8319:                             ;   in Loop: Header=BB6_5473 Depth=4
	v_and_b32_e32 v1, 0x7c, v0
	v_and_b32_e32 v6, 3, v0
	v_cmp_ne_u32_e32 vcc, s86, v1
                                        ; implicit-def: $vgpr20
	s_and_saveexec_b64 s[62:63], vcc
	s_xor_b64 s[34:35], exec, s[62:63]
	s_cbranch_execz .LBB6_8321
; %bb.8320:                             ;   in Loop: Header=BB6_5473 Depth=4
	v_ffbh_u32_e32 v21, v6
	v_min_u32_e32 v21, 32, v21
	v_mov_b32_e32 v1, v33
	v_subrev_u32_e32 v22, 29, v21
	v_bfe_u32 v20, v0, 2, 5
	v_lshlrev_b64 v[0:1], v22, v[0:1]
	v_sub_u32_e32 v1, 30, v21
	v_cmp_eq_u32_e32 vcc, 0, v20
	v_lshlrev_b32_e32 v4, 16, v4
	v_and_b32_e32 v0, 3, v0
	v_cndmask_b32_e32 v1, v20, v1, vcc
	v_and_b32_e32 v4, 0x80000000, v4
	v_cndmask_b32_e32 v0, v6, v0, vcc
	v_lshl_add_u32 v1, v1, 23, v4
	v_lshl_or_b32 v0, v0, 21, v1
	v_add_u32_e32 v20, 0x38000000, v0
                                        ; implicit-def: $vgpr6
                                        ; implicit-def: $vgpr4
.LBB6_8321:                             ;   in Loop: Header=BB6_5473 Depth=4
	s_andn2_saveexec_b64 s[34:35], s[34:35]
; %bb.8322:                             ;   in Loop: Header=BB6_5473 Depth=4
	v_cmp_lt_i16_e32 vcc, -1, v4
	v_mov_b32_e32 v0, 0xff800000
	v_mov_b32_e32 v1, 0x7f800000
	v_cndmask_b32_e32 v0, v0, v1, vcc
	v_cmp_eq_u32_e32 vcc, 0, v6
	v_mov_b32_e32 v1, 0x7f800001
	v_cndmask_b32_e32 v20, v1, v0, vcc
; %bb.8323:                             ;   in Loop: Header=BB6_5473 Depth=4
	s_or_b64 exec, exec, s[34:35]
.LBB6_8324:                             ;   in Loop: Header=BB6_5473 Depth=4
	s_or_b64 exec, exec, s[30:31]
.LBB6_8325:                             ;   in Loop: Header=BB6_5473 Depth=4
	s_or_b64 exec, exec, s[28:29]
	v_lshrrev_b16_e32 v0, 8, v19
	v_cmp_ne_u16_e32 vcc, 0, v0
	s_and_saveexec_b64 s[28:29], vcc
	s_cbranch_execz .LBB6_8333
; %bb.8326:                             ;   in Loop: Header=BB6_5473 Depth=4
	v_cmp_ne_u16_e32 vcc, s97, v0
	v_bfrev_b32_e32 v2, 1
	s_and_saveexec_b64 s[30:31], vcc
	s_cbranch_execz .LBB6_8332
; %bb.8327:                             ;   in Loop: Header=BB6_5473 Depth=4
	v_and_b32_e32 v1, 0x7c, v0
	v_and_b32_e32 v4, 3, v0
	v_cmp_ne_u32_e32 vcc, s86, v1
                                        ; implicit-def: $vgpr2
	s_and_saveexec_b64 s[62:63], vcc
	s_xor_b64 s[34:35], exec, s[62:63]
	s_cbranch_execz .LBB6_8329
; %bb.8328:                             ;   in Loop: Header=BB6_5473 Depth=4
	v_ffbh_u32_e32 v6, v4
	v_min_u32_e32 v6, 32, v6
	v_mov_b32_e32 v1, v33
	v_subrev_u32_e32 v21, 29, v6
	v_bfe_u32 v2, v0, 2, 5
	v_lshlrev_b64 v[0:1], v21, v[0:1]
	v_sub_u32_e32 v1, 30, v6
	v_cmp_eq_u32_e32 vcc, 0, v2
	v_cndmask_b32_e32 v1, v2, v1, vcc
	v_lshlrev_b32_e32 v2, 16, v19
	v_and_b32_e32 v0, 3, v0
	v_and_b32_e32 v2, 0x80000000, v2
	v_cndmask_b32_e32 v0, v4, v0, vcc
	v_lshl_add_u32 v1, v1, 23, v2
	v_lshl_or_b32 v0, v0, 21, v1
	v_add_u32_e32 v2, 0x38000000, v0
                                        ; implicit-def: $vgpr4
.LBB6_8329:                             ;   in Loop: Header=BB6_5473 Depth=4
	s_andn2_saveexec_b64 s[34:35], s[34:35]
; %bb.8330:                             ;   in Loop: Header=BB6_5473 Depth=4
	v_cmp_lt_i16_e32 vcc, -1, v19
	v_mov_b32_e32 v0, 0xff800000
	v_mov_b32_e32 v1, 0x7f800000
	v_cndmask_b32_e32 v0, v0, v1, vcc
	v_cmp_eq_u32_e32 vcc, 0, v4
	v_mov_b32_e32 v1, 0x7f800001
	v_cndmask_b32_e32 v2, v1, v0, vcc
; %bb.8331:                             ;   in Loop: Header=BB6_5473 Depth=4
	s_or_b64 exec, exec, s[34:35]
.LBB6_8332:                             ;   in Loop: Header=BB6_5473 Depth=4
	s_or_b64 exec, exec, s[30:31]
.LBB6_8333:                             ;   in Loop: Header=BB6_5473 Depth=4
	s_or_b64 exec, exec, s[28:29]
	v_add_f32_e32 v2, v20, v2
	v_and_b32_e32 v20, 0x7f800000, v2
	v_mov_b32_e32 v21, v33
	v_cmp_ne_u64_e32 vcc, s[76:77], v[20:21]
	v_and_b32_e32 v0, 0x7fffff, v2
	v_mov_b32_e32 v1, v33
                                        ; implicit-def: $vgpr40
	s_and_saveexec_b64 s[28:29], vcc
	s_xor_b64 s[30:31], exec, s[28:29]
	s_cbranch_execz .LBB6_8347
; %bb.8334:                             ;   in Loop: Header=BB6_5473 Depth=4
	v_and_b32_e32 v20, 0x7fffffff, v2
	v_mov_b32_e32 v21, v33
	v_cmp_gt_u64_e32 vcc, s[78:79], v[20:21]
	v_and_b32_sdwa v4, v2, s97 dst_sel:DWORD dst_unused:UNUSED_PAD src0_sel:BYTE_3 src1_sel:DWORD
                                        ; implicit-def: $vgpr40
	s_and_saveexec_b64 s[28:29], vcc
	s_xor_b64 s[34:35], exec, s[28:29]
	s_cbranch_execz .LBB6_8344
; %bb.8335:                             ;   in Loop: Header=BB6_5473 Depth=4
	v_mov_b32_e32 v40, 0
	v_cmp_ne_u32_e32 vcc, 0, v2
	s_and_saveexec_b64 s[36:37], vcc
	s_cbranch_execz .LBB6_8343
; %bb.8336:                             ;   in Loop: Header=BB6_5473 Depth=4
	v_bfe_u32 v20, v2, 23, 8
	v_cmp_gt_u32_e64 s[28:29], s47, v20
	v_sub_u32_e32 v2, 0x71, v20
	v_cmp_eq_u32_e32 vcc, 0, v20
	v_cndmask_b32_e64 v2, 0, v2, s[28:29]
	v_mov_b32_e32 v21, 0x70
	v_cndmask_b32_e32 v21, v2, v21, vcc
	v_add_u32_e32 v2, 21, v21
	v_or_b32_e32 v6, 0x800000, v0
	v_lshlrev_b64 v[40:41], v2, -1
	v_cndmask_b32_e32 v0, v6, v0, vcc
	v_add_u32_e32 v2, 20, v21
	v_bfi_b32 v40, v40, 0, v0
	v_lshlrev_b64 v[42:43], v2, 1
	v_lshrrev_b64 v[0:1], v21, v[0:1]
	v_bfi_b32 v41, v41, 0, 0
	v_cmp_eq_u64_e64 s[28:29], v[40:41], v[42:43]
	v_mov_b32_e32 v2, v1
	v_mov_b32_e32 v1, v0
	s_and_saveexec_b64 s[38:39], s[28:29]
; %bb.8337:                             ;   in Loop: Header=BB6_5473 Depth=4
	v_bfe_u32 v1, v0, 21, 1
	v_add_co_u32_e64 v1, s[28:29], v0, v1
	v_add_co_u32_e64 v1, s[28:29], -1, v1
; %bb.8338:                             ;   in Loop: Header=BB6_5473 Depth=4
	s_or_b64 exec, exec, s[38:39]
	v_add_u32_e32 v2, 0xffffff81, v20
	v_mov_b32_e32 v6, 0xffffff82
	v_cndmask_b32_e32 v2, v2, v6, vcc
	v_lshrrev_b32_e32 v6, 23, v0
	v_add3_u32 v20, v21, v2, v6
	v_add_u32_e32 v6, 14, v20
	v_and_b32_e32 v1, 0x1fffff, v1
	v_add_u32_e32 v0, v1, v0
	v_mov_b32_e32 v1, v33
	v_cmp_ne_u32_e32 vcc, 0, v6
                                        ; implicit-def: $vgpr2
	s_and_saveexec_b64 s[28:29], vcc
	s_xor_b64 s[28:29], exec, s[28:29]
; %bb.8339:                             ;   in Loop: Header=BB6_5473 Depth=4
	v_cmp_lt_u64_e32 vcc, s[88:89], v[0:1]
	v_add_u32_e32 v2, 15, v20
	v_cndmask_b32_e32 v2, v6, v2, vcc
	v_cndmask_b32_e64 v6, 0, 1, vcc
	v_lshrrev_b64 v[0:1], v6, v[0:1]
; %bb.8340:                             ;   in Loop: Header=BB6_5473 Depth=4
	s_andn2_saveexec_b64 s[28:29], s[28:29]
; %bb.8341:                             ;   in Loop: Header=BB6_5473 Depth=4
	v_bfe_u32 v2, v0, 23, 1
; %bb.8342:                             ;   in Loop: Header=BB6_5473 Depth=4
	s_or_b64 exec, exec, s[28:29]
	v_lshrrev_b64 v[0:1], 21, v[0:1]
	v_cmp_gt_i32_e32 vcc, 32, v2
	v_cndmask_b32_e32 v1, 0, v1, vcc
	v_cndmask_b32_e32 v0, 3, v0, vcc
	v_cmp_eq_u64_e64 s[28:29], 0, v[0:1]
	v_min_i32_e32 v1, 31, v2
	v_lshlrev_b32_e32 v1, 2, v1
	v_cmp_eq_u32_e32 vcc, 0, v2
	v_and_b32_e32 v1, 0xfc, v1
	v_and_or_b32 v0, v0, 3, v1
	s_and_b64 s[28:29], vcc, s[28:29]
	v_cndmask_b32_e64 v0, v0, 0, s[28:29]
	v_or_b32_e32 v40, v0, v4
.LBB6_8343:                             ;   in Loop: Header=BB6_5473 Depth=4
	s_or_b64 exec, exec, s[36:37]
                                        ; implicit-def: $vgpr4
.LBB6_8344:                             ;   in Loop: Header=BB6_5473 Depth=4
	s_andn2_saveexec_b64 s[28:29], s[34:35]
; %bb.8345:                             ;   in Loop: Header=BB6_5473 Depth=4
	v_or_b32_e32 v40, 0x7b, v4
; %bb.8346:                             ;   in Loop: Header=BB6_5473 Depth=4
	s_or_b64 exec, exec, s[28:29]
                                        ; implicit-def: $vgpr2
                                        ; implicit-def: $vgpr0_vgpr1
.LBB6_8347:                             ;   in Loop: Header=BB6_5473 Depth=4
	s_andn2_saveexec_b64 s[28:29], s[30:31]
	s_cbranch_execz .LBB6_8353
; %bb.8348:                             ;   in Loop: Header=BB6_5473 Depth=4
	v_cmp_ne_u64_e32 vcc, 0, v[0:1]
                                        ; implicit-def: $vgpr40
	s_and_saveexec_b64 s[62:63], vcc
	s_xor_b64 vcc, exec, s[62:63]
; %bb.8349:                             ;   in Loop: Header=BB6_5473 Depth=4
	v_or_b32_sdwa v40, v2, s44 dst_sel:DWORD dst_unused:UNUSED_PAD src0_sel:BYTE_3 src1_sel:DWORD
                                        ; implicit-def: $vgpr2
; %bb.8350:                             ;   in Loop: Header=BB6_5473 Depth=4
	s_andn2_saveexec_b64 s[30:31], vcc
; %bb.8351:                             ;   in Loop: Header=BB6_5473 Depth=4
	v_cmp_lt_i32_e32 vcc, -1, v2
	v_bfrev_b32_e32 v0, 0.5
	v_mov_b32_e32 v1, 0x7c
	v_cndmask_b32_e32 v40, v0, v1, vcc
; %bb.8352:                             ;   in Loop: Header=BB6_5473 Depth=4
	s_or_b64 exec, exec, s[30:31]
.LBB6_8353:                             ;   in Loop: Header=BB6_5473 Depth=4
	s_or_b64 exec, exec, s[28:29]
	v_and_b32_sdwa v4, v32, s96 dst_sel:DWORD dst_unused:UNUSED_PAD src0_sel:WORD_1 src1_sel:DWORD
	v_lshrrev_b32_e32 v0, 16, v32
	v_cmp_ne_u16_e32 vcc, 0, v4
	v_mov_b32_e32 v1, 0
	v_mov_b32_e32 v2, 0
	s_and_saveexec_b64 s[28:29], vcc
	s_cbranch_execz .LBB6_8361
; %bb.8354:                             ;   in Loop: Header=BB6_5473 Depth=4
	v_cmp_ne_u16_e32 vcc, s97, v4
	v_bfrev_b32_e32 v2, 1
	s_and_saveexec_b64 s[30:31], vcc
	s_cbranch_execz .LBB6_8360
; %bb.8355:                             ;   in Loop: Header=BB6_5473 Depth=4
	v_and_b32_e32 v2, 0x7c0000, v32
	v_bfe_u32 v4, v32, 16, 2
	v_cmp_ne_u32_e32 vcc, s45, v2
                                        ; implicit-def: $vgpr2
	s_and_saveexec_b64 s[62:63], vcc
	s_xor_b64 s[34:35], exec, s[62:63]
	s_cbranch_execz .LBB6_8357
; %bb.8356:                             ;   in Loop: Header=BB6_5473 Depth=4
	v_ffbh_u32_e32 v6, v4
	v_min_u32_e32 v6, 32, v6
	v_subrev_u32_e32 v20, 29, v6
	v_lshlrev_b64 v[20:21], v20, v[0:1]
	v_bfe_u32 v2, v32, 18, 5
	v_sub_u32_e32 v0, 30, v6
	v_and_b32_e32 v6, 3, v20
	v_cmp_eq_u32_e32 vcc, 0, v2
	v_cndmask_b32_e32 v0, v2, v0, vcc
	v_cndmask_b32_e32 v2, v4, v6, vcc
	v_lshlrev_b32_e32 v4, 8, v32
	v_and_b32_e32 v4, 0x80000000, v4
	v_lshl_add_u32 v0, v0, 23, v4
	v_lshl_or_b32 v0, v2, 21, v0
	v_add_u32_e32 v2, 0x38000000, v0
                                        ; implicit-def: $vgpr4
                                        ; implicit-def: $vgpr0
.LBB6_8357:                             ;   in Loop: Header=BB6_5473 Depth=4
	s_andn2_saveexec_b64 s[34:35], s[34:35]
; %bb.8358:                             ;   in Loop: Header=BB6_5473 Depth=4
	v_mov_b32_e32 v2, -1
	v_cmp_gt_i16_sdwa vcc, sext(v0), v2 src0_sel:BYTE_0 src1_sel:DWORD
	v_mov_b32_e32 v0, 0xff800000
	v_mov_b32_e32 v2, 0x7f800000
	v_cndmask_b32_e32 v0, v0, v2, vcc
	v_cmp_eq_u32_e32 vcc, 0, v4
	v_mov_b32_e32 v2, 0x7f800001
	v_cndmask_b32_e32 v2, v2, v0, vcc
; %bb.8359:                             ;   in Loop: Header=BB6_5473 Depth=4
	s_or_b64 exec, exec, s[34:35]
.LBB6_8360:                             ;   in Loop: Header=BB6_5473 Depth=4
	s_or_b64 exec, exec, s[30:31]
.LBB6_8361:                             ;   in Loop: Header=BB6_5473 Depth=4
	s_or_b64 exec, exec, s[28:29]
	v_lshrrev_b32_e32 v0, 16, v19
	v_cmp_ne_u16_sdwa s[62:63], v0, v33 src0_sel:BYTE_0 src1_sel:DWORD
	s_and_saveexec_b64 s[28:29], s[62:63]
	s_cbranch_execz .LBB6_8369
; %bb.8362:                             ;   in Loop: Header=BB6_5473 Depth=4
	v_cmp_ne_u16_sdwa s[62:63], v0, s97 src0_sel:BYTE_0 src1_sel:DWORD
	v_bfrev_b32_e32 v1, 1
	s_and_saveexec_b64 s[30:31], s[62:63]
	s_cbranch_execz .LBB6_8368
; %bb.8363:                             ;   in Loop: Header=BB6_5473 Depth=4
	v_and_b32_e32 v1, 0x7c0000, v19
	v_bfe_u32 v4, v19, 16, 2
	v_cmp_ne_u32_e32 vcc, s45, v1
                                        ; implicit-def: $vgpr1
	s_and_saveexec_b64 s[62:63], vcc
	s_xor_b64 s[34:35], exec, s[62:63]
	s_cbranch_execz .LBB6_8365
; %bb.8364:                             ;   in Loop: Header=BB6_5473 Depth=4
	v_ffbh_u32_e32 v1, v4
	v_min_u32_e32 v20, 32, v1
	v_subrev_u32_e32 v1, 29, v20
	v_lshlrev_b64 v[0:1], v1, v[0:1]
	v_bfe_u32 v6, v19, 18, 5
	v_and_b32_e32 v0, 3, v0
	v_cmp_eq_u32_e32 vcc, 0, v6
	v_sub_u32_e32 v1, 30, v20
	v_cndmask_b32_e32 v0, v4, v0, vcc
	v_lshlrev_b32_e32 v4, 8, v19
	v_cndmask_b32_e32 v1, v6, v1, vcc
	v_and_b32_e32 v4, 0x80000000, v4
	v_lshl_add_u32 v1, v1, 23, v4
	v_lshl_or_b32 v0, v0, 21, v1
	v_add_u32_e32 v1, 0x38000000, v0
                                        ; implicit-def: $vgpr4
                                        ; implicit-def: $vgpr0
.LBB6_8365:                             ;   in Loop: Header=BB6_5473 Depth=4
	s_andn2_saveexec_b64 s[34:35], s[34:35]
; %bb.8366:                             ;   in Loop: Header=BB6_5473 Depth=4
	v_mov_b32_e32 v1, -1
	v_cmp_gt_i16_sdwa vcc, sext(v0), v1 src0_sel:BYTE_0 src1_sel:DWORD
	v_mov_b32_e32 v0, 0xff800000
	v_mov_b32_e32 v1, 0x7f800000
	v_cndmask_b32_e32 v0, v0, v1, vcc
	v_cmp_eq_u32_e32 vcc, 0, v4
	v_mov_b32_e32 v1, 0x7f800001
	v_cndmask_b32_e32 v1, v1, v0, vcc
; %bb.8367:                             ;   in Loop: Header=BB6_5473 Depth=4
	s_or_b64 exec, exec, s[34:35]
.LBB6_8368:                             ;   in Loop: Header=BB6_5473 Depth=4
	s_or_b64 exec, exec, s[30:31]
.LBB6_8369:                             ;   in Loop: Header=BB6_5473 Depth=4
	s_or_b64 exec, exec, s[28:29]
	v_add_f32_e32 v2, v2, v1
	v_and_b32_e32 v20, 0x7f800000, v2
	v_mov_b32_e32 v21, v33
	v_cmp_ne_u64_e32 vcc, s[76:77], v[20:21]
	v_and_b32_e32 v0, 0x7fffff, v2
	v_mov_b32_e32 v1, v33
                                        ; implicit-def: $vgpr41
	s_and_saveexec_b64 s[28:29], vcc
	s_xor_b64 s[30:31], exec, s[28:29]
	s_cbranch_execz .LBB6_8383
; %bb.8370:                             ;   in Loop: Header=BB6_5473 Depth=4
	v_and_b32_e32 v20, 0x7fffffff, v2
	v_mov_b32_e32 v21, v33
	v_cmp_gt_u64_e32 vcc, s[78:79], v[20:21]
	v_and_b32_sdwa v4, v2, s97 dst_sel:DWORD dst_unused:UNUSED_PAD src0_sel:BYTE_3 src1_sel:DWORD
                                        ; implicit-def: $vgpr41
	s_and_saveexec_b64 s[28:29], vcc
	s_xor_b64 s[34:35], exec, s[28:29]
	s_cbranch_execz .LBB6_8380
; %bb.8371:                             ;   in Loop: Header=BB6_5473 Depth=4
	v_mov_b32_e32 v41, 0
	v_cmp_ne_u32_e32 vcc, 0, v2
	s_and_saveexec_b64 s[36:37], vcc
	s_cbranch_execz .LBB6_8379
; %bb.8372:                             ;   in Loop: Header=BB6_5473 Depth=4
	v_bfe_u32 v20, v2, 23, 8
	v_cmp_gt_u32_e64 s[28:29], s47, v20
	v_sub_u32_e32 v2, 0x71, v20
	v_cmp_eq_u32_e32 vcc, 0, v20
	v_cndmask_b32_e64 v2, 0, v2, s[28:29]
	v_mov_b32_e32 v21, 0x70
	v_cndmask_b32_e32 v21, v2, v21, vcc
	v_add_u32_e32 v2, 21, v21
	v_or_b32_e32 v6, 0x800000, v0
	v_lshlrev_b64 v[41:42], v2, -1
	v_cndmask_b32_e32 v0, v6, v0, vcc
	v_add_u32_e32 v2, 20, v21
	v_bfi_b32 v41, v41, 0, v0
	v_lshlrev_b64 v[45:46], v2, 1
	v_lshrrev_b64 v[0:1], v21, v[0:1]
	v_bfi_b32 v42, v42, 0, 0
	v_cmp_eq_u64_e64 s[28:29], v[41:42], v[45:46]
	v_mov_b32_e32 v2, v1
	v_mov_b32_e32 v1, v0
	s_and_saveexec_b64 s[38:39], s[28:29]
; %bb.8373:                             ;   in Loop: Header=BB6_5473 Depth=4
	v_bfe_u32 v1, v0, 21, 1
	v_add_co_u32_e64 v1, s[28:29], v0, v1
	v_add_co_u32_e64 v1, s[28:29], -1, v1
; %bb.8374:                             ;   in Loop: Header=BB6_5473 Depth=4
	s_or_b64 exec, exec, s[38:39]
	v_add_u32_e32 v2, 0xffffff81, v20
	v_mov_b32_e32 v6, 0xffffff82
	v_cndmask_b32_e32 v2, v2, v6, vcc
	v_lshrrev_b32_e32 v6, 23, v0
	v_add3_u32 v20, v21, v2, v6
	v_add_u32_e32 v6, 14, v20
	v_and_b32_e32 v1, 0x1fffff, v1
	v_add_u32_e32 v0, v1, v0
	v_mov_b32_e32 v1, v33
	v_cmp_ne_u32_e32 vcc, 0, v6
                                        ; implicit-def: $vgpr2
	s_and_saveexec_b64 s[28:29], vcc
	s_xor_b64 s[28:29], exec, s[28:29]
; %bb.8375:                             ;   in Loop: Header=BB6_5473 Depth=4
	v_cmp_lt_u64_e32 vcc, s[88:89], v[0:1]
	v_add_u32_e32 v2, 15, v20
	v_cndmask_b32_e32 v2, v6, v2, vcc
	v_cndmask_b32_e64 v6, 0, 1, vcc
	v_lshrrev_b64 v[0:1], v6, v[0:1]
; %bb.8376:                             ;   in Loop: Header=BB6_5473 Depth=4
	s_andn2_saveexec_b64 s[28:29], s[28:29]
; %bb.8377:                             ;   in Loop: Header=BB6_5473 Depth=4
	v_bfe_u32 v2, v0, 23, 1
; %bb.8378:                             ;   in Loop: Header=BB6_5473 Depth=4
	s_or_b64 exec, exec, s[28:29]
	v_lshrrev_b64 v[0:1], 21, v[0:1]
	v_cmp_gt_i32_e32 vcc, 32, v2
	v_cndmask_b32_e32 v1, 0, v1, vcc
	v_cndmask_b32_e32 v0, 3, v0, vcc
	v_cmp_eq_u64_e64 s[28:29], 0, v[0:1]
	v_min_i32_e32 v1, 31, v2
	v_lshlrev_b32_e32 v1, 2, v1
	v_cmp_eq_u32_e32 vcc, 0, v2
	v_and_b32_e32 v1, 0xfc, v1
	v_and_or_b32 v0, v0, 3, v1
	s_and_b64 s[28:29], vcc, s[28:29]
	v_cndmask_b32_e64 v0, v0, 0, s[28:29]
	v_or_b32_e32 v41, v0, v4
.LBB6_8379:                             ;   in Loop: Header=BB6_5473 Depth=4
	s_or_b64 exec, exec, s[36:37]
                                        ; implicit-def: $vgpr4
.LBB6_8380:                             ;   in Loop: Header=BB6_5473 Depth=4
	s_andn2_saveexec_b64 s[28:29], s[34:35]
; %bb.8381:                             ;   in Loop: Header=BB6_5473 Depth=4
	v_or_b32_e32 v41, 0x7b, v4
; %bb.8382:                             ;   in Loop: Header=BB6_5473 Depth=4
	s_or_b64 exec, exec, s[28:29]
                                        ; implicit-def: $vgpr2
                                        ; implicit-def: $vgpr0_vgpr1
.LBB6_8383:                             ;   in Loop: Header=BB6_5473 Depth=4
	s_andn2_saveexec_b64 s[28:29], s[30:31]
	s_cbranch_execz .LBB6_8389
; %bb.8384:                             ;   in Loop: Header=BB6_5473 Depth=4
	v_cmp_ne_u64_e32 vcc, 0, v[0:1]
                                        ; implicit-def: $vgpr41
	s_and_saveexec_b64 s[62:63], vcc
	s_xor_b64 vcc, exec, s[62:63]
; %bb.8385:                             ;   in Loop: Header=BB6_5473 Depth=4
	v_or_b32_sdwa v41, v2, s44 dst_sel:DWORD dst_unused:UNUSED_PAD src0_sel:BYTE_3 src1_sel:DWORD
                                        ; implicit-def: $vgpr2
; %bb.8386:                             ;   in Loop: Header=BB6_5473 Depth=4
	s_andn2_saveexec_b64 s[30:31], vcc
; %bb.8387:                             ;   in Loop: Header=BB6_5473 Depth=4
	v_cmp_lt_i32_e32 vcc, -1, v2
	v_bfrev_b32_e32 v0, 0.5
	v_mov_b32_e32 v1, 0x7c
	v_cndmask_b32_e32 v41, v0, v1, vcc
; %bb.8388:                             ;   in Loop: Header=BB6_5473 Depth=4
	s_or_b64 exec, exec, s[30:31]
.LBB6_8389:                             ;   in Loop: Header=BB6_5473 Depth=4
	s_or_b64 exec, exec, s[28:29]
	v_cmp_lt_u32_e32 vcc, s57, v32
	v_mov_b32_e32 v1, 0
	v_mov_b32_e32 v2, 0
	s_and_saveexec_b64 s[28:29], vcc
	s_cbranch_execz .LBB6_8397
; %bb.8390:                             ;   in Loop: Header=BB6_5473 Depth=4
	v_lshrrev_b32_e32 v0, 24, v32
	v_cmp_ne_u32_e32 vcc, s97, v0
	v_bfrev_b32_e32 v2, 1
	s_and_saveexec_b64 s[30:31], vcc
	s_cbranch_execz .LBB6_8396
; %bb.8391:                             ;   in Loop: Header=BB6_5473 Depth=4
	v_and_b32_e32 v2, 0x7c000000, v32
	v_bfe_u32 v4, v32, 24, 2
	v_cmp_ne_u32_e32 vcc, s68, v2
                                        ; implicit-def: $vgpr2
	s_and_saveexec_b64 s[62:63], vcc
	s_xor_b64 s[34:35], exec, s[62:63]
	s_cbranch_execz .LBB6_8393
; %bb.8392:                             ;   in Loop: Header=BB6_5473 Depth=4
	v_ffbh_u32_e32 v6, v4
	v_min_u32_e32 v6, 32, v6
	v_subrev_u32_e32 v20, 29, v6
	v_lshlrev_b64 v[20:21], v20, v[0:1]
	v_bfe_u32 v2, v32, 26, 5
	v_sub_u32_e32 v0, 30, v6
	v_and_b32_e32 v6, 3, v20
	v_cmp_eq_u32_e32 vcc, 0, v2
	v_cndmask_b32_e32 v0, v2, v0, vcc
	v_cndmask_b32_e32 v2, v4, v6, vcc
	v_and_b32_e32 v4, 0x80000000, v32
	v_lshl_add_u32 v0, v0, 23, v4
	v_lshl_or_b32 v0, v2, 21, v0
	v_add_u32_e32 v2, 0x38000000, v0
                                        ; implicit-def: $vgpr4
.LBB6_8393:                             ;   in Loop: Header=BB6_5473 Depth=4
	s_andn2_saveexec_b64 s[34:35], s[34:35]
; %bb.8394:                             ;   in Loop: Header=BB6_5473 Depth=4
	v_cmp_lt_i32_e32 vcc, -1, v32
	v_mov_b32_e32 v0, 0xff800000
	v_mov_b32_e32 v2, 0x7f800000
	v_cndmask_b32_e32 v0, v0, v2, vcc
	v_cmp_eq_u32_e32 vcc, 0, v4
	v_mov_b32_e32 v2, 0x7f800001
	v_cndmask_b32_e32 v2, v2, v0, vcc
; %bb.8395:                             ;   in Loop: Header=BB6_5473 Depth=4
	s_or_b64 exec, exec, s[34:35]
.LBB6_8396:                             ;   in Loop: Header=BB6_5473 Depth=4
	s_or_b64 exec, exec, s[30:31]
.LBB6_8397:                             ;   in Loop: Header=BB6_5473 Depth=4
	s_or_b64 exec, exec, s[28:29]
	v_cmp_lt_u64_e32 vcc, s[56:57], v[18:19]
	s_and_saveexec_b64 s[28:29], vcc
	s_cbranch_execz .LBB6_8405
; %bb.8398:                             ;   in Loop: Header=BB6_5473 Depth=4
	v_lshrrev_b32_e32 v0, 24, v19
	v_cmp_ne_u32_e32 vcc, s97, v0
	v_bfrev_b32_e32 v1, 1
	s_and_saveexec_b64 s[30:31], vcc
	s_cbranch_execz .LBB6_8404
; %bb.8399:                             ;   in Loop: Header=BB6_5473 Depth=4
	v_and_b32_e32 v1, 0x7c000000, v19
	v_bfe_u32 v4, v19, 24, 2
	v_cmp_ne_u32_e32 vcc, s68, v1
                                        ; implicit-def: $vgpr1
	s_and_saveexec_b64 s[62:63], vcc
	s_xor_b64 s[34:35], exec, s[62:63]
	s_cbranch_execz .LBB6_8401
; %bb.8400:                             ;   in Loop: Header=BB6_5473 Depth=4
	v_ffbh_u32_e32 v1, v4
	v_min_u32_e32 v18, 32, v1
	v_subrev_u32_e32 v1, 29, v18
	v_lshlrev_b64 v[0:1], v1, v[0:1]
	v_bfe_u32 v6, v19, 26, 5
	v_sub_u32_e32 v1, 30, v18
	v_and_b32_e32 v0, 3, v0
	v_cmp_eq_u32_e32 vcc, 0, v6
	v_cndmask_b32_e32 v1, v6, v1, vcc
	v_cndmask_b32_e32 v0, v4, v0, vcc
	v_and_b32_e32 v4, 0x80000000, v19
	v_lshl_add_u32 v1, v1, 23, v4
	v_lshl_or_b32 v0, v0, 21, v1
	v_add_u32_e32 v1, 0x38000000, v0
                                        ; implicit-def: $vgpr4
                                        ; implicit-def: $vgpr18_vgpr19
.LBB6_8401:                             ;   in Loop: Header=BB6_5473 Depth=4
	s_andn2_saveexec_b64 s[34:35], s[34:35]
; %bb.8402:                             ;   in Loop: Header=BB6_5473 Depth=4
	v_cmp_lt_i64_e32 vcc, -1, v[18:19]
	v_mov_b32_e32 v0, 0xff800000
	v_mov_b32_e32 v1, 0x7f800000
	v_cndmask_b32_e32 v0, v0, v1, vcc
	v_cmp_eq_u32_e32 vcc, 0, v4
	v_mov_b32_e32 v1, 0x7f800001
	v_cndmask_b32_e32 v1, v1, v0, vcc
; %bb.8403:                             ;   in Loop: Header=BB6_5473 Depth=4
	s_or_b64 exec, exec, s[34:35]
.LBB6_8404:                             ;   in Loop: Header=BB6_5473 Depth=4
	s_or_b64 exec, exec, s[30:31]
.LBB6_8405:                             ;   in Loop: Header=BB6_5473 Depth=4
	s_or_b64 exec, exec, s[28:29]
	v_add_f32_e32 v0, v2, v1
	v_and_b32_e32 v1, 0x7f800000, v0
	v_mov_b32_e32 v2, v33
	v_cmp_ne_u64_e32 vcc, s[76:77], v[1:2]
	v_and_b32_e32 v32, 0x7fffff, v0
                                        ; implicit-def: $vgpr18
	s_and_saveexec_b64 s[28:29], vcc
	s_xor_b64 s[30:31], exec, s[28:29]
	s_cbranch_execz .LBB6_8419
; %bb.8406:                             ;   in Loop: Header=BB6_5473 Depth=4
	v_and_b32_e32 v1, 0x7fffffff, v0
	v_mov_b32_e32 v2, v33
	v_cmp_gt_u64_e32 vcc, s[78:79], v[1:2]
	v_and_b32_sdwa v4, v0, s97 dst_sel:DWORD dst_unused:UNUSED_PAD src0_sel:BYTE_3 src1_sel:DWORD
                                        ; implicit-def: $vgpr18
	s_and_saveexec_b64 s[28:29], vcc
	s_xor_b64 s[34:35], exec, s[28:29]
	s_cbranch_execz .LBB6_8416
; %bb.8407:                             ;   in Loop: Header=BB6_5473 Depth=4
	v_mov_b32_e32 v18, 0
	v_cmp_ne_u32_e32 vcc, 0, v0
	s_and_saveexec_b64 s[36:37], vcc
	s_cbranch_execz .LBB6_8415
; %bb.8408:                             ;   in Loop: Header=BB6_5473 Depth=4
	v_bfe_u32 v18, v0, 23, 8
	v_cmp_gt_u32_e64 s[28:29], s47, v18
	v_sub_u32_e32 v0, 0x71, v18
	v_cmp_eq_u32_e32 vcc, 0, v18
	v_cndmask_b32_e64 v0, 0, v0, s[28:29]
	v_mov_b32_e32 v2, 0x70
	v_cndmask_b32_e32 v19, v0, v2, vcc
	v_add_u32_e32 v2, 21, v19
	v_or_b32_e32 v1, 0x800000, v32
	v_lshlrev_b64 v[20:21], v2, -1
	v_cndmask_b32_e32 v0, v1, v32, vcc
	v_mov_b32_e32 v1, v33
	v_add_u32_e32 v2, 20, v19
	v_bfi_b32 v20, v20, 0, v0
	v_lshlrev_b64 v[42:43], v2, 1
	v_lshrrev_b64 v[0:1], v19, v[0:1]
	v_bfi_b32 v21, v21, 0, 0
	v_cmp_eq_u64_e64 s[28:29], v[20:21], v[42:43]
	v_mov_b32_e32 v2, v1
	v_mov_b32_e32 v1, v0
	s_and_saveexec_b64 s[38:39], s[28:29]
; %bb.8409:                             ;   in Loop: Header=BB6_5473 Depth=4
	v_bfe_u32 v1, v0, 21, 1
	v_add_co_u32_e64 v1, s[28:29], v0, v1
	v_add_co_u32_e64 v1, s[28:29], -1, v1
; %bb.8410:                             ;   in Loop: Header=BB6_5473 Depth=4
	s_or_b64 exec, exec, s[38:39]
	v_add_u32_e32 v2, 0xffffff81, v18
	v_mov_b32_e32 v6, 0xffffff82
	v_cndmask_b32_e32 v2, v2, v6, vcc
	v_lshrrev_b32_e32 v6, 23, v0
	v_add3_u32 v18, v19, v2, v6
	v_add_u32_e32 v6, 14, v18
	v_and_b32_e32 v1, 0x1fffff, v1
	v_add_u32_e32 v32, v1, v0
	v_cmp_ne_u32_e32 vcc, 0, v6
                                        ; implicit-def: $vgpr0_vgpr1
                                        ; implicit-def: $vgpr2
	s_and_saveexec_b64 s[28:29], vcc
	s_xor_b64 s[28:29], exec, s[28:29]
; %bb.8411:                             ;   in Loop: Header=BB6_5473 Depth=4
	v_cmp_lt_u64_e32 vcc, s[88:89], v[32:33]
	v_add_u32_e32 v0, 15, v18
	v_cndmask_b32_e32 v2, v6, v0, vcc
	v_cndmask_b32_e64 v0, 0, 1, vcc
	v_lshrrev_b64 v[0:1], v0, v[32:33]
; %bb.8412:                             ;   in Loop: Header=BB6_5473 Depth=4
	s_andn2_saveexec_b64 s[28:29], s[28:29]
; %bb.8413:                             ;   in Loop: Header=BB6_5473 Depth=4
	v_mov_b32_e32 v0, v32
	v_mov_b32_e32 v1, v33
	v_bfe_u32 v2, v32, 23, 1
; %bb.8414:                             ;   in Loop: Header=BB6_5473 Depth=4
	s_or_b64 exec, exec, s[28:29]
	v_lshrrev_b64 v[0:1], 21, v[0:1]
	v_cmp_gt_i32_e32 vcc, 32, v2
	v_cndmask_b32_e32 v1, 0, v1, vcc
	v_cndmask_b32_e32 v0, 3, v0, vcc
	v_cmp_eq_u64_e64 s[28:29], 0, v[0:1]
	v_min_i32_e32 v1, 31, v2
	v_lshlrev_b32_e32 v1, 2, v1
	v_cmp_eq_u32_e32 vcc, 0, v2
	v_and_b32_e32 v1, 0xfc, v1
	v_and_or_b32 v0, v0, 3, v1
	s_and_b64 s[28:29], vcc, s[28:29]
	v_cndmask_b32_e64 v0, v0, 0, s[28:29]
	v_or_b32_e32 v18, v0, v4
.LBB6_8415:                             ;   in Loop: Header=BB6_5473 Depth=4
	s_or_b64 exec, exec, s[36:37]
                                        ; implicit-def: $vgpr4
.LBB6_8416:                             ;   in Loop: Header=BB6_5473 Depth=4
	s_andn2_saveexec_b64 s[28:29], s[34:35]
; %bb.8417:                             ;   in Loop: Header=BB6_5473 Depth=4
	v_or_b32_e32 v18, 0x7b, v4
; %bb.8418:                             ;   in Loop: Header=BB6_5473 Depth=4
	s_or_b64 exec, exec, s[28:29]
                                        ; implicit-def: $vgpr0
.LBB6_8419:                             ;   in Loop: Header=BB6_5473 Depth=4
	s_andn2_saveexec_b64 s[28:29], s[30:31]
	s_cbranch_execz .LBB6_8425
; %bb.8420:                             ;   in Loop: Header=BB6_5473 Depth=4
	v_cmp_ne_u64_e32 vcc, 0, v[32:33]
                                        ; implicit-def: $vgpr18
	s_and_saveexec_b64 s[62:63], vcc
	s_xor_b64 vcc, exec, s[62:63]
; %bb.8421:                             ;   in Loop: Header=BB6_5473 Depth=4
	v_or_b32_sdwa v18, v0, s44 dst_sel:DWORD dst_unused:UNUSED_PAD src0_sel:BYTE_3 src1_sel:DWORD
                                        ; implicit-def: $vgpr0
; %bb.8422:                             ;   in Loop: Header=BB6_5473 Depth=4
	s_andn2_saveexec_b64 s[30:31], vcc
; %bb.8423:                             ;   in Loop: Header=BB6_5473 Depth=4
	v_cmp_lt_i32_e32 vcc, -1, v0
	v_bfrev_b32_e32 v0, 0.5
	v_mov_b32_e32 v1, 0x7c
	v_cndmask_b32_e32 v18, v0, v1, vcc
; %bb.8424:                             ;   in Loop: Header=BB6_5473 Depth=4
	s_or_b64 exec, exec, s[30:31]
.LBB6_8425:                             ;   in Loop: Header=BB6_5473 Depth=4
	s_or_b64 exec, exec, s[28:29]
	buffer_load_dword v0, off, s[0:3], s33 offset:304 ; 4-byte Folded Reload
	buffer_load_dword v1, off, s[0:3], s33 offset:312 ; 4-byte Folded Reload
	v_lshl_or_b32 v4, v57, 8, v5
	v_cmp_ne_u32_e32 vcc, 0, v5
	s_waitcnt vmcnt(1)
	v_lshlrev_b32_e32 v0, 16, v0
	s_waitcnt vmcnt(0)
	v_lshlrev_b32_e32 v1, 24, v1
	v_or3_b32 v32, v0, v1, v4
	v_mov_b32_e32 v0, 0
	v_mov_b32_e32 v1, 0
	s_and_saveexec_b64 s[30:31], vcc
	s_cbranch_execz .LBB6_8433
; %bb.8426:                             ;   in Loop: Header=BB6_5473 Depth=4
	v_cmp_ne_u32_e32 vcc, s97, v5
	v_bfrev_b32_e32 v1, 1
	s_and_saveexec_b64 s[34:35], vcc
	s_cbranch_execz .LBB6_8432
; %bb.8427:                             ;   in Loop: Header=BB6_5473 Depth=4
	v_and_b32_e32 v1, 0x7c, v5
	v_and_b32_e32 v2, 3, v5
	v_cmp_ne_u32_e32 vcc, s86, v1
                                        ; implicit-def: $vgpr1
	s_and_saveexec_b64 s[28:29], vcc
	s_xor_b64 s[28:29], exec, s[28:29]
	s_cbranch_execz .LBB6_8429
; %bb.8428:                             ;   in Loop: Header=BB6_5473 Depth=4
	v_ffbh_u32_e32 v6, v2
	v_min_u32_e32 v6, 32, v6
	v_subrev_u32_e32 v19, 29, v6
	v_bfe_u32 v1, v5, 2, 5
	v_lshlrev_b64 v[19:20], v19, v[32:33]
	v_sub_u32_e32 v6, 30, v6
	v_cmp_eq_u32_e32 vcc, 0, v1
	v_lshlrev_b32_e32 v5, 24, v5
	v_and_b32_e32 v19, 3, v19
	v_cndmask_b32_e32 v1, v1, v6, vcc
	v_and_b32_e32 v5, 0x80000000, v5
	v_cndmask_b32_e32 v2, v2, v19, vcc
	v_lshl_add_u32 v1, v1, 23, v5
	v_lshl_or_b32 v1, v2, 21, v1
	v_add_u32_e32 v1, 0x38000000, v1
                                        ; implicit-def: $vgpr2
                                        ; implicit-def: $vgpr5
.LBB6_8429:                             ;   in Loop: Header=BB6_5473 Depth=4
	s_andn2_saveexec_b64 s[36:37], s[28:29]
; %bb.8430:                             ;   in Loop: Header=BB6_5473 Depth=4
	v_and_b32_e32 v1, 0x80, v5
	v_cmp_eq_u32_e32 vcc, 0, v2
	v_cmp_eq_u32_e64 s[28:29], 0, v1
	v_mov_b32_e32 v1, 0xff800000
	v_mov_b32_e32 v2, 0x7f800000
	v_cndmask_b32_e64 v1, v1, v2, s[28:29]
	v_mov_b32_e32 v2, 0x7f800001
	v_cndmask_b32_e32 v1, v2, v1, vcc
; %bb.8431:                             ;   in Loop: Header=BB6_5473 Depth=4
	s_or_b64 exec, exec, s[36:37]
.LBB6_8432:                             ;   in Loop: Header=BB6_5473 Depth=4
	s_or_b64 exec, exec, s[34:35]
.LBB6_8433:                             ;   in Loop: Header=BB6_5473 Depth=4
	s_or_b64 exec, exec, s[30:31]
	v_cmp_ne_u16_sdwa s[62:63], v12, v33 src0_sel:BYTE_0 src1_sel:DWORD
	s_and_saveexec_b64 s[28:29], s[62:63]
	s_cbranch_execz .LBB6_8441
; %bb.8434:                             ;   in Loop: Header=BB6_5473 Depth=4
	v_cmp_ne_u16_sdwa s[62:63], sext(v12), s46 src0_sel:BYTE_0 src1_sel:DWORD
	v_bfrev_b32_e32 v0, 1
	s_and_saveexec_b64 s[30:31], s[62:63]
	s_cbranch_execz .LBB6_8440
; %bb.8435:                             ;   in Loop: Header=BB6_5473 Depth=4
	v_and_b32_e32 v0, 0x7c, v12
	v_and_b32_e32 v2, 3, v12
	v_cmp_ne_u32_e32 vcc, s86, v0
                                        ; implicit-def: $vgpr0
	s_and_saveexec_b64 s[62:63], vcc
	s_xor_b64 s[34:35], exec, s[62:63]
	s_cbranch_execz .LBB6_8437
; %bb.8436:                             ;   in Loop: Header=BB6_5473 Depth=4
	v_ffbh_u32_e32 v5, v2
	v_min_u32_e32 v19, 32, v5
	v_subrev_u32_e32 v5, 29, v19
	v_lshlrev_b64 v[5:6], v5, v[12:13]
	v_bfe_u32 v0, v12, 2, 5
	v_and_b32_e32 v5, 3, v5
	v_cmp_eq_u32_e32 vcc, 0, v0
	v_sub_u32_e32 v6, 30, v19
	v_cndmask_b32_e32 v2, v2, v5, vcc
	v_lshlrev_b32_e32 v5, 24, v12
	v_cndmask_b32_e32 v0, v0, v6, vcc
	v_and_b32_e32 v5, 0x80000000, v5
	v_lshl_add_u32 v0, v0, 23, v5
	v_lshl_or_b32 v0, v2, 21, v0
	v_add_u32_e32 v0, 0x38000000, v0
                                        ; implicit-def: $vgpr2
.LBB6_8437:                             ;   in Loop: Header=BB6_5473 Depth=4
	s_andn2_saveexec_b64 s[34:35], s[34:35]
; %bb.8438:                             ;   in Loop: Header=BB6_5473 Depth=4
	v_mov_b32_e32 v0, -1
	v_cmp_gt_i16_sdwa vcc, sext(v12), v0 src0_sel:BYTE_0 src1_sel:DWORD
	v_mov_b32_e32 v0, 0xff800000
	v_mov_b32_e32 v5, 0x7f800000
	v_cndmask_b32_e32 v0, v0, v5, vcc
	v_cmp_eq_u32_e32 vcc, 0, v2
	v_mov_b32_e32 v2, 0x7f800001
	v_cndmask_b32_e32 v0, v2, v0, vcc
; %bb.8439:                             ;   in Loop: Header=BB6_5473 Depth=4
	s_or_b64 exec, exec, s[34:35]
.LBB6_8440:                             ;   in Loop: Header=BB6_5473 Depth=4
	s_or_b64 exec, exec, s[30:31]
.LBB6_8441:                             ;   in Loop: Header=BB6_5473 Depth=4
	s_or_b64 exec, exec, s[28:29]
	v_add_f32_e32 v2, v1, v0
	v_and_b32_e32 v5, 0x7f800000, v2
	v_mov_b32_e32 v6, v33
	v_cmp_ne_u64_e32 vcc, s[76:77], v[5:6]
	v_and_b32_e32 v0, 0x7fffff, v2
	v_mov_b32_e32 v1, v33
                                        ; implicit-def: $vgpr5
	s_and_saveexec_b64 s[28:29], vcc
	s_xor_b64 s[30:31], exec, s[28:29]
	s_cbranch_execz .LBB6_8455
; %bb.8442:                             ;   in Loop: Header=BB6_5473 Depth=4
	v_and_b32_e32 v5, 0x7fffffff, v2
	v_mov_b32_e32 v6, v33
	v_cmp_gt_u64_e32 vcc, s[78:79], v[5:6]
	v_and_b32_sdwa v19, v2, s97 dst_sel:DWORD dst_unused:UNUSED_PAD src0_sel:BYTE_3 src1_sel:DWORD
                                        ; implicit-def: $vgpr5
	s_and_saveexec_b64 s[28:29], vcc
	s_xor_b64 s[34:35], exec, s[28:29]
	s_cbranch_execz .LBB6_8452
; %bb.8443:                             ;   in Loop: Header=BB6_5473 Depth=4
	v_mov_b32_e32 v5, 0
	v_cmp_ne_u32_e32 vcc, 0, v2
	s_and_saveexec_b64 s[36:37], vcc
	s_cbranch_execz .LBB6_8451
; %bb.8444:                             ;   in Loop: Header=BB6_5473 Depth=4
	v_bfe_u32 v5, v2, 23, 8
	v_cmp_gt_u32_e64 s[28:29], s47, v5
	v_sub_u32_e32 v2, 0x71, v5
	v_cmp_eq_u32_e32 vcc, 0, v5
	v_cndmask_b32_e64 v2, 0, v2, s[28:29]
	v_mov_b32_e32 v20, 0x70
	v_cndmask_b32_e32 v20, v2, v20, vcc
	v_add_u32_e32 v2, 21, v20
	v_or_b32_e32 v6, 0x800000, v0
	v_lshlrev_b64 v[21:22], v2, -1
	v_cndmask_b32_e32 v0, v6, v0, vcc
	v_add_u32_e32 v2, 20, v20
	v_bfi_b32 v21, v21, 0, v0
	v_lshlrev_b64 v[42:43], v2, 1
	v_lshrrev_b64 v[0:1], v20, v[0:1]
	v_bfi_b32 v22, v22, 0, 0
	v_cmp_eq_u64_e64 s[28:29], v[21:22], v[42:43]
	v_mov_b32_e32 v2, v1
	v_mov_b32_e32 v1, v0
	s_and_saveexec_b64 s[38:39], s[28:29]
; %bb.8445:                             ;   in Loop: Header=BB6_5473 Depth=4
	v_bfe_u32 v1, v0, 21, 1
	v_add_co_u32_e64 v1, s[28:29], v0, v1
	v_add_co_u32_e64 v1, s[28:29], -1, v1
; %bb.8446:                             ;   in Loop: Header=BB6_5473 Depth=4
	s_or_b64 exec, exec, s[38:39]
	v_add_u32_e32 v2, 0xffffff81, v5
	v_mov_b32_e32 v5, 0xffffff82
	v_cndmask_b32_e32 v2, v2, v5, vcc
	v_lshrrev_b32_e32 v5, 23, v0
	v_add3_u32 v6, v20, v2, v5
	v_add_u32_e32 v5, 14, v6
	v_and_b32_e32 v1, 0x1fffff, v1
	v_add_u32_e32 v0, v1, v0
	v_mov_b32_e32 v1, v33
	v_cmp_ne_u32_e32 vcc, 0, v5
                                        ; implicit-def: $vgpr2
	s_and_saveexec_b64 s[28:29], vcc
	s_xor_b64 s[28:29], exec, s[28:29]
; %bb.8447:                             ;   in Loop: Header=BB6_5473 Depth=4
	v_cmp_lt_u64_e32 vcc, s[88:89], v[0:1]
	v_add_u32_e32 v2, 15, v6
	v_cndmask_b32_e32 v2, v5, v2, vcc
	v_cndmask_b32_e64 v5, 0, 1, vcc
	v_lshrrev_b64 v[0:1], v5, v[0:1]
; %bb.8448:                             ;   in Loop: Header=BB6_5473 Depth=4
	s_andn2_saveexec_b64 s[28:29], s[28:29]
; %bb.8449:                             ;   in Loop: Header=BB6_5473 Depth=4
	v_bfe_u32 v2, v0, 23, 1
; %bb.8450:                             ;   in Loop: Header=BB6_5473 Depth=4
	s_or_b64 exec, exec, s[28:29]
	v_lshrrev_b64 v[0:1], 21, v[0:1]
	v_cmp_gt_i32_e32 vcc, 32, v2
	v_cndmask_b32_e32 v1, 0, v1, vcc
	v_cndmask_b32_e32 v0, 3, v0, vcc
	v_cmp_eq_u64_e64 s[28:29], 0, v[0:1]
	v_min_i32_e32 v1, 31, v2
	v_lshlrev_b32_e32 v1, 2, v1
	v_cmp_eq_u32_e32 vcc, 0, v2
	v_and_b32_e32 v1, 0xfc, v1
	v_and_or_b32 v0, v0, 3, v1
	s_and_b64 s[28:29], vcc, s[28:29]
	v_cndmask_b32_e64 v0, v0, 0, s[28:29]
	v_or_b32_e32 v5, v0, v19
.LBB6_8451:                             ;   in Loop: Header=BB6_5473 Depth=4
	s_or_b64 exec, exec, s[36:37]
                                        ; implicit-def: $vgpr19
.LBB6_8452:                             ;   in Loop: Header=BB6_5473 Depth=4
	s_andn2_saveexec_b64 s[28:29], s[34:35]
; %bb.8453:                             ;   in Loop: Header=BB6_5473 Depth=4
	v_or_b32_e32 v5, 0x7b, v19
; %bb.8454:                             ;   in Loop: Header=BB6_5473 Depth=4
	s_or_b64 exec, exec, s[28:29]
                                        ; implicit-def: $vgpr2
                                        ; implicit-def: $vgpr0_vgpr1
.LBB6_8455:                             ;   in Loop: Header=BB6_5473 Depth=4
	s_andn2_saveexec_b64 s[28:29], s[30:31]
	s_cbranch_execz .LBB6_8461
; %bb.8456:                             ;   in Loop: Header=BB6_5473 Depth=4
	v_cmp_ne_u64_e32 vcc, 0, v[0:1]
                                        ; implicit-def: $vgpr5
	s_and_saveexec_b64 s[62:63], vcc
	s_xor_b64 vcc, exec, s[62:63]
; %bb.8457:                             ;   in Loop: Header=BB6_5473 Depth=4
	v_or_b32_sdwa v5, v2, s44 dst_sel:DWORD dst_unused:UNUSED_PAD src0_sel:BYTE_3 src1_sel:DWORD
                                        ; implicit-def: $vgpr2
; %bb.8458:                             ;   in Loop: Header=BB6_5473 Depth=4
	s_andn2_saveexec_b64 s[30:31], vcc
; %bb.8459:                             ;   in Loop: Header=BB6_5473 Depth=4
	v_cmp_lt_i32_e32 vcc, -1, v2
	v_bfrev_b32_e32 v0, 0.5
	v_mov_b32_e32 v1, 0x7c
	v_cndmask_b32_e32 v5, v0, v1, vcc
; %bb.8460:                             ;   in Loop: Header=BB6_5473 Depth=4
	s_or_b64 exec, exec, s[30:31]
.LBB6_8461:                             ;   in Loop: Header=BB6_5473 Depth=4
	s_or_b64 exec, exec, s[28:29]
	v_lshrrev_b16_e32 v0, 8, v4
	v_cmp_ne_u16_e32 vcc, 0, v0
	v_mov_b32_e32 v2, 0
	v_mov_b32_e32 v19, 0
	s_and_saveexec_b64 s[28:29], vcc
	s_cbranch_execz .LBB6_8469
; %bb.8462:                             ;   in Loop: Header=BB6_5473 Depth=4
	v_cmp_ne_u16_e32 vcc, s97, v0
	v_bfrev_b32_e32 v19, 1
	s_and_saveexec_b64 s[30:31], vcc
	s_cbranch_execz .LBB6_8468
; %bb.8463:                             ;   in Loop: Header=BB6_5473 Depth=4
	v_and_b32_e32 v1, 0x7c, v0
	v_and_b32_e32 v6, 3, v0
	v_cmp_ne_u32_e32 vcc, s86, v1
                                        ; implicit-def: $vgpr19
	s_and_saveexec_b64 s[62:63], vcc
	s_xor_b64 s[34:35], exec, s[62:63]
	s_cbranch_execz .LBB6_8465
; %bb.8464:                             ;   in Loop: Header=BB6_5473 Depth=4
	v_ffbh_u32_e32 v20, v6
	v_min_u32_e32 v20, 32, v20
	v_mov_b32_e32 v1, v33
	v_subrev_u32_e32 v21, 29, v20
	v_bfe_u32 v19, v0, 2, 5
	v_lshlrev_b64 v[0:1], v21, v[0:1]
	v_sub_u32_e32 v1, 30, v20
	v_cmp_eq_u32_e32 vcc, 0, v19
	v_lshlrev_b32_e32 v4, 16, v4
	v_and_b32_e32 v0, 3, v0
	v_cndmask_b32_e32 v1, v19, v1, vcc
	v_and_b32_e32 v4, 0x80000000, v4
	v_cndmask_b32_e32 v0, v6, v0, vcc
	v_lshl_add_u32 v1, v1, 23, v4
	v_lshl_or_b32 v0, v0, 21, v1
	v_add_u32_e32 v19, 0x38000000, v0
                                        ; implicit-def: $vgpr6
                                        ; implicit-def: $vgpr4
.LBB6_8465:                             ;   in Loop: Header=BB6_5473 Depth=4
	s_andn2_saveexec_b64 s[34:35], s[34:35]
; %bb.8466:                             ;   in Loop: Header=BB6_5473 Depth=4
	v_cmp_lt_i16_e32 vcc, -1, v4
	v_mov_b32_e32 v0, 0xff800000
	v_mov_b32_e32 v1, 0x7f800000
	v_cndmask_b32_e32 v0, v0, v1, vcc
	v_cmp_eq_u32_e32 vcc, 0, v6
	v_mov_b32_e32 v1, 0x7f800001
	v_cndmask_b32_e32 v19, v1, v0, vcc
; %bb.8467:                             ;   in Loop: Header=BB6_5473 Depth=4
	s_or_b64 exec, exec, s[34:35]
.LBB6_8468:                             ;   in Loop: Header=BB6_5473 Depth=4
	s_or_b64 exec, exec, s[30:31]
.LBB6_8469:                             ;   in Loop: Header=BB6_5473 Depth=4
	s_or_b64 exec, exec, s[28:29]
	v_lshrrev_b16_e32 v0, 8, v12
	v_cmp_ne_u16_e32 vcc, 0, v0
	s_and_saveexec_b64 s[28:29], vcc
	s_cbranch_execz .LBB6_8477
; %bb.8470:                             ;   in Loop: Header=BB6_5473 Depth=4
	v_cmp_ne_u16_e32 vcc, s97, v0
	v_bfrev_b32_e32 v2, 1
	s_and_saveexec_b64 s[30:31], vcc
	s_cbranch_execz .LBB6_8476
; %bb.8471:                             ;   in Loop: Header=BB6_5473 Depth=4
	v_and_b32_e32 v1, 0x7c, v0
	v_and_b32_e32 v4, 3, v0
	v_cmp_ne_u32_e32 vcc, s86, v1
                                        ; implicit-def: $vgpr2
	s_and_saveexec_b64 s[62:63], vcc
	s_xor_b64 s[34:35], exec, s[62:63]
	s_cbranch_execz .LBB6_8473
; %bb.8472:                             ;   in Loop: Header=BB6_5473 Depth=4
	v_ffbh_u32_e32 v6, v4
	v_min_u32_e32 v6, 32, v6
	v_mov_b32_e32 v1, v33
	v_subrev_u32_e32 v20, 29, v6
	v_bfe_u32 v2, v0, 2, 5
	v_lshlrev_b64 v[0:1], v20, v[0:1]
	v_sub_u32_e32 v1, 30, v6
	v_cmp_eq_u32_e32 vcc, 0, v2
	v_cndmask_b32_e32 v1, v2, v1, vcc
	v_lshlrev_b32_e32 v2, 16, v12
	v_and_b32_e32 v0, 3, v0
	v_and_b32_e32 v2, 0x80000000, v2
	v_cndmask_b32_e32 v0, v4, v0, vcc
	v_lshl_add_u32 v1, v1, 23, v2
	v_lshl_or_b32 v0, v0, 21, v1
	v_add_u32_e32 v2, 0x38000000, v0
                                        ; implicit-def: $vgpr4
.LBB6_8473:                             ;   in Loop: Header=BB6_5473 Depth=4
	s_andn2_saveexec_b64 s[34:35], s[34:35]
; %bb.8474:                             ;   in Loop: Header=BB6_5473 Depth=4
	v_cmp_lt_i16_e32 vcc, -1, v12
	v_mov_b32_e32 v0, 0xff800000
	v_mov_b32_e32 v1, 0x7f800000
	v_cndmask_b32_e32 v0, v0, v1, vcc
	v_cmp_eq_u32_e32 vcc, 0, v4
	v_mov_b32_e32 v1, 0x7f800001
	v_cndmask_b32_e32 v2, v1, v0, vcc
; %bb.8475:                             ;   in Loop: Header=BB6_5473 Depth=4
	s_or_b64 exec, exec, s[34:35]
.LBB6_8476:                             ;   in Loop: Header=BB6_5473 Depth=4
	s_or_b64 exec, exec, s[30:31]
.LBB6_8477:                             ;   in Loop: Header=BB6_5473 Depth=4
	s_or_b64 exec, exec, s[28:29]
	v_add_f32_e32 v2, v19, v2
	v_and_b32_e32 v19, 0x7f800000, v2
	v_mov_b32_e32 v20, v33
	v_cmp_ne_u64_e32 vcc, s[76:77], v[19:20]
	v_and_b32_e32 v0, 0x7fffff, v2
	v_mov_b32_e32 v1, v33
                                        ; implicit-def: $vgpr19
	s_and_saveexec_b64 s[28:29], vcc
	s_xor_b64 s[30:31], exec, s[28:29]
	s_cbranch_execz .LBB6_8491
; %bb.8478:                             ;   in Loop: Header=BB6_5473 Depth=4
	v_and_b32_e32 v19, 0x7fffffff, v2
	v_mov_b32_e32 v20, v33
	v_cmp_gt_u64_e32 vcc, s[78:79], v[19:20]
	v_and_b32_sdwa v4, v2, s97 dst_sel:DWORD dst_unused:UNUSED_PAD src0_sel:BYTE_3 src1_sel:DWORD
                                        ; implicit-def: $vgpr19
	s_and_saveexec_b64 s[28:29], vcc
	s_xor_b64 s[34:35], exec, s[28:29]
	s_cbranch_execz .LBB6_8488
; %bb.8479:                             ;   in Loop: Header=BB6_5473 Depth=4
	v_mov_b32_e32 v19, 0
	v_cmp_ne_u32_e32 vcc, 0, v2
	s_and_saveexec_b64 s[36:37], vcc
	s_cbranch_execz .LBB6_8487
; %bb.8480:                             ;   in Loop: Header=BB6_5473 Depth=4
	v_bfe_u32 v19, v2, 23, 8
	v_cmp_gt_u32_e64 s[28:29], s47, v19
	v_sub_u32_e32 v2, 0x71, v19
	v_cmp_eq_u32_e32 vcc, 0, v19
	v_cndmask_b32_e64 v2, 0, v2, s[28:29]
	v_mov_b32_e32 v20, 0x70
	v_cndmask_b32_e32 v20, v2, v20, vcc
	v_add_u32_e32 v2, 21, v20
	v_or_b32_e32 v6, 0x800000, v0
	v_lshlrev_b64 v[21:22], v2, -1
	v_cndmask_b32_e32 v0, v6, v0, vcc
	v_add_u32_e32 v2, 20, v20
	v_bfi_b32 v21, v21, 0, v0
	v_lshlrev_b64 v[42:43], v2, 1
	v_lshrrev_b64 v[0:1], v20, v[0:1]
	v_bfi_b32 v22, v22, 0, 0
	v_cmp_eq_u64_e64 s[28:29], v[21:22], v[42:43]
	v_mov_b32_e32 v2, v1
	v_mov_b32_e32 v1, v0
	s_and_saveexec_b64 s[38:39], s[28:29]
; %bb.8481:                             ;   in Loop: Header=BB6_5473 Depth=4
	v_bfe_u32 v1, v0, 21, 1
	v_add_co_u32_e64 v1, s[28:29], v0, v1
	v_add_co_u32_e64 v1, s[28:29], -1, v1
; %bb.8482:                             ;   in Loop: Header=BB6_5473 Depth=4
	s_or_b64 exec, exec, s[38:39]
	v_add_u32_e32 v2, 0xffffff81, v19
	v_mov_b32_e32 v6, 0xffffff82
	v_cndmask_b32_e32 v2, v2, v6, vcc
	v_lshrrev_b32_e32 v6, 23, v0
	v_add3_u32 v19, v20, v2, v6
	v_add_u32_e32 v6, 14, v19
	v_and_b32_e32 v1, 0x1fffff, v1
	v_add_u32_e32 v0, v1, v0
	v_mov_b32_e32 v1, v33
	v_cmp_ne_u32_e32 vcc, 0, v6
                                        ; implicit-def: $vgpr2
	s_and_saveexec_b64 s[28:29], vcc
	s_xor_b64 s[28:29], exec, s[28:29]
; %bb.8483:                             ;   in Loop: Header=BB6_5473 Depth=4
	v_cmp_lt_u64_e32 vcc, s[88:89], v[0:1]
	v_add_u32_e32 v2, 15, v19
	v_cndmask_b32_e32 v2, v6, v2, vcc
	v_cndmask_b32_e64 v6, 0, 1, vcc
	v_lshrrev_b64 v[0:1], v6, v[0:1]
; %bb.8484:                             ;   in Loop: Header=BB6_5473 Depth=4
	s_andn2_saveexec_b64 s[28:29], s[28:29]
; %bb.8485:                             ;   in Loop: Header=BB6_5473 Depth=4
	v_bfe_u32 v2, v0, 23, 1
; %bb.8486:                             ;   in Loop: Header=BB6_5473 Depth=4
	s_or_b64 exec, exec, s[28:29]
	v_lshrrev_b64 v[0:1], 21, v[0:1]
	v_cmp_gt_i32_e32 vcc, 32, v2
	v_cndmask_b32_e32 v1, 0, v1, vcc
	v_cndmask_b32_e32 v0, 3, v0, vcc
	v_cmp_eq_u64_e64 s[28:29], 0, v[0:1]
	v_min_i32_e32 v1, 31, v2
	v_lshlrev_b32_e32 v1, 2, v1
	v_cmp_eq_u32_e32 vcc, 0, v2
	v_and_b32_e32 v1, 0xfc, v1
	v_and_or_b32 v0, v0, 3, v1
	s_and_b64 s[28:29], vcc, s[28:29]
	v_cndmask_b32_e64 v0, v0, 0, s[28:29]
	v_or_b32_e32 v19, v0, v4
.LBB6_8487:                             ;   in Loop: Header=BB6_5473 Depth=4
	s_or_b64 exec, exec, s[36:37]
                                        ; implicit-def: $vgpr4
.LBB6_8488:                             ;   in Loop: Header=BB6_5473 Depth=4
	s_andn2_saveexec_b64 s[28:29], s[34:35]
; %bb.8489:                             ;   in Loop: Header=BB6_5473 Depth=4
	v_or_b32_e32 v19, 0x7b, v4
; %bb.8490:                             ;   in Loop: Header=BB6_5473 Depth=4
	s_or_b64 exec, exec, s[28:29]
                                        ; implicit-def: $vgpr2
                                        ; implicit-def: $vgpr0_vgpr1
.LBB6_8491:                             ;   in Loop: Header=BB6_5473 Depth=4
	s_andn2_saveexec_b64 s[28:29], s[30:31]
	s_cbranch_execz .LBB6_8497
; %bb.8492:                             ;   in Loop: Header=BB6_5473 Depth=4
	v_cmp_ne_u64_e32 vcc, 0, v[0:1]
                                        ; implicit-def: $vgpr19
	s_and_saveexec_b64 s[62:63], vcc
	s_xor_b64 vcc, exec, s[62:63]
; %bb.8493:                             ;   in Loop: Header=BB6_5473 Depth=4
	v_or_b32_sdwa v19, v2, s44 dst_sel:DWORD dst_unused:UNUSED_PAD src0_sel:BYTE_3 src1_sel:DWORD
                                        ; implicit-def: $vgpr2
; %bb.8494:                             ;   in Loop: Header=BB6_5473 Depth=4
	s_andn2_saveexec_b64 s[30:31], vcc
; %bb.8495:                             ;   in Loop: Header=BB6_5473 Depth=4
	v_cmp_lt_i32_e32 vcc, -1, v2
	v_bfrev_b32_e32 v0, 0.5
	v_mov_b32_e32 v1, 0x7c
	v_cndmask_b32_e32 v19, v0, v1, vcc
; %bb.8496:                             ;   in Loop: Header=BB6_5473 Depth=4
	s_or_b64 exec, exec, s[30:31]
.LBB6_8497:                             ;   in Loop: Header=BB6_5473 Depth=4
	s_or_b64 exec, exec, s[28:29]
	v_and_b32_sdwa v4, v32, s96 dst_sel:DWORD dst_unused:UNUSED_PAD src0_sel:WORD_1 src1_sel:DWORD
	v_lshrrev_b32_e32 v0, 16, v32
	v_cmp_ne_u16_e32 vcc, 0, v4
	v_mov_b32_e32 v1, 0
	v_mov_b32_e32 v2, 0
	s_and_saveexec_b64 s[28:29], vcc
	s_cbranch_execz .LBB6_8505
; %bb.8498:                             ;   in Loop: Header=BB6_5473 Depth=4
	v_cmp_ne_u16_e32 vcc, s97, v4
	v_bfrev_b32_e32 v2, 1
	s_and_saveexec_b64 s[30:31], vcc
	s_cbranch_execz .LBB6_8504
; %bb.8499:                             ;   in Loop: Header=BB6_5473 Depth=4
	v_and_b32_e32 v2, 0x7c0000, v32
	v_bfe_u32 v4, v32, 16, 2
	v_cmp_ne_u32_e32 vcc, s45, v2
                                        ; implicit-def: $vgpr2
	s_and_saveexec_b64 s[62:63], vcc
	s_xor_b64 s[34:35], exec, s[62:63]
	s_cbranch_execz .LBB6_8501
; %bb.8500:                             ;   in Loop: Header=BB6_5473 Depth=4
	v_ffbh_u32_e32 v6, v4
	v_min_u32_e32 v6, 32, v6
	v_subrev_u32_e32 v20, 29, v6
	v_lshlrev_b64 v[20:21], v20, v[0:1]
	v_bfe_u32 v2, v32, 18, 5
	v_sub_u32_e32 v0, 30, v6
	v_and_b32_e32 v6, 3, v20
	v_cmp_eq_u32_e32 vcc, 0, v2
	v_cndmask_b32_e32 v0, v2, v0, vcc
	v_cndmask_b32_e32 v2, v4, v6, vcc
	v_lshlrev_b32_e32 v4, 8, v32
	v_and_b32_e32 v4, 0x80000000, v4
	v_lshl_add_u32 v0, v0, 23, v4
	v_lshl_or_b32 v0, v2, 21, v0
	v_add_u32_e32 v2, 0x38000000, v0
                                        ; implicit-def: $vgpr4
                                        ; implicit-def: $vgpr0
.LBB6_8501:                             ;   in Loop: Header=BB6_5473 Depth=4
	s_andn2_saveexec_b64 s[34:35], s[34:35]
; %bb.8502:                             ;   in Loop: Header=BB6_5473 Depth=4
	v_mov_b32_e32 v2, -1
	v_cmp_gt_i16_sdwa vcc, sext(v0), v2 src0_sel:BYTE_0 src1_sel:DWORD
	v_mov_b32_e32 v0, 0xff800000
	v_mov_b32_e32 v2, 0x7f800000
	v_cndmask_b32_e32 v0, v0, v2, vcc
	v_cmp_eq_u32_e32 vcc, 0, v4
	v_mov_b32_e32 v2, 0x7f800001
	v_cndmask_b32_e32 v2, v2, v0, vcc
; %bb.8503:                             ;   in Loop: Header=BB6_5473 Depth=4
	s_or_b64 exec, exec, s[34:35]
.LBB6_8504:                             ;   in Loop: Header=BB6_5473 Depth=4
	s_or_b64 exec, exec, s[30:31]
.LBB6_8505:                             ;   in Loop: Header=BB6_5473 Depth=4
	s_or_b64 exec, exec, s[28:29]
	v_lshrrev_b32_e32 v0, 16, v12
	v_cmp_ne_u16_sdwa s[62:63], v0, v33 src0_sel:BYTE_0 src1_sel:DWORD
	s_and_saveexec_b64 s[28:29], s[62:63]
	s_cbranch_execz .LBB6_8513
; %bb.8506:                             ;   in Loop: Header=BB6_5473 Depth=4
	v_cmp_ne_u16_sdwa s[62:63], v0, s97 src0_sel:BYTE_0 src1_sel:DWORD
	v_bfrev_b32_e32 v1, 1
	s_and_saveexec_b64 s[30:31], s[62:63]
	s_cbranch_execz .LBB6_8512
; %bb.8507:                             ;   in Loop: Header=BB6_5473 Depth=4
	v_and_b32_e32 v1, 0x7c0000, v12
	v_bfe_u32 v4, v12, 16, 2
	v_cmp_ne_u32_e32 vcc, s45, v1
                                        ; implicit-def: $vgpr1
	s_and_saveexec_b64 s[62:63], vcc
	s_xor_b64 s[34:35], exec, s[62:63]
	s_cbranch_execz .LBB6_8509
; %bb.8508:                             ;   in Loop: Header=BB6_5473 Depth=4
	v_ffbh_u32_e32 v1, v4
	v_min_u32_e32 v20, 32, v1
	v_subrev_u32_e32 v1, 29, v20
	v_lshlrev_b64 v[0:1], v1, v[0:1]
	v_bfe_u32 v6, v12, 18, 5
	v_and_b32_e32 v0, 3, v0
	v_cmp_eq_u32_e32 vcc, 0, v6
	v_sub_u32_e32 v1, 30, v20
	v_cndmask_b32_e32 v0, v4, v0, vcc
	v_lshlrev_b32_e32 v4, 8, v12
	v_cndmask_b32_e32 v1, v6, v1, vcc
	v_and_b32_e32 v4, 0x80000000, v4
	v_lshl_add_u32 v1, v1, 23, v4
	v_lshl_or_b32 v0, v0, 21, v1
	v_add_u32_e32 v1, 0x38000000, v0
                                        ; implicit-def: $vgpr4
                                        ; implicit-def: $vgpr0
.LBB6_8509:                             ;   in Loop: Header=BB6_5473 Depth=4
	s_andn2_saveexec_b64 s[34:35], s[34:35]
; %bb.8510:                             ;   in Loop: Header=BB6_5473 Depth=4
	v_mov_b32_e32 v1, -1
	v_cmp_gt_i16_sdwa vcc, sext(v0), v1 src0_sel:BYTE_0 src1_sel:DWORD
	v_mov_b32_e32 v0, 0xff800000
	v_mov_b32_e32 v1, 0x7f800000
	v_cndmask_b32_e32 v0, v0, v1, vcc
	v_cmp_eq_u32_e32 vcc, 0, v4
	v_mov_b32_e32 v1, 0x7f800001
	v_cndmask_b32_e32 v1, v1, v0, vcc
; %bb.8511:                             ;   in Loop: Header=BB6_5473 Depth=4
	s_or_b64 exec, exec, s[34:35]
.LBB6_8512:                             ;   in Loop: Header=BB6_5473 Depth=4
	s_or_b64 exec, exec, s[30:31]
.LBB6_8513:                             ;   in Loop: Header=BB6_5473 Depth=4
	s_or_b64 exec, exec, s[28:29]
	v_add_f32_e32 v2, v2, v1
	v_and_b32_e32 v20, 0x7f800000, v2
	v_mov_b32_e32 v21, v33
	v_cmp_ne_u64_e32 vcc, s[76:77], v[20:21]
	v_and_b32_e32 v0, 0x7fffff, v2
	v_mov_b32_e32 v1, v33
                                        ; implicit-def: $vgpr43
	s_and_saveexec_b64 s[28:29], vcc
	s_xor_b64 s[30:31], exec, s[28:29]
	s_cbranch_execz .LBB6_8527
; %bb.8514:                             ;   in Loop: Header=BB6_5473 Depth=4
	v_and_b32_e32 v20, 0x7fffffff, v2
	v_mov_b32_e32 v21, v33
	v_cmp_gt_u64_e32 vcc, s[78:79], v[20:21]
	v_and_b32_sdwa v4, v2, s97 dst_sel:DWORD dst_unused:UNUSED_PAD src0_sel:BYTE_3 src1_sel:DWORD
                                        ; implicit-def: $vgpr43
	s_and_saveexec_b64 s[28:29], vcc
	s_xor_b64 s[34:35], exec, s[28:29]
	s_cbranch_execz .LBB6_8524
; %bb.8515:                             ;   in Loop: Header=BB6_5473 Depth=4
	v_mov_b32_e32 v43, 0
	v_cmp_ne_u32_e32 vcc, 0, v2
	s_and_saveexec_b64 s[36:37], vcc
	s_cbranch_execz .LBB6_8523
; %bb.8516:                             ;   in Loop: Header=BB6_5473 Depth=4
	v_bfe_u32 v20, v2, 23, 8
	v_cmp_gt_u32_e64 s[28:29], s47, v20
	v_sub_u32_e32 v2, 0x71, v20
	v_cmp_eq_u32_e32 vcc, 0, v20
	v_cndmask_b32_e64 v2, 0, v2, s[28:29]
	v_mov_b32_e32 v21, 0x70
	v_cndmask_b32_e32 v21, v2, v21, vcc
	v_add_u32_e32 v2, 21, v21
	v_or_b32_e32 v6, 0x800000, v0
	v_lshlrev_b64 v[42:43], v2, -1
	v_cndmask_b32_e32 v0, v6, v0, vcc
	v_add_u32_e32 v2, 20, v21
	v_bfi_b32 v42, v42, 0, v0
	v_lshlrev_b64 v[45:46], v2, 1
	v_lshrrev_b64 v[0:1], v21, v[0:1]
	v_bfi_b32 v43, v43, 0, 0
	v_cmp_eq_u64_e64 s[28:29], v[42:43], v[45:46]
	v_mov_b32_e32 v2, v1
	v_mov_b32_e32 v1, v0
	s_and_saveexec_b64 s[38:39], s[28:29]
; %bb.8517:                             ;   in Loop: Header=BB6_5473 Depth=4
	v_bfe_u32 v1, v0, 21, 1
	v_add_co_u32_e64 v1, s[28:29], v0, v1
	v_add_co_u32_e64 v1, s[28:29], -1, v1
; %bb.8518:                             ;   in Loop: Header=BB6_5473 Depth=4
	s_or_b64 exec, exec, s[38:39]
	v_add_u32_e32 v2, 0xffffff81, v20
	v_mov_b32_e32 v6, 0xffffff82
	v_cndmask_b32_e32 v2, v2, v6, vcc
	v_lshrrev_b32_e32 v6, 23, v0
	v_add3_u32 v20, v21, v2, v6
	v_add_u32_e32 v6, 14, v20
	v_and_b32_e32 v1, 0x1fffff, v1
	v_add_u32_e32 v0, v1, v0
	v_mov_b32_e32 v1, v33
	v_cmp_ne_u32_e32 vcc, 0, v6
                                        ; implicit-def: $vgpr2
	s_and_saveexec_b64 s[28:29], vcc
	s_xor_b64 s[28:29], exec, s[28:29]
; %bb.8519:                             ;   in Loop: Header=BB6_5473 Depth=4
	v_cmp_lt_u64_e32 vcc, s[88:89], v[0:1]
	v_add_u32_e32 v2, 15, v20
	v_cndmask_b32_e32 v2, v6, v2, vcc
	v_cndmask_b32_e64 v6, 0, 1, vcc
	v_lshrrev_b64 v[0:1], v6, v[0:1]
; %bb.8520:                             ;   in Loop: Header=BB6_5473 Depth=4
	s_andn2_saveexec_b64 s[28:29], s[28:29]
; %bb.8521:                             ;   in Loop: Header=BB6_5473 Depth=4
	v_bfe_u32 v2, v0, 23, 1
; %bb.8522:                             ;   in Loop: Header=BB6_5473 Depth=4
	s_or_b64 exec, exec, s[28:29]
	v_lshrrev_b64 v[0:1], 21, v[0:1]
	v_cmp_gt_i32_e32 vcc, 32, v2
	v_cndmask_b32_e32 v1, 0, v1, vcc
	v_cndmask_b32_e32 v0, 3, v0, vcc
	v_cmp_eq_u64_e64 s[28:29], 0, v[0:1]
	v_min_i32_e32 v1, 31, v2
	v_lshlrev_b32_e32 v1, 2, v1
	v_cmp_eq_u32_e32 vcc, 0, v2
	v_and_b32_e32 v1, 0xfc, v1
	v_and_or_b32 v0, v0, 3, v1
	s_and_b64 s[28:29], vcc, s[28:29]
	v_cndmask_b32_e64 v0, v0, 0, s[28:29]
	v_or_b32_e32 v43, v0, v4
.LBB6_8523:                             ;   in Loop: Header=BB6_5473 Depth=4
	s_or_b64 exec, exec, s[36:37]
                                        ; implicit-def: $vgpr4
.LBB6_8524:                             ;   in Loop: Header=BB6_5473 Depth=4
	s_andn2_saveexec_b64 s[28:29], s[34:35]
; %bb.8525:                             ;   in Loop: Header=BB6_5473 Depth=4
	v_or_b32_e32 v43, 0x7b, v4
; %bb.8526:                             ;   in Loop: Header=BB6_5473 Depth=4
	s_or_b64 exec, exec, s[28:29]
                                        ; implicit-def: $vgpr2
                                        ; implicit-def: $vgpr0_vgpr1
.LBB6_8527:                             ;   in Loop: Header=BB6_5473 Depth=4
	s_andn2_saveexec_b64 s[28:29], s[30:31]
	s_cbranch_execz .LBB6_8533
; %bb.8528:                             ;   in Loop: Header=BB6_5473 Depth=4
	v_cmp_ne_u64_e32 vcc, 0, v[0:1]
                                        ; implicit-def: $vgpr43
	s_and_saveexec_b64 s[62:63], vcc
	s_xor_b64 vcc, exec, s[62:63]
; %bb.8529:                             ;   in Loop: Header=BB6_5473 Depth=4
	v_or_b32_sdwa v43, v2, s44 dst_sel:DWORD dst_unused:UNUSED_PAD src0_sel:BYTE_3 src1_sel:DWORD
                                        ; implicit-def: $vgpr2
; %bb.8530:                             ;   in Loop: Header=BB6_5473 Depth=4
	s_andn2_saveexec_b64 s[30:31], vcc
; %bb.8531:                             ;   in Loop: Header=BB6_5473 Depth=4
	v_cmp_lt_i32_e32 vcc, -1, v2
	v_bfrev_b32_e32 v0, 0.5
	v_mov_b32_e32 v1, 0x7c
	v_cndmask_b32_e32 v43, v0, v1, vcc
; %bb.8532:                             ;   in Loop: Header=BB6_5473 Depth=4
	s_or_b64 exec, exec, s[30:31]
.LBB6_8533:                             ;   in Loop: Header=BB6_5473 Depth=4
	s_or_b64 exec, exec, s[28:29]
	v_cmp_lt_u32_e32 vcc, s57, v32
	v_mov_b32_e32 v1, 0
	v_mov_b32_e32 v2, 0
	s_and_saveexec_b64 s[28:29], vcc
	s_cbranch_execz .LBB6_8541
; %bb.8534:                             ;   in Loop: Header=BB6_5473 Depth=4
	v_lshrrev_b32_e32 v0, 24, v32
	v_cmp_ne_u32_e32 vcc, s97, v0
	v_bfrev_b32_e32 v2, 1
	s_and_saveexec_b64 s[30:31], vcc
	s_cbranch_execz .LBB6_8540
; %bb.8535:                             ;   in Loop: Header=BB6_5473 Depth=4
	v_and_b32_e32 v2, 0x7c000000, v32
	v_bfe_u32 v4, v32, 24, 2
	v_cmp_ne_u32_e32 vcc, s68, v2
                                        ; implicit-def: $vgpr2
	s_and_saveexec_b64 s[62:63], vcc
	s_xor_b64 s[34:35], exec, s[62:63]
	s_cbranch_execz .LBB6_8537
; %bb.8536:                             ;   in Loop: Header=BB6_5473 Depth=4
	v_ffbh_u32_e32 v6, v4
	v_min_u32_e32 v6, 32, v6
	v_subrev_u32_e32 v20, 29, v6
	v_lshlrev_b64 v[20:21], v20, v[0:1]
	v_bfe_u32 v2, v32, 26, 5
	v_sub_u32_e32 v0, 30, v6
	v_and_b32_e32 v6, 3, v20
	v_cmp_eq_u32_e32 vcc, 0, v2
	v_cndmask_b32_e32 v0, v2, v0, vcc
	v_cndmask_b32_e32 v2, v4, v6, vcc
	v_and_b32_e32 v4, 0x80000000, v32
	v_lshl_add_u32 v0, v0, 23, v4
	v_lshl_or_b32 v0, v2, 21, v0
	v_add_u32_e32 v2, 0x38000000, v0
                                        ; implicit-def: $vgpr4
.LBB6_8537:                             ;   in Loop: Header=BB6_5473 Depth=4
	s_andn2_saveexec_b64 s[34:35], s[34:35]
; %bb.8538:                             ;   in Loop: Header=BB6_5473 Depth=4
	v_cmp_lt_i32_e32 vcc, -1, v32
	v_mov_b32_e32 v0, 0xff800000
	v_mov_b32_e32 v2, 0x7f800000
	v_cndmask_b32_e32 v0, v0, v2, vcc
	v_cmp_eq_u32_e32 vcc, 0, v4
	v_mov_b32_e32 v2, 0x7f800001
	v_cndmask_b32_e32 v2, v2, v0, vcc
; %bb.8539:                             ;   in Loop: Header=BB6_5473 Depth=4
	s_or_b64 exec, exec, s[34:35]
.LBB6_8540:                             ;   in Loop: Header=BB6_5473 Depth=4
	s_or_b64 exec, exec, s[30:31]
.LBB6_8541:                             ;   in Loop: Header=BB6_5473 Depth=4
	s_or_b64 exec, exec, s[28:29]
	v_cmp_lt_u32_e32 vcc, s57, v12
	s_and_saveexec_b64 s[28:29], vcc
	s_cbranch_execz .LBB6_8549
; %bb.8542:                             ;   in Loop: Header=BB6_5473 Depth=4
	v_lshrrev_b32_e32 v0, 24, v12
	v_cmp_ne_u32_e32 vcc, s97, v0
	v_bfrev_b32_e32 v1, 1
	s_and_saveexec_b64 s[30:31], vcc
	s_cbranch_execz .LBB6_8548
; %bb.8543:                             ;   in Loop: Header=BB6_5473 Depth=4
	v_and_b32_e32 v1, 0x7c000000, v12
	v_bfe_u32 v4, v12, 24, 2
	v_cmp_ne_u32_e32 vcc, s68, v1
                                        ; implicit-def: $vgpr1
	s_and_saveexec_b64 s[62:63], vcc
	s_xor_b64 s[34:35], exec, s[62:63]
	s_cbranch_execz .LBB6_8545
; %bb.8544:                             ;   in Loop: Header=BB6_5473 Depth=4
	v_ffbh_u32_e32 v1, v4
	v_min_u32_e32 v20, 32, v1
	v_subrev_u32_e32 v1, 29, v20
	v_lshlrev_b64 v[0:1], v1, v[0:1]
	v_bfe_u32 v6, v12, 26, 5
	v_sub_u32_e32 v1, 30, v20
	v_and_b32_e32 v0, 3, v0
	v_cmp_eq_u32_e32 vcc, 0, v6
	v_cndmask_b32_e32 v1, v6, v1, vcc
	v_cndmask_b32_e32 v0, v4, v0, vcc
	v_and_b32_e32 v4, 0x80000000, v12
	v_lshl_add_u32 v1, v1, 23, v4
	v_lshl_or_b32 v0, v0, 21, v1
	v_add_u32_e32 v1, 0x38000000, v0
                                        ; implicit-def: $vgpr4
.LBB6_8545:                             ;   in Loop: Header=BB6_5473 Depth=4
	s_andn2_saveexec_b64 s[34:35], s[34:35]
; %bb.8546:                             ;   in Loop: Header=BB6_5473 Depth=4
	v_cmp_lt_i32_e32 vcc, -1, v12
	v_mov_b32_e32 v0, 0xff800000
	v_mov_b32_e32 v1, 0x7f800000
	v_cndmask_b32_e32 v0, v0, v1, vcc
	v_cmp_eq_u32_e32 vcc, 0, v4
	v_mov_b32_e32 v1, 0x7f800001
	v_cndmask_b32_e32 v1, v1, v0, vcc
; %bb.8547:                             ;   in Loop: Header=BB6_5473 Depth=4
	s_or_b64 exec, exec, s[34:35]
.LBB6_8548:                             ;   in Loop: Header=BB6_5473 Depth=4
	s_or_b64 exec, exec, s[30:31]
.LBB6_8549:                             ;   in Loop: Header=BB6_5473 Depth=4
	s_or_b64 exec, exec, s[28:29]
	v_add_f32_e32 v0, v2, v1
	v_and_b32_e32 v1, 0x7f800000, v0
	v_mov_b32_e32 v2, v33
	v_cmp_ne_u64_e32 vcc, s[76:77], v[1:2]
	v_and_b32_e32 v32, 0x7fffff, v0
                                        ; implicit-def: $vgpr45
	s_and_saveexec_b64 s[28:29], vcc
	s_xor_b64 s[30:31], exec, s[28:29]
	s_cbranch_execz .LBB6_8563
; %bb.8550:                             ;   in Loop: Header=BB6_5473 Depth=4
	v_and_b32_e32 v1, 0x7fffffff, v0
	v_mov_b32_e32 v2, v33
	v_cmp_gt_u64_e32 vcc, s[78:79], v[1:2]
	v_and_b32_sdwa v4, v0, s97 dst_sel:DWORD dst_unused:UNUSED_PAD src0_sel:BYTE_3 src1_sel:DWORD
                                        ; implicit-def: $vgpr45
	s_and_saveexec_b64 s[28:29], vcc
	s_xor_b64 s[34:35], exec, s[28:29]
	s_cbranch_execz .LBB6_8560
; %bb.8551:                             ;   in Loop: Header=BB6_5473 Depth=4
	v_mov_b32_e32 v45, 0
	v_cmp_ne_u32_e32 vcc, 0, v0
	s_and_saveexec_b64 s[36:37], vcc
	s_cbranch_execz .LBB6_8559
; %bb.8552:                             ;   in Loop: Header=BB6_5473 Depth=4
	v_bfe_u32 v20, v0, 23, 8
	v_cmp_gt_u32_e64 s[28:29], s47, v20
	v_sub_u32_e32 v0, 0x71, v20
	v_cmp_eq_u32_e32 vcc, 0, v20
	v_cndmask_b32_e64 v0, 0, v0, s[28:29]
	v_mov_b32_e32 v2, 0x70
	v_cndmask_b32_e32 v21, v0, v2, vcc
	v_add_u32_e32 v2, 21, v21
	v_or_b32_e32 v1, 0x800000, v32
	v_lshlrev_b64 v[45:46], v2, -1
	v_cndmask_b32_e32 v0, v1, v32, vcc
	v_mov_b32_e32 v1, v33
	v_add_u32_e32 v2, 20, v21
	v_mov_b32_e32 v22, v56
	v_bfi_b32 v45, v45, 0, v0
	v_lshlrev_b64 v[56:57], v2, 1
	v_lshrrev_b64 v[0:1], v21, v[0:1]
	v_bfi_b32 v46, v46, 0, 0
	v_cmp_eq_u64_e64 s[28:29], v[45:46], v[56:57]
	v_mov_b32_e32 v2, v1
	v_mov_b32_e32 v1, v0
	s_and_saveexec_b64 s[38:39], s[28:29]
; %bb.8553:                             ;   in Loop: Header=BB6_5473 Depth=4
	v_bfe_u32 v1, v0, 21, 1
	v_add_co_u32_e64 v1, s[28:29], v0, v1
	v_add_co_u32_e64 v1, s[28:29], -1, v1
; %bb.8554:                             ;   in Loop: Header=BB6_5473 Depth=4
	s_or_b64 exec, exec, s[38:39]
	v_add_u32_e32 v2, 0xffffff81, v20
	v_mov_b32_e32 v6, 0xffffff82
	v_cndmask_b32_e32 v2, v2, v6, vcc
	v_lshrrev_b32_e32 v6, 23, v0
	v_add3_u32 v20, v21, v2, v6
	v_add_u32_e32 v6, 14, v20
	v_and_b32_e32 v1, 0x1fffff, v1
	v_add_u32_e32 v32, v1, v0
	v_cmp_ne_u32_e32 vcc, 0, v6
                                        ; implicit-def: $vgpr0_vgpr1
                                        ; implicit-def: $vgpr2
	s_and_saveexec_b64 s[28:29], vcc
	s_xor_b64 s[28:29], exec, s[28:29]
; %bb.8555:                             ;   in Loop: Header=BB6_5473 Depth=4
	v_cmp_lt_u64_e32 vcc, s[88:89], v[32:33]
	v_add_u32_e32 v0, 15, v20
	v_cndmask_b32_e32 v2, v6, v0, vcc
	v_cndmask_b32_e64 v0, 0, 1, vcc
	v_lshrrev_b64 v[0:1], v0, v[32:33]
; %bb.8556:                             ;   in Loop: Header=BB6_5473 Depth=4
	s_or_saveexec_b64 s[28:29], s[28:29]
	v_mov_b32_e32 v56, v22
	s_xor_b64 exec, exec, s[28:29]
; %bb.8557:                             ;   in Loop: Header=BB6_5473 Depth=4
	v_mov_b32_e32 v0, v32
	v_mov_b32_e32 v1, v33
	v_bfe_u32 v2, v32, 23, 1
; %bb.8558:                             ;   in Loop: Header=BB6_5473 Depth=4
	s_or_b64 exec, exec, s[28:29]
	v_lshrrev_b64 v[0:1], 21, v[0:1]
	v_cmp_gt_i32_e32 vcc, 32, v2
	v_cndmask_b32_e32 v1, 0, v1, vcc
	v_cndmask_b32_e32 v0, 3, v0, vcc
	v_cmp_eq_u64_e64 s[28:29], 0, v[0:1]
	v_min_i32_e32 v1, 31, v2
	v_lshlrev_b32_e32 v1, 2, v1
	v_cmp_eq_u32_e32 vcc, 0, v2
	v_and_b32_e32 v1, 0xfc, v1
	v_and_or_b32 v0, v0, 3, v1
	s_and_b64 s[28:29], vcc, s[28:29]
	v_cndmask_b32_e64 v0, v0, 0, s[28:29]
	v_or_b32_e32 v45, v0, v4
.LBB6_8559:                             ;   in Loop: Header=BB6_5473 Depth=4
	s_or_b64 exec, exec, s[36:37]
                                        ; implicit-def: $vgpr4
.LBB6_8560:                             ;   in Loop: Header=BB6_5473 Depth=4
	s_andn2_saveexec_b64 s[28:29], s[34:35]
; %bb.8561:                             ;   in Loop: Header=BB6_5473 Depth=4
	v_or_b32_e32 v45, 0x7b, v4
; %bb.8562:                             ;   in Loop: Header=BB6_5473 Depth=4
	s_or_b64 exec, exec, s[28:29]
                                        ; implicit-def: $vgpr0
.LBB6_8563:                             ;   in Loop: Header=BB6_5473 Depth=4
	s_andn2_saveexec_b64 s[28:29], s[30:31]
	s_cbranch_execz .LBB6_8569
; %bb.8564:                             ;   in Loop: Header=BB6_5473 Depth=4
	v_cmp_ne_u64_e32 vcc, 0, v[32:33]
                                        ; implicit-def: $vgpr45
	s_and_saveexec_b64 s[62:63], vcc
	s_xor_b64 vcc, exec, s[62:63]
; %bb.8565:                             ;   in Loop: Header=BB6_5473 Depth=4
	v_or_b32_sdwa v45, v0, s44 dst_sel:DWORD dst_unused:UNUSED_PAD src0_sel:BYTE_3 src1_sel:DWORD
                                        ; implicit-def: $vgpr0
; %bb.8566:                             ;   in Loop: Header=BB6_5473 Depth=4
	s_andn2_saveexec_b64 s[30:31], vcc
; %bb.8567:                             ;   in Loop: Header=BB6_5473 Depth=4
	v_cmp_lt_i32_e32 vcc, -1, v0
	v_bfrev_b32_e32 v0, 0.5
	v_mov_b32_e32 v1, 0x7c
	v_cndmask_b32_e32 v45, v0, v1, vcc
; %bb.8568:                             ;   in Loop: Header=BB6_5473 Depth=4
	s_or_b64 exec, exec, s[30:31]
.LBB6_8569:                             ;   in Loop: Header=BB6_5473 Depth=4
	s_or_b64 exec, exec, s[28:29]
	buffer_load_dword v1, off, s[0:3], s33 offset:300 ; 4-byte Folded Reload
	v_lshl_or_b32 v4, v56, 8, v44
	v_lshlrev_b32_e32 v0, 16, v58
	v_cmp_ne_u32_e32 vcc, 0, v44
	s_waitcnt vmcnt(0)
	v_lshlrev_b32_e32 v1, 24, v1
	v_or3_b32 v32, v0, v1, v4
	v_mov_b32_e32 v0, 0
	v_mov_b32_e32 v1, 0
	s_and_saveexec_b64 s[30:31], vcc
	s_cbranch_execz .LBB6_8577
; %bb.8570:                             ;   in Loop: Header=BB6_5473 Depth=4
	v_cmp_ne_u32_e32 vcc, s97, v44
	v_bfrev_b32_e32 v1, 1
	s_and_saveexec_b64 s[34:35], vcc
	s_cbranch_execz .LBB6_8576
; %bb.8571:                             ;   in Loop: Header=BB6_5473 Depth=4
	v_and_b32_e32 v1, 0x7c, v44
	v_and_b32_e32 v2, 3, v44
	v_cmp_ne_u32_e32 vcc, s86, v1
                                        ; implicit-def: $vgpr1
	s_and_saveexec_b64 s[28:29], vcc
	s_xor_b64 s[28:29], exec, s[28:29]
	s_cbranch_execz .LBB6_8573
; %bb.8572:                             ;   in Loop: Header=BB6_5473 Depth=4
	v_ffbh_u32_e32 v6, v2
	v_min_u32_e32 v6, 32, v6
	v_bfe_u32 v1, v44, 2, 5
	v_subrev_u32_e32 v20, 29, v6
	v_lshlrev_b64 v[20:21], v20, v[32:33]
	v_sub_u32_e32 v6, 30, v6
	v_cmp_eq_u32_e32 vcc, 0, v1
	v_cndmask_b32_e32 v1, v1, v6, vcc
	v_lshlrev_b32_e32 v6, 24, v44
	v_and_b32_e32 v20, 3, v20
	v_and_b32_e32 v6, 0x80000000, v6
	v_cndmask_b32_e32 v2, v2, v20, vcc
	v_lshl_add_u32 v1, v1, 23, v6
	v_lshl_or_b32 v1, v2, 21, v1
	v_add_u32_e32 v1, 0x38000000, v1
                                        ; implicit-def: $vgpr2
                                        ; implicit-def: $vgpr44
.LBB6_8573:                             ;   in Loop: Header=BB6_5473 Depth=4
	s_andn2_saveexec_b64 s[36:37], s[28:29]
; %bb.8574:                             ;   in Loop: Header=BB6_5473 Depth=4
	v_and_b32_e32 v1, 0x80, v44
	v_cmp_eq_u32_e32 vcc, 0, v2
	v_cmp_eq_u32_e64 s[28:29], 0, v1
	v_mov_b32_e32 v1, 0xff800000
	v_mov_b32_e32 v2, 0x7f800000
	v_cndmask_b32_e64 v1, v1, v2, s[28:29]
	v_mov_b32_e32 v2, 0x7f800001
	v_cndmask_b32_e32 v1, v2, v1, vcc
; %bb.8575:                             ;   in Loop: Header=BB6_5473 Depth=4
	s_or_b64 exec, exec, s[36:37]
.LBB6_8576:                             ;   in Loop: Header=BB6_5473 Depth=4
	s_or_b64 exec, exec, s[34:35]
.LBB6_8577:                             ;   in Loop: Header=BB6_5473 Depth=4
	s_or_b64 exec, exec, s[30:31]
	v_cmp_ne_u16_sdwa s[62:63], v13, v33 src0_sel:BYTE_0 src1_sel:DWORD
	s_and_saveexec_b64 s[28:29], s[62:63]
	s_cbranch_execz .LBB6_8585
; %bb.8578:                             ;   in Loop: Header=BB6_5473 Depth=4
	v_cmp_ne_u16_sdwa s[62:63], v13, s97 src0_sel:BYTE_0 src1_sel:DWORD
	v_bfrev_b32_e32 v0, 1
	s_and_saveexec_b64 s[30:31], s[62:63]
	s_cbranch_execz .LBB6_8584
; %bb.8579:                             ;   in Loop: Header=BB6_5473 Depth=4
	v_and_b32_e32 v0, 0x7c, v13
	v_and_b32_e32 v2, 3, v13
	v_cmp_ne_u32_e32 vcc, s86, v0
                                        ; implicit-def: $vgpr0
	s_and_saveexec_b64 s[62:63], vcc
	s_xor_b64 s[34:35], exec, s[62:63]
	s_cbranch_execz .LBB6_8581
; %bb.8580:                             ;   in Loop: Header=BB6_5473 Depth=4
	v_ffbh_u32_e32 v6, v2
	v_min_u32_e32 v6, 32, v6
	v_mov_b32_e32 v20, v13
	v_mov_b32_e32 v21, v33
	v_bfe_u32 v0, v13, 2, 5
	v_subrev_u32_e32 v22, 29, v6
	v_lshlrev_b64 v[20:21], v22, v[20:21]
	v_sub_u32_e32 v6, 30, v6
	v_cmp_eq_u32_e32 vcc, 0, v0
	v_cndmask_b32_e32 v0, v0, v6, vcc
	v_lshlrev_b32_e32 v6, 24, v13
	v_and_b32_e32 v20, 3, v20
	v_and_b32_e32 v6, 0x80000000, v6
	v_cndmask_b32_e32 v2, v2, v20, vcc
	v_lshl_add_u32 v0, v0, 23, v6
	v_lshl_or_b32 v0, v2, 21, v0
	v_add_u32_e32 v0, 0x38000000, v0
                                        ; implicit-def: $vgpr2
.LBB6_8581:                             ;   in Loop: Header=BB6_5473 Depth=4
	s_andn2_saveexec_b64 s[34:35], s[34:35]
; %bb.8582:                             ;   in Loop: Header=BB6_5473 Depth=4
	v_mov_b32_e32 v0, -1
	v_cmp_gt_i16_sdwa vcc, sext(v13), v0 src0_sel:BYTE_0 src1_sel:DWORD
	v_mov_b32_e32 v0, 0xff800000
	v_mov_b32_e32 v6, 0x7f800000
	v_cndmask_b32_e32 v0, v0, v6, vcc
	v_cmp_eq_u32_e32 vcc, 0, v2
	v_mov_b32_e32 v2, 0x7f800001
	v_cndmask_b32_e32 v0, v2, v0, vcc
; %bb.8583:                             ;   in Loop: Header=BB6_5473 Depth=4
	s_or_b64 exec, exec, s[34:35]
.LBB6_8584:                             ;   in Loop: Header=BB6_5473 Depth=4
	s_or_b64 exec, exec, s[30:31]
.LBB6_8585:                             ;   in Loop: Header=BB6_5473 Depth=4
	s_or_b64 exec, exec, s[28:29]
	v_add_f32_e32 v2, v1, v0
	v_and_b32_e32 v20, 0x7f800000, v2
	v_mov_b32_e32 v21, v33
	v_cmp_ne_u64_e32 vcc, s[76:77], v[20:21]
	v_and_b32_e32 v0, 0x7fffff, v2
	v_mov_b32_e32 v1, v33
                                        ; implicit-def: $vgpr44
	s_and_saveexec_b64 s[28:29], vcc
	s_xor_b64 s[30:31], exec, s[28:29]
	s_cbranch_execz .LBB6_8599
; %bb.8586:                             ;   in Loop: Header=BB6_5473 Depth=4
	v_and_b32_e32 v20, 0x7fffffff, v2
	v_mov_b32_e32 v21, v33
	v_cmp_gt_u64_e32 vcc, s[78:79], v[20:21]
	v_and_b32_sdwa v20, v2, s97 dst_sel:DWORD dst_unused:UNUSED_PAD src0_sel:BYTE_3 src1_sel:DWORD
                                        ; implicit-def: $vgpr44
	s_and_saveexec_b64 s[28:29], vcc
	s_xor_b64 s[34:35], exec, s[28:29]
	s_cbranch_execz .LBB6_8596
; %bb.8587:                             ;   in Loop: Header=BB6_5473 Depth=4
	v_mov_b32_e32 v44, 0
	v_cmp_ne_u32_e32 vcc, 0, v2
	s_and_saveexec_b64 s[36:37], vcc
	s_cbranch_execz .LBB6_8595
; %bb.8588:                             ;   in Loop: Header=BB6_5473 Depth=4
	v_bfe_u32 v21, v2, 23, 8
	v_cmp_gt_u32_e64 s[28:29], s47, v21
	v_sub_u32_e32 v2, 0x71, v21
	v_cmp_eq_u32_e32 vcc, 0, v21
	v_cndmask_b32_e64 v2, 0, v2, s[28:29]
	v_mov_b32_e32 v22, 0x70
	v_cndmask_b32_e32 v22, v2, v22, vcc
	v_add_u32_e32 v2, 21, v22
	v_or_b32_e32 v6, 0x800000, v0
	v_lshlrev_b64 v[46:47], v2, -1
	v_cndmask_b32_e32 v0, v6, v0, vcc
	v_add_u32_e32 v2, 20, v22
	v_bfi_b32 v46, v46, 0, v0
	v_lshlrev_b64 v[56:57], v2, 1
	v_lshrrev_b64 v[0:1], v22, v[0:1]
	v_bfi_b32 v47, v47, 0, 0
	v_cmp_eq_u64_e64 s[28:29], v[46:47], v[56:57]
	v_mov_b32_e32 v2, v1
	v_mov_b32_e32 v1, v0
	s_and_saveexec_b64 s[38:39], s[28:29]
; %bb.8589:                             ;   in Loop: Header=BB6_5473 Depth=4
	v_bfe_u32 v1, v0, 21, 1
	v_add_co_u32_e64 v1, s[28:29], v0, v1
	v_add_co_u32_e64 v1, s[28:29], -1, v1
; %bb.8590:                             ;   in Loop: Header=BB6_5473 Depth=4
	s_or_b64 exec, exec, s[38:39]
	v_add_u32_e32 v2, 0xffffff81, v21
	v_mov_b32_e32 v6, 0xffffff82
	v_cndmask_b32_e32 v2, v2, v6, vcc
	v_lshrrev_b32_e32 v6, 23, v0
	v_add3_u32 v21, v22, v2, v6
	v_add_u32_e32 v6, 14, v21
	v_and_b32_e32 v1, 0x1fffff, v1
	v_add_u32_e32 v0, v1, v0
	v_mov_b32_e32 v1, v33
	v_cmp_ne_u32_e32 vcc, 0, v6
                                        ; implicit-def: $vgpr2
	s_and_saveexec_b64 s[28:29], vcc
	s_xor_b64 s[28:29], exec, s[28:29]
; %bb.8591:                             ;   in Loop: Header=BB6_5473 Depth=4
	v_cmp_lt_u64_e32 vcc, s[88:89], v[0:1]
	v_add_u32_e32 v2, 15, v21
	v_cndmask_b32_e32 v2, v6, v2, vcc
	v_cndmask_b32_e64 v6, 0, 1, vcc
	v_lshrrev_b64 v[0:1], v6, v[0:1]
; %bb.8592:                             ;   in Loop: Header=BB6_5473 Depth=4
	s_andn2_saveexec_b64 s[28:29], s[28:29]
; %bb.8593:                             ;   in Loop: Header=BB6_5473 Depth=4
	v_bfe_u32 v2, v0, 23, 1
; %bb.8594:                             ;   in Loop: Header=BB6_5473 Depth=4
	s_or_b64 exec, exec, s[28:29]
	v_lshrrev_b64 v[0:1], 21, v[0:1]
	v_cmp_gt_i32_e32 vcc, 32, v2
	v_cndmask_b32_e32 v1, 0, v1, vcc
	v_cndmask_b32_e32 v0, 3, v0, vcc
	v_cmp_eq_u64_e64 s[28:29], 0, v[0:1]
	v_min_i32_e32 v1, 31, v2
	v_lshlrev_b32_e32 v1, 2, v1
	v_cmp_eq_u32_e32 vcc, 0, v2
	v_and_b32_e32 v1, 0xfc, v1
	v_and_or_b32 v0, v0, 3, v1
	s_and_b64 s[28:29], vcc, s[28:29]
	v_cndmask_b32_e64 v0, v0, 0, s[28:29]
	v_or_b32_e32 v44, v0, v20
.LBB6_8595:                             ;   in Loop: Header=BB6_5473 Depth=4
	s_or_b64 exec, exec, s[36:37]
                                        ; implicit-def: $vgpr20
.LBB6_8596:                             ;   in Loop: Header=BB6_5473 Depth=4
	s_andn2_saveexec_b64 s[28:29], s[34:35]
; %bb.8597:                             ;   in Loop: Header=BB6_5473 Depth=4
	v_or_b32_e32 v44, 0x7b, v20
; %bb.8598:                             ;   in Loop: Header=BB6_5473 Depth=4
	s_or_b64 exec, exec, s[28:29]
                                        ; implicit-def: $vgpr2
                                        ; implicit-def: $vgpr0_vgpr1
.LBB6_8599:                             ;   in Loop: Header=BB6_5473 Depth=4
	s_andn2_saveexec_b64 s[28:29], s[30:31]
	s_cbranch_execz .LBB6_8605
; %bb.8600:                             ;   in Loop: Header=BB6_5473 Depth=4
	v_cmp_ne_u64_e32 vcc, 0, v[0:1]
                                        ; implicit-def: $vgpr44
	s_and_saveexec_b64 s[62:63], vcc
	s_xor_b64 vcc, exec, s[62:63]
; %bb.8601:                             ;   in Loop: Header=BB6_5473 Depth=4
	v_or_b32_sdwa v44, v2, s44 dst_sel:DWORD dst_unused:UNUSED_PAD src0_sel:BYTE_3 src1_sel:DWORD
                                        ; implicit-def: $vgpr2
; %bb.8602:                             ;   in Loop: Header=BB6_5473 Depth=4
	s_andn2_saveexec_b64 s[30:31], vcc
; %bb.8603:                             ;   in Loop: Header=BB6_5473 Depth=4
	v_cmp_lt_i32_e32 vcc, -1, v2
	v_bfrev_b32_e32 v0, 0.5
	v_mov_b32_e32 v1, 0x7c
	v_cndmask_b32_e32 v44, v0, v1, vcc
; %bb.8604:                             ;   in Loop: Header=BB6_5473 Depth=4
	s_or_b64 exec, exec, s[30:31]
.LBB6_8605:                             ;   in Loop: Header=BB6_5473 Depth=4
	s_or_b64 exec, exec, s[28:29]
	v_lshrrev_b16_e32 v0, 8, v4
	v_cmp_ne_u16_e32 vcc, 0, v0
	v_mov_b32_e32 v2, 0
	v_mov_b32_e32 v20, 0
	s_and_saveexec_b64 s[28:29], vcc
	s_cbranch_execz .LBB6_8613
; %bb.8606:                             ;   in Loop: Header=BB6_5473 Depth=4
	v_cmp_ne_u16_e32 vcc, s97, v0
	v_bfrev_b32_e32 v20, 1
	s_and_saveexec_b64 s[30:31], vcc
	s_cbranch_execz .LBB6_8612
; %bb.8607:                             ;   in Loop: Header=BB6_5473 Depth=4
	v_and_b32_e32 v1, 0x7c, v0
	v_and_b32_e32 v6, 3, v0
	v_cmp_ne_u32_e32 vcc, s86, v1
                                        ; implicit-def: $vgpr20
	s_and_saveexec_b64 s[62:63], vcc
	s_xor_b64 s[34:35], exec, s[62:63]
	s_cbranch_execz .LBB6_8609
; %bb.8608:                             ;   in Loop: Header=BB6_5473 Depth=4
	v_ffbh_u32_e32 v21, v6
	v_min_u32_e32 v21, 32, v21
	v_mov_b32_e32 v1, v33
	v_subrev_u32_e32 v22, 29, v21
	v_bfe_u32 v20, v0, 2, 5
	v_lshlrev_b64 v[0:1], v22, v[0:1]
	v_sub_u32_e32 v1, 30, v21
	v_cmp_eq_u32_e32 vcc, 0, v20
	v_lshlrev_b32_e32 v4, 16, v4
	v_and_b32_e32 v0, 3, v0
	v_cndmask_b32_e32 v1, v20, v1, vcc
	v_and_b32_e32 v4, 0x80000000, v4
	v_cndmask_b32_e32 v0, v6, v0, vcc
	v_lshl_add_u32 v1, v1, 23, v4
	v_lshl_or_b32 v0, v0, 21, v1
	v_add_u32_e32 v20, 0x38000000, v0
                                        ; implicit-def: $vgpr6
                                        ; implicit-def: $vgpr4
.LBB6_8609:                             ;   in Loop: Header=BB6_5473 Depth=4
	s_andn2_saveexec_b64 s[34:35], s[34:35]
; %bb.8610:                             ;   in Loop: Header=BB6_5473 Depth=4
	v_cmp_lt_i16_e32 vcc, -1, v4
	v_mov_b32_e32 v0, 0xff800000
	v_mov_b32_e32 v1, 0x7f800000
	v_cndmask_b32_e32 v0, v0, v1, vcc
	v_cmp_eq_u32_e32 vcc, 0, v6
	v_mov_b32_e32 v1, 0x7f800001
	v_cndmask_b32_e32 v20, v1, v0, vcc
; %bb.8611:                             ;   in Loop: Header=BB6_5473 Depth=4
	s_or_b64 exec, exec, s[34:35]
.LBB6_8612:                             ;   in Loop: Header=BB6_5473 Depth=4
	s_or_b64 exec, exec, s[30:31]
.LBB6_8613:                             ;   in Loop: Header=BB6_5473 Depth=4
	s_or_b64 exec, exec, s[28:29]
	v_lshrrev_b16_e32 v0, 8, v13
	v_cmp_ne_u16_e32 vcc, 0, v0
	s_and_saveexec_b64 s[28:29], vcc
	s_cbranch_execz .LBB6_8621
; %bb.8614:                             ;   in Loop: Header=BB6_5473 Depth=4
	v_cmp_ne_u16_e32 vcc, s97, v0
	v_bfrev_b32_e32 v2, 1
	s_and_saveexec_b64 s[30:31], vcc
	s_cbranch_execz .LBB6_8620
; %bb.8615:                             ;   in Loop: Header=BB6_5473 Depth=4
	v_and_b32_e32 v1, 0x7c, v0
	v_and_b32_e32 v4, 3, v0
	v_cmp_ne_u32_e32 vcc, s86, v1
                                        ; implicit-def: $vgpr2
	s_and_saveexec_b64 s[62:63], vcc
	s_xor_b64 s[34:35], exec, s[62:63]
	s_cbranch_execz .LBB6_8617
; %bb.8616:                             ;   in Loop: Header=BB6_5473 Depth=4
	v_ffbh_u32_e32 v6, v4
	v_min_u32_e32 v6, 32, v6
	v_mov_b32_e32 v1, v33
	v_subrev_u32_e32 v21, 29, v6
	v_bfe_u32 v2, v0, 2, 5
	v_lshlrev_b64 v[0:1], v21, v[0:1]
	v_sub_u32_e32 v1, 30, v6
	v_cmp_eq_u32_e32 vcc, 0, v2
	v_cndmask_b32_e32 v1, v2, v1, vcc
	v_lshlrev_b32_e32 v2, 16, v13
	v_and_b32_e32 v0, 3, v0
	v_and_b32_e32 v2, 0x80000000, v2
	v_cndmask_b32_e32 v0, v4, v0, vcc
	v_lshl_add_u32 v1, v1, 23, v2
	v_lshl_or_b32 v0, v0, 21, v1
	v_add_u32_e32 v2, 0x38000000, v0
                                        ; implicit-def: $vgpr4
.LBB6_8617:                             ;   in Loop: Header=BB6_5473 Depth=4
	s_andn2_saveexec_b64 s[34:35], s[34:35]
; %bb.8618:                             ;   in Loop: Header=BB6_5473 Depth=4
	v_cmp_lt_i16_e32 vcc, -1, v13
	v_mov_b32_e32 v0, 0xff800000
	v_mov_b32_e32 v1, 0x7f800000
	v_cndmask_b32_e32 v0, v0, v1, vcc
	v_cmp_eq_u32_e32 vcc, 0, v4
	v_mov_b32_e32 v1, 0x7f800001
	v_cndmask_b32_e32 v2, v1, v0, vcc
; %bb.8619:                             ;   in Loop: Header=BB6_5473 Depth=4
	s_or_b64 exec, exec, s[34:35]
.LBB6_8620:                             ;   in Loop: Header=BB6_5473 Depth=4
	s_or_b64 exec, exec, s[30:31]
.LBB6_8621:                             ;   in Loop: Header=BB6_5473 Depth=4
	s_or_b64 exec, exec, s[28:29]
	v_add_f32_e32 v2, v20, v2
	v_and_b32_e32 v20, 0x7f800000, v2
	v_mov_b32_e32 v21, v33
	v_cmp_ne_u64_e32 vcc, s[76:77], v[20:21]
	v_and_b32_e32 v0, 0x7fffff, v2
	v_mov_b32_e32 v1, v33
                                        ; implicit-def: $vgpr46
	s_and_saveexec_b64 s[28:29], vcc
	s_xor_b64 s[30:31], exec, s[28:29]
	s_cbranch_execz .LBB6_8635
; %bb.8622:                             ;   in Loop: Header=BB6_5473 Depth=4
	v_and_b32_e32 v20, 0x7fffffff, v2
	v_mov_b32_e32 v21, v33
	v_cmp_gt_u64_e32 vcc, s[78:79], v[20:21]
	v_and_b32_sdwa v4, v2, s97 dst_sel:DWORD dst_unused:UNUSED_PAD src0_sel:BYTE_3 src1_sel:DWORD
                                        ; implicit-def: $vgpr46
	s_and_saveexec_b64 s[28:29], vcc
	s_xor_b64 s[34:35], exec, s[28:29]
	s_cbranch_execz .LBB6_8632
; %bb.8623:                             ;   in Loop: Header=BB6_5473 Depth=4
	v_mov_b32_e32 v46, 0
	v_cmp_ne_u32_e32 vcc, 0, v2
	s_and_saveexec_b64 s[36:37], vcc
	s_cbranch_execz .LBB6_8631
; %bb.8624:                             ;   in Loop: Header=BB6_5473 Depth=4
	v_bfe_u32 v20, v2, 23, 8
	v_cmp_gt_u32_e64 s[28:29], s47, v20
	v_sub_u32_e32 v2, 0x71, v20
	v_cmp_eq_u32_e32 vcc, 0, v20
	v_cndmask_b32_e64 v2, 0, v2, s[28:29]
	v_mov_b32_e32 v21, 0x70
	v_cndmask_b32_e32 v21, v2, v21, vcc
	v_add_u32_e32 v2, 21, v21
	v_or_b32_e32 v6, 0x800000, v0
	v_lshlrev_b64 v[46:47], v2, -1
	v_cndmask_b32_e32 v0, v6, v0, vcc
	v_add_u32_e32 v2, 20, v21
	v_bfi_b32 v46, v46, 0, v0
	v_lshlrev_b64 v[56:57], v2, 1
	v_lshrrev_b64 v[0:1], v21, v[0:1]
	v_bfi_b32 v47, v47, 0, 0
	v_cmp_eq_u64_e64 s[28:29], v[46:47], v[56:57]
	v_mov_b32_e32 v2, v1
	v_mov_b32_e32 v1, v0
	s_and_saveexec_b64 s[38:39], s[28:29]
; %bb.8625:                             ;   in Loop: Header=BB6_5473 Depth=4
	v_bfe_u32 v1, v0, 21, 1
	v_add_co_u32_e64 v1, s[28:29], v0, v1
	v_add_co_u32_e64 v1, s[28:29], -1, v1
; %bb.8626:                             ;   in Loop: Header=BB6_5473 Depth=4
	s_or_b64 exec, exec, s[38:39]
	v_add_u32_e32 v2, 0xffffff81, v20
	v_mov_b32_e32 v6, 0xffffff82
	v_cndmask_b32_e32 v2, v2, v6, vcc
	v_lshrrev_b32_e32 v6, 23, v0
	v_add3_u32 v20, v21, v2, v6
	v_add_u32_e32 v6, 14, v20
	v_and_b32_e32 v1, 0x1fffff, v1
	v_add_u32_e32 v0, v1, v0
	v_mov_b32_e32 v1, v33
	v_cmp_ne_u32_e32 vcc, 0, v6
                                        ; implicit-def: $vgpr2
	s_and_saveexec_b64 s[28:29], vcc
	s_xor_b64 s[28:29], exec, s[28:29]
; %bb.8627:                             ;   in Loop: Header=BB6_5473 Depth=4
	v_cmp_lt_u64_e32 vcc, s[88:89], v[0:1]
	v_add_u32_e32 v2, 15, v20
	v_cndmask_b32_e32 v2, v6, v2, vcc
	v_cndmask_b32_e64 v6, 0, 1, vcc
	v_lshrrev_b64 v[0:1], v6, v[0:1]
; %bb.8628:                             ;   in Loop: Header=BB6_5473 Depth=4
	s_andn2_saveexec_b64 s[28:29], s[28:29]
; %bb.8629:                             ;   in Loop: Header=BB6_5473 Depth=4
	v_bfe_u32 v2, v0, 23, 1
; %bb.8630:                             ;   in Loop: Header=BB6_5473 Depth=4
	s_or_b64 exec, exec, s[28:29]
	v_lshrrev_b64 v[0:1], 21, v[0:1]
	v_cmp_gt_i32_e32 vcc, 32, v2
	v_cndmask_b32_e32 v1, 0, v1, vcc
	v_cndmask_b32_e32 v0, 3, v0, vcc
	v_cmp_eq_u64_e64 s[28:29], 0, v[0:1]
	v_min_i32_e32 v1, 31, v2
	v_lshlrev_b32_e32 v1, 2, v1
	v_cmp_eq_u32_e32 vcc, 0, v2
	v_and_b32_e32 v1, 0xfc, v1
	v_and_or_b32 v0, v0, 3, v1
	s_and_b64 s[28:29], vcc, s[28:29]
	v_cndmask_b32_e64 v0, v0, 0, s[28:29]
	v_or_b32_e32 v46, v0, v4
.LBB6_8631:                             ;   in Loop: Header=BB6_5473 Depth=4
	s_or_b64 exec, exec, s[36:37]
                                        ; implicit-def: $vgpr4
.LBB6_8632:                             ;   in Loop: Header=BB6_5473 Depth=4
	s_andn2_saveexec_b64 s[28:29], s[34:35]
; %bb.8633:                             ;   in Loop: Header=BB6_5473 Depth=4
	v_or_b32_e32 v46, 0x7b, v4
; %bb.8634:                             ;   in Loop: Header=BB6_5473 Depth=4
	s_or_b64 exec, exec, s[28:29]
                                        ; implicit-def: $vgpr2
                                        ; implicit-def: $vgpr0_vgpr1
.LBB6_8635:                             ;   in Loop: Header=BB6_5473 Depth=4
	s_andn2_saveexec_b64 s[28:29], s[30:31]
	s_cbranch_execz .LBB6_8641
; %bb.8636:                             ;   in Loop: Header=BB6_5473 Depth=4
	v_cmp_ne_u64_e32 vcc, 0, v[0:1]
                                        ; implicit-def: $vgpr46
	s_and_saveexec_b64 s[62:63], vcc
	s_xor_b64 vcc, exec, s[62:63]
; %bb.8637:                             ;   in Loop: Header=BB6_5473 Depth=4
	v_or_b32_sdwa v46, v2, s44 dst_sel:DWORD dst_unused:UNUSED_PAD src0_sel:BYTE_3 src1_sel:DWORD
                                        ; implicit-def: $vgpr2
; %bb.8638:                             ;   in Loop: Header=BB6_5473 Depth=4
	s_andn2_saveexec_b64 s[30:31], vcc
; %bb.8639:                             ;   in Loop: Header=BB6_5473 Depth=4
	v_cmp_lt_i32_e32 vcc, -1, v2
	v_bfrev_b32_e32 v0, 0.5
	v_mov_b32_e32 v1, 0x7c
	v_cndmask_b32_e32 v46, v0, v1, vcc
; %bb.8640:                             ;   in Loop: Header=BB6_5473 Depth=4
	s_or_b64 exec, exec, s[30:31]
.LBB6_8641:                             ;   in Loop: Header=BB6_5473 Depth=4
	s_or_b64 exec, exec, s[28:29]
	v_and_b32_sdwa v4, v32, s96 dst_sel:DWORD dst_unused:UNUSED_PAD src0_sel:WORD_1 src1_sel:DWORD
	v_lshrrev_b32_e32 v0, 16, v32
	v_cmp_ne_u16_e32 vcc, 0, v4
	v_mov_b32_e32 v1, 0
	v_mov_b32_e32 v2, 0
	s_and_saveexec_b64 s[28:29], vcc
	s_cbranch_execz .LBB6_8649
; %bb.8642:                             ;   in Loop: Header=BB6_5473 Depth=4
	v_cmp_ne_u16_e32 vcc, s97, v4
	v_bfrev_b32_e32 v2, 1
	s_and_saveexec_b64 s[30:31], vcc
	s_cbranch_execz .LBB6_8648
; %bb.8643:                             ;   in Loop: Header=BB6_5473 Depth=4
	v_and_b32_e32 v2, 0x7c0000, v32
	v_bfe_u32 v4, v32, 16, 2
	v_cmp_ne_u32_e32 vcc, s45, v2
                                        ; implicit-def: $vgpr2
	s_and_saveexec_b64 s[62:63], vcc
	s_xor_b64 s[34:35], exec, s[62:63]
	s_cbranch_execz .LBB6_8645
; %bb.8644:                             ;   in Loop: Header=BB6_5473 Depth=4
	v_ffbh_u32_e32 v6, v4
	v_min_u32_e32 v6, 32, v6
	v_subrev_u32_e32 v20, 29, v6
	v_lshlrev_b64 v[20:21], v20, v[0:1]
	v_bfe_u32 v2, v32, 18, 5
	v_sub_u32_e32 v0, 30, v6
	v_and_b32_e32 v6, 3, v20
	v_cmp_eq_u32_e32 vcc, 0, v2
	v_cndmask_b32_e32 v0, v2, v0, vcc
	v_cndmask_b32_e32 v2, v4, v6, vcc
	v_lshlrev_b32_e32 v4, 8, v32
	v_and_b32_e32 v4, 0x80000000, v4
	v_lshl_add_u32 v0, v0, 23, v4
	v_lshl_or_b32 v0, v2, 21, v0
	v_add_u32_e32 v2, 0x38000000, v0
                                        ; implicit-def: $vgpr4
                                        ; implicit-def: $vgpr0
.LBB6_8645:                             ;   in Loop: Header=BB6_5473 Depth=4
	s_andn2_saveexec_b64 s[34:35], s[34:35]
; %bb.8646:                             ;   in Loop: Header=BB6_5473 Depth=4
	v_mov_b32_e32 v2, -1
	v_cmp_gt_i16_sdwa vcc, sext(v0), v2 src0_sel:BYTE_0 src1_sel:DWORD
	v_mov_b32_e32 v0, 0xff800000
	v_mov_b32_e32 v2, 0x7f800000
	v_cndmask_b32_e32 v0, v0, v2, vcc
	v_cmp_eq_u32_e32 vcc, 0, v4
	v_mov_b32_e32 v2, 0x7f800001
	v_cndmask_b32_e32 v2, v2, v0, vcc
; %bb.8647:                             ;   in Loop: Header=BB6_5473 Depth=4
	s_or_b64 exec, exec, s[34:35]
.LBB6_8648:                             ;   in Loop: Header=BB6_5473 Depth=4
	s_or_b64 exec, exec, s[30:31]
.LBB6_8649:                             ;   in Loop: Header=BB6_5473 Depth=4
	s_or_b64 exec, exec, s[28:29]
	v_lshrrev_b32_e32 v0, 16, v13
	v_cmp_ne_u16_sdwa s[62:63], v0, v33 src0_sel:BYTE_0 src1_sel:DWORD
	s_and_saveexec_b64 s[28:29], s[62:63]
	s_cbranch_execz .LBB6_8657
; %bb.8650:                             ;   in Loop: Header=BB6_5473 Depth=4
	v_cmp_ne_u16_sdwa s[62:63], v0, s97 src0_sel:BYTE_0 src1_sel:DWORD
	v_bfrev_b32_e32 v1, 1
	s_and_saveexec_b64 s[30:31], s[62:63]
	s_cbranch_execz .LBB6_8656
; %bb.8651:                             ;   in Loop: Header=BB6_5473 Depth=4
	v_and_b32_e32 v1, 0x7c0000, v13
	v_bfe_u32 v4, v13, 16, 2
	v_cmp_ne_u32_e32 vcc, s45, v1
                                        ; implicit-def: $vgpr1
	s_and_saveexec_b64 s[62:63], vcc
	s_xor_b64 s[34:35], exec, s[62:63]
	s_cbranch_execz .LBB6_8653
; %bb.8652:                             ;   in Loop: Header=BB6_5473 Depth=4
	v_ffbh_u32_e32 v1, v4
	v_min_u32_e32 v20, 32, v1
	v_subrev_u32_e32 v1, 29, v20
	v_lshlrev_b64 v[0:1], v1, v[0:1]
	v_bfe_u32 v6, v13, 18, 5
	v_and_b32_e32 v0, 3, v0
	v_cmp_eq_u32_e32 vcc, 0, v6
	v_sub_u32_e32 v1, 30, v20
	v_cndmask_b32_e32 v0, v4, v0, vcc
	v_lshlrev_b32_e32 v4, 8, v13
	v_cndmask_b32_e32 v1, v6, v1, vcc
	v_and_b32_e32 v4, 0x80000000, v4
	v_lshl_add_u32 v1, v1, 23, v4
	v_lshl_or_b32 v0, v0, 21, v1
	v_add_u32_e32 v1, 0x38000000, v0
                                        ; implicit-def: $vgpr4
                                        ; implicit-def: $vgpr0
.LBB6_8653:                             ;   in Loop: Header=BB6_5473 Depth=4
	s_andn2_saveexec_b64 s[34:35], s[34:35]
; %bb.8654:                             ;   in Loop: Header=BB6_5473 Depth=4
	v_mov_b32_e32 v1, -1
	v_cmp_gt_i16_sdwa vcc, sext(v0), v1 src0_sel:BYTE_0 src1_sel:DWORD
	v_mov_b32_e32 v0, 0xff800000
	v_mov_b32_e32 v1, 0x7f800000
	v_cndmask_b32_e32 v0, v0, v1, vcc
	v_cmp_eq_u32_e32 vcc, 0, v4
	v_mov_b32_e32 v1, 0x7f800001
	v_cndmask_b32_e32 v1, v1, v0, vcc
; %bb.8655:                             ;   in Loop: Header=BB6_5473 Depth=4
	s_or_b64 exec, exec, s[34:35]
.LBB6_8656:                             ;   in Loop: Header=BB6_5473 Depth=4
	s_or_b64 exec, exec, s[30:31]
.LBB6_8657:                             ;   in Loop: Header=BB6_5473 Depth=4
	s_or_b64 exec, exec, s[28:29]
	v_add_f32_e32 v2, v2, v1
	v_and_b32_e32 v20, 0x7f800000, v2
	v_mov_b32_e32 v21, v33
	v_cmp_ne_u64_e32 vcc, s[76:77], v[20:21]
	v_and_b32_e32 v0, 0x7fffff, v2
	v_mov_b32_e32 v1, v33
                                        ; implicit-def: $vgpr47
	s_and_saveexec_b64 s[28:29], vcc
	s_xor_b64 s[30:31], exec, s[28:29]
	s_cbranch_execz .LBB6_8671
; %bb.8658:                             ;   in Loop: Header=BB6_5473 Depth=4
	v_and_b32_e32 v20, 0x7fffffff, v2
	v_mov_b32_e32 v21, v33
	v_cmp_gt_u64_e32 vcc, s[78:79], v[20:21]
	v_and_b32_sdwa v4, v2, s97 dst_sel:DWORD dst_unused:UNUSED_PAD src0_sel:BYTE_3 src1_sel:DWORD
                                        ; implicit-def: $vgpr47
	s_and_saveexec_b64 s[28:29], vcc
	s_xor_b64 s[34:35], exec, s[28:29]
	s_cbranch_execz .LBB6_8668
; %bb.8659:                             ;   in Loop: Header=BB6_5473 Depth=4
	v_mov_b32_e32 v47, 0
	v_cmp_ne_u32_e32 vcc, 0, v2
	s_and_saveexec_b64 s[36:37], vcc
	s_cbranch_execz .LBB6_8667
; %bb.8660:                             ;   in Loop: Header=BB6_5473 Depth=4
	v_bfe_u32 v20, v2, 23, 8
	v_cmp_gt_u32_e64 s[28:29], s47, v20
	v_sub_u32_e32 v2, 0x71, v20
	v_cmp_eq_u32_e32 vcc, 0, v20
	v_cndmask_b32_e64 v2, 0, v2, s[28:29]
	v_mov_b32_e32 v21, 0x70
	v_cndmask_b32_e32 v21, v2, v21, vcc
	v_add_u32_e32 v2, 21, v21
	v_or_b32_e32 v6, 0x800000, v0
	v_lshlrev_b64 v[56:57], v2, -1
	v_cndmask_b32_e32 v0, v6, v0, vcc
	v_add_u32_e32 v2, 20, v21
	v_bfi_b32 v56, v56, 0, v0
	v_lshlrev_b64 v[58:59], v2, 1
	v_lshrrev_b64 v[0:1], v21, v[0:1]
	v_bfi_b32 v57, v57, 0, 0
	v_cmp_eq_u64_e64 s[28:29], v[56:57], v[58:59]
	v_mov_b32_e32 v2, v1
	v_mov_b32_e32 v1, v0
	s_and_saveexec_b64 s[38:39], s[28:29]
; %bb.8661:                             ;   in Loop: Header=BB6_5473 Depth=4
	v_bfe_u32 v1, v0, 21, 1
	v_add_co_u32_e64 v1, s[28:29], v0, v1
	v_add_co_u32_e64 v1, s[28:29], -1, v1
; %bb.8662:                             ;   in Loop: Header=BB6_5473 Depth=4
	s_or_b64 exec, exec, s[38:39]
	v_add_u32_e32 v2, 0xffffff81, v20
	v_mov_b32_e32 v6, 0xffffff82
	v_cndmask_b32_e32 v2, v2, v6, vcc
	v_lshrrev_b32_e32 v6, 23, v0
	v_add3_u32 v20, v21, v2, v6
	v_add_u32_e32 v6, 14, v20
	v_and_b32_e32 v1, 0x1fffff, v1
	v_add_u32_e32 v0, v1, v0
	v_mov_b32_e32 v1, v33
	v_cmp_ne_u32_e32 vcc, 0, v6
                                        ; implicit-def: $vgpr2
	s_and_saveexec_b64 s[28:29], vcc
	s_xor_b64 s[28:29], exec, s[28:29]
; %bb.8663:                             ;   in Loop: Header=BB6_5473 Depth=4
	v_cmp_lt_u64_e32 vcc, s[88:89], v[0:1]
	v_add_u32_e32 v2, 15, v20
	v_cndmask_b32_e32 v2, v6, v2, vcc
	v_cndmask_b32_e64 v6, 0, 1, vcc
	v_lshrrev_b64 v[0:1], v6, v[0:1]
; %bb.8664:                             ;   in Loop: Header=BB6_5473 Depth=4
	s_andn2_saveexec_b64 s[28:29], s[28:29]
; %bb.8665:                             ;   in Loop: Header=BB6_5473 Depth=4
	v_bfe_u32 v2, v0, 23, 1
; %bb.8666:                             ;   in Loop: Header=BB6_5473 Depth=4
	s_or_b64 exec, exec, s[28:29]
	v_lshrrev_b64 v[0:1], 21, v[0:1]
	v_cmp_gt_i32_e32 vcc, 32, v2
	v_cndmask_b32_e32 v1, 0, v1, vcc
	v_cndmask_b32_e32 v0, 3, v0, vcc
	v_cmp_eq_u64_e64 s[28:29], 0, v[0:1]
	v_min_i32_e32 v1, 31, v2
	v_lshlrev_b32_e32 v1, 2, v1
	v_cmp_eq_u32_e32 vcc, 0, v2
	v_and_b32_e32 v1, 0xfc, v1
	v_and_or_b32 v0, v0, 3, v1
	s_and_b64 s[28:29], vcc, s[28:29]
	v_cndmask_b32_e64 v0, v0, 0, s[28:29]
	v_or_b32_e32 v47, v0, v4
.LBB6_8667:                             ;   in Loop: Header=BB6_5473 Depth=4
	s_or_b64 exec, exec, s[36:37]
                                        ; implicit-def: $vgpr4
.LBB6_8668:                             ;   in Loop: Header=BB6_5473 Depth=4
	s_andn2_saveexec_b64 s[28:29], s[34:35]
; %bb.8669:                             ;   in Loop: Header=BB6_5473 Depth=4
	v_or_b32_e32 v47, 0x7b, v4
; %bb.8670:                             ;   in Loop: Header=BB6_5473 Depth=4
	s_or_b64 exec, exec, s[28:29]
                                        ; implicit-def: $vgpr2
                                        ; implicit-def: $vgpr0_vgpr1
.LBB6_8671:                             ;   in Loop: Header=BB6_5473 Depth=4
	s_andn2_saveexec_b64 s[28:29], s[30:31]
	s_cbranch_execz .LBB6_8677
; %bb.8672:                             ;   in Loop: Header=BB6_5473 Depth=4
	v_cmp_ne_u64_e32 vcc, 0, v[0:1]
                                        ; implicit-def: $vgpr47
	s_and_saveexec_b64 s[62:63], vcc
	s_xor_b64 vcc, exec, s[62:63]
; %bb.8673:                             ;   in Loop: Header=BB6_5473 Depth=4
	v_or_b32_sdwa v47, v2, s44 dst_sel:DWORD dst_unused:UNUSED_PAD src0_sel:BYTE_3 src1_sel:DWORD
                                        ; implicit-def: $vgpr2
; %bb.8674:                             ;   in Loop: Header=BB6_5473 Depth=4
	s_andn2_saveexec_b64 s[30:31], vcc
; %bb.8675:                             ;   in Loop: Header=BB6_5473 Depth=4
	v_cmp_lt_i32_e32 vcc, -1, v2
	v_bfrev_b32_e32 v0, 0.5
	v_mov_b32_e32 v1, 0x7c
	v_cndmask_b32_e32 v47, v0, v1, vcc
; %bb.8676:                             ;   in Loop: Header=BB6_5473 Depth=4
	s_or_b64 exec, exec, s[30:31]
.LBB6_8677:                             ;   in Loop: Header=BB6_5473 Depth=4
	s_or_b64 exec, exec, s[28:29]
	v_cmp_lt_u32_e32 vcc, s57, v32
	v_mov_b32_e32 v1, 0
	v_mov_b32_e32 v2, 0
	s_and_saveexec_b64 s[28:29], vcc
	s_cbranch_execz .LBB6_8685
; %bb.8678:                             ;   in Loop: Header=BB6_5473 Depth=4
	v_lshrrev_b32_e32 v0, 24, v32
	v_cmp_ne_u32_e32 vcc, s97, v0
	v_bfrev_b32_e32 v2, 1
	s_and_saveexec_b64 s[30:31], vcc
	s_cbranch_execz .LBB6_8684
; %bb.8679:                             ;   in Loop: Header=BB6_5473 Depth=4
	v_and_b32_e32 v2, 0x7c000000, v32
	v_bfe_u32 v4, v32, 24, 2
	v_cmp_ne_u32_e32 vcc, s68, v2
                                        ; implicit-def: $vgpr2
	s_and_saveexec_b64 s[62:63], vcc
	s_xor_b64 s[34:35], exec, s[62:63]
	s_cbranch_execz .LBB6_8681
; %bb.8680:                             ;   in Loop: Header=BB6_5473 Depth=4
	v_ffbh_u32_e32 v6, v4
	v_min_u32_e32 v6, 32, v6
	v_subrev_u32_e32 v20, 29, v6
	v_lshlrev_b64 v[20:21], v20, v[0:1]
	v_bfe_u32 v2, v32, 26, 5
	v_sub_u32_e32 v0, 30, v6
	v_and_b32_e32 v6, 3, v20
	v_cmp_eq_u32_e32 vcc, 0, v2
	v_cndmask_b32_e32 v0, v2, v0, vcc
	v_cndmask_b32_e32 v2, v4, v6, vcc
	v_and_b32_e32 v4, 0x80000000, v32
	v_lshl_add_u32 v0, v0, 23, v4
	v_lshl_or_b32 v0, v2, 21, v0
	v_add_u32_e32 v2, 0x38000000, v0
                                        ; implicit-def: $vgpr4
.LBB6_8681:                             ;   in Loop: Header=BB6_5473 Depth=4
	s_andn2_saveexec_b64 s[34:35], s[34:35]
; %bb.8682:                             ;   in Loop: Header=BB6_5473 Depth=4
	v_cmp_lt_i32_e32 vcc, -1, v32
	v_mov_b32_e32 v0, 0xff800000
	v_mov_b32_e32 v2, 0x7f800000
	v_cndmask_b32_e32 v0, v0, v2, vcc
	v_cmp_eq_u32_e32 vcc, 0, v4
	v_mov_b32_e32 v2, 0x7f800001
	v_cndmask_b32_e32 v2, v2, v0, vcc
; %bb.8683:                             ;   in Loop: Header=BB6_5473 Depth=4
	s_or_b64 exec, exec, s[34:35]
.LBB6_8684:                             ;   in Loop: Header=BB6_5473 Depth=4
	s_or_b64 exec, exec, s[30:31]
.LBB6_8685:                             ;   in Loop: Header=BB6_5473 Depth=4
	s_or_b64 exec, exec, s[28:29]
	v_cmp_lt_u64_e32 vcc, s[56:57], v[12:13]
	s_and_saveexec_b64 s[28:29], vcc
	s_cbranch_execz .LBB6_8693
; %bb.8686:                             ;   in Loop: Header=BB6_5473 Depth=4
	v_lshrrev_b32_e32 v0, 24, v13
	v_cmp_ne_u32_e32 vcc, s97, v0
	v_bfrev_b32_e32 v1, 1
	s_and_saveexec_b64 s[30:31], vcc
	s_cbranch_execz .LBB6_8692
; %bb.8687:                             ;   in Loop: Header=BB6_5473 Depth=4
	v_and_b32_e32 v1, 0x7c000000, v13
	v_bfe_u32 v4, v13, 24, 2
	v_cmp_ne_u32_e32 vcc, s68, v1
                                        ; implicit-def: $vgpr1
	s_and_saveexec_b64 s[62:63], vcc
	s_xor_b64 s[34:35], exec, s[62:63]
	s_cbranch_execz .LBB6_8689
; %bb.8688:                             ;   in Loop: Header=BB6_5473 Depth=4
	v_ffbh_u32_e32 v1, v4
	v_min_u32_e32 v20, 32, v1
	v_subrev_u32_e32 v1, 29, v20
	v_lshlrev_b64 v[0:1], v1, v[0:1]
	v_bfe_u32 v6, v13, 26, 5
	v_sub_u32_e32 v1, 30, v20
	v_and_b32_e32 v0, 3, v0
	v_cmp_eq_u32_e32 vcc, 0, v6
	v_cndmask_b32_e32 v1, v6, v1, vcc
	v_cndmask_b32_e32 v0, v4, v0, vcc
	v_and_b32_e32 v4, 0x80000000, v13
	v_lshl_add_u32 v1, v1, 23, v4
	v_lshl_or_b32 v0, v0, 21, v1
	v_add_u32_e32 v1, 0x38000000, v0
                                        ; implicit-def: $vgpr4
.LBB6_8689:                             ;   in Loop: Header=BB6_5473 Depth=4
	s_andn2_saveexec_b64 s[34:35], s[34:35]
; %bb.8690:                             ;   in Loop: Header=BB6_5473 Depth=4
	v_cmp_lt_i64_e32 vcc, -1, v[12:13]
	v_mov_b32_e32 v0, 0xff800000
	v_mov_b32_e32 v1, 0x7f800000
	v_cndmask_b32_e32 v0, v0, v1, vcc
	v_cmp_eq_u32_e32 vcc, 0, v4
	v_mov_b32_e32 v1, 0x7f800001
	v_cndmask_b32_e32 v1, v1, v0, vcc
; %bb.8691:                             ;   in Loop: Header=BB6_5473 Depth=4
	s_or_b64 exec, exec, s[34:35]
.LBB6_8692:                             ;   in Loop: Header=BB6_5473 Depth=4
	s_or_b64 exec, exec, s[30:31]
.LBB6_8693:                             ;   in Loop: Header=BB6_5473 Depth=4
	s_or_b64 exec, exec, s[28:29]
	v_add_f32_e32 v0, v2, v1
	v_and_b32_e32 v1, 0x7f800000, v0
	v_mov_b32_e32 v2, v33
	v_cmp_ne_u64_e32 vcc, s[76:77], v[1:2]
	v_and_b32_e32 v32, 0x7fffff, v0
                                        ; implicit-def: $vgpr12
	s_and_saveexec_b64 s[28:29], vcc
	s_xor_b64 s[30:31], exec, s[28:29]
	s_cbranch_execz .LBB6_8707
; %bb.8694:                             ;   in Loop: Header=BB6_5473 Depth=4
	v_and_b32_e32 v1, 0x7fffffff, v0
	v_mov_b32_e32 v2, v33
	v_cmp_gt_u64_e32 vcc, s[78:79], v[1:2]
	v_and_b32_sdwa v4, v0, s97 dst_sel:DWORD dst_unused:UNUSED_PAD src0_sel:BYTE_3 src1_sel:DWORD
                                        ; implicit-def: $vgpr12
	s_and_saveexec_b64 s[28:29], vcc
	s_xor_b64 s[34:35], exec, s[28:29]
	s_cbranch_execz .LBB6_8704
; %bb.8695:                             ;   in Loop: Header=BB6_5473 Depth=4
	v_mov_b32_e32 v12, 0
	v_cmp_ne_u32_e32 vcc, 0, v0
	s_and_saveexec_b64 s[36:37], vcc
	s_cbranch_execz .LBB6_8703
; %bb.8696:                             ;   in Loop: Header=BB6_5473 Depth=4
	v_bfe_u32 v12, v0, 23, 8
	v_cmp_gt_u32_e64 s[28:29], s47, v12
	v_sub_u32_e32 v0, 0x71, v12
	v_cmp_eq_u32_e32 vcc, 0, v12
	v_cndmask_b32_e64 v0, 0, v0, s[28:29]
	v_mov_b32_e32 v2, 0x70
	v_cndmask_b32_e32 v13, v0, v2, vcc
	v_add_u32_e32 v2, 21, v13
	v_or_b32_e32 v1, 0x800000, v32
	v_lshlrev_b64 v[20:21], v2, -1
	v_cndmask_b32_e32 v0, v1, v32, vcc
	v_mov_b32_e32 v1, v33
	v_add_u32_e32 v2, 20, v13
	v_bfi_b32 v20, v20, 0, v0
	v_lshlrev_b64 v[56:57], v2, 1
	v_lshrrev_b64 v[0:1], v13, v[0:1]
	v_bfi_b32 v21, v21, 0, 0
	v_cmp_eq_u64_e64 s[28:29], v[20:21], v[56:57]
	v_mov_b32_e32 v2, v1
	v_mov_b32_e32 v1, v0
	s_and_saveexec_b64 s[38:39], s[28:29]
; %bb.8697:                             ;   in Loop: Header=BB6_5473 Depth=4
	v_bfe_u32 v1, v0, 21, 1
	v_add_co_u32_e64 v1, s[28:29], v0, v1
	v_add_co_u32_e64 v1, s[28:29], -1, v1
; %bb.8698:                             ;   in Loop: Header=BB6_5473 Depth=4
	s_or_b64 exec, exec, s[38:39]
	v_add_u32_e32 v2, 0xffffff81, v12
	v_mov_b32_e32 v6, 0xffffff82
	v_cndmask_b32_e32 v2, v2, v6, vcc
	v_lshrrev_b32_e32 v6, 23, v0
	v_add3_u32 v12, v13, v2, v6
	v_add_u32_e32 v6, 14, v12
	v_and_b32_e32 v1, 0x1fffff, v1
	v_add_u32_e32 v32, v1, v0
	v_cmp_ne_u32_e32 vcc, 0, v6
                                        ; implicit-def: $vgpr0_vgpr1
                                        ; implicit-def: $vgpr2
	s_and_saveexec_b64 s[28:29], vcc
	s_xor_b64 s[28:29], exec, s[28:29]
; %bb.8699:                             ;   in Loop: Header=BB6_5473 Depth=4
	v_cmp_lt_u64_e32 vcc, s[88:89], v[32:33]
	v_add_u32_e32 v0, 15, v12
	v_cndmask_b32_e32 v2, v6, v0, vcc
	v_cndmask_b32_e64 v0, 0, 1, vcc
	v_lshrrev_b64 v[0:1], v0, v[32:33]
; %bb.8700:                             ;   in Loop: Header=BB6_5473 Depth=4
	s_andn2_saveexec_b64 s[28:29], s[28:29]
; %bb.8701:                             ;   in Loop: Header=BB6_5473 Depth=4
	v_mov_b32_e32 v0, v32
	v_mov_b32_e32 v1, v33
	v_bfe_u32 v2, v32, 23, 1
; %bb.8702:                             ;   in Loop: Header=BB6_5473 Depth=4
	s_or_b64 exec, exec, s[28:29]
	v_lshrrev_b64 v[0:1], 21, v[0:1]
	v_cmp_gt_i32_e32 vcc, 32, v2
	v_cndmask_b32_e32 v1, 0, v1, vcc
	v_cndmask_b32_e32 v0, 3, v0, vcc
	v_cmp_eq_u64_e64 s[28:29], 0, v[0:1]
	v_min_i32_e32 v1, 31, v2
	v_lshlrev_b32_e32 v1, 2, v1
	v_cmp_eq_u32_e32 vcc, 0, v2
	v_and_b32_e32 v1, 0xfc, v1
	v_and_or_b32 v0, v0, 3, v1
	s_and_b64 s[28:29], vcc, s[28:29]
	v_cndmask_b32_e64 v0, v0, 0, s[28:29]
	v_or_b32_e32 v12, v0, v4
.LBB6_8703:                             ;   in Loop: Header=BB6_5473 Depth=4
	s_or_b64 exec, exec, s[36:37]
                                        ; implicit-def: $vgpr4
.LBB6_8704:                             ;   in Loop: Header=BB6_5473 Depth=4
	s_andn2_saveexec_b64 s[28:29], s[34:35]
; %bb.8705:                             ;   in Loop: Header=BB6_5473 Depth=4
	v_or_b32_e32 v12, 0x7b, v4
; %bb.8706:                             ;   in Loop: Header=BB6_5473 Depth=4
	s_or_b64 exec, exec, s[28:29]
                                        ; implicit-def: $vgpr0
.LBB6_8707:                             ;   in Loop: Header=BB6_5473 Depth=4
	s_andn2_saveexec_b64 s[28:29], s[30:31]
	s_cbranch_execz .LBB6_8713
; %bb.8708:                             ;   in Loop: Header=BB6_5473 Depth=4
	v_cmp_ne_u64_e32 vcc, 0, v[32:33]
                                        ; implicit-def: $vgpr12
	s_and_saveexec_b64 s[62:63], vcc
	s_xor_b64 vcc, exec, s[62:63]
; %bb.8709:                             ;   in Loop: Header=BB6_5473 Depth=4
	v_or_b32_sdwa v12, v0, s44 dst_sel:DWORD dst_unused:UNUSED_PAD src0_sel:BYTE_3 src1_sel:DWORD
                                        ; implicit-def: $vgpr0
; %bb.8710:                             ;   in Loop: Header=BB6_5473 Depth=4
	s_andn2_saveexec_b64 s[30:31], vcc
; %bb.8711:                             ;   in Loop: Header=BB6_5473 Depth=4
	v_cmp_lt_i32_e32 vcc, -1, v0
	v_bfrev_b32_e32 v0, 0.5
	v_mov_b32_e32 v1, 0x7c
	v_cndmask_b32_e32 v12, v0, v1, vcc
; %bb.8712:                             ;   in Loop: Header=BB6_5473 Depth=4
	s_or_b64 exec, exec, s[30:31]
.LBB6_8713:                             ;   in Loop: Header=BB6_5473 Depth=4
	s_or_b64 exec, exec, s[28:29]
	buffer_load_dword v0, off, s[0:3], s33 offset:244 ; 4-byte Folded Reload
	buffer_load_dword v1, off, s[0:3], s33 offset:296 ; 4-byte Folded Reload
	v_cmp_ne_u32_e32 vcc, 0, v55
	s_waitcnt vmcnt(1)
	v_lshl_or_b32 v4, v0, 8, v55
	buffer_load_dword v0, off, s[0:3], s33 offset:260 ; 4-byte Folded Reload
	s_waitcnt vmcnt(1)
	v_lshlrev_b32_e32 v1, 24, v1
	s_waitcnt vmcnt(0)
	v_lshlrev_b32_e32 v0, 16, v0
	v_or3_b32 v32, v0, v1, v4
	v_mov_b32_e32 v0, 0
	v_mov_b32_e32 v1, 0
	s_and_saveexec_b64 s[30:31], vcc
	s_cbranch_execz .LBB6_8721
; %bb.8714:                             ;   in Loop: Header=BB6_5473 Depth=4
	v_cmp_ne_u32_e32 vcc, s97, v55
	v_bfrev_b32_e32 v1, 1
	s_and_saveexec_b64 s[34:35], vcc
	s_cbranch_execz .LBB6_8720
; %bb.8715:                             ;   in Loop: Header=BB6_5473 Depth=4
	v_and_b32_e32 v1, 0x7c, v55
	v_and_b32_e32 v2, 3, v55
	v_cmp_ne_u32_e32 vcc, s86, v1
                                        ; implicit-def: $vgpr1
	s_and_saveexec_b64 s[28:29], vcc
	s_xor_b64 s[28:29], exec, s[28:29]
	s_cbranch_execz .LBB6_8717
; %bb.8716:                             ;   in Loop: Header=BB6_5473 Depth=4
	v_ffbh_u32_e32 v6, v2
	v_min_u32_e32 v6, 32, v6
	v_bfe_u32 v1, v55, 2, 5
	v_subrev_u32_e32 v13, 29, v6
	v_lshlrev_b64 v[20:21], v13, v[32:33]
	v_sub_u32_e32 v6, 30, v6
	v_cmp_eq_u32_e32 vcc, 0, v1
	v_cndmask_b32_e32 v1, v1, v6, vcc
	v_lshlrev_b32_e32 v6, 24, v55
	v_and_b32_e32 v13, 3, v20
	v_and_b32_e32 v6, 0x80000000, v6
	v_cndmask_b32_e32 v2, v2, v13, vcc
	v_lshl_add_u32 v1, v1, 23, v6
	v_lshl_or_b32 v1, v2, 21, v1
	v_add_u32_e32 v1, 0x38000000, v1
                                        ; implicit-def: $vgpr2
                                        ; implicit-def: $vgpr55
.LBB6_8717:                             ;   in Loop: Header=BB6_5473 Depth=4
	s_andn2_saveexec_b64 s[36:37], s[28:29]
; %bb.8718:                             ;   in Loop: Header=BB6_5473 Depth=4
	v_and_b32_e32 v1, 0x80, v55
	v_cmp_eq_u32_e32 vcc, 0, v2
	v_cmp_eq_u32_e64 s[28:29], 0, v1
	v_mov_b32_e32 v1, 0xff800000
	v_mov_b32_e32 v2, 0x7f800000
	v_cndmask_b32_e64 v1, v1, v2, s[28:29]
	v_mov_b32_e32 v2, 0x7f800001
	v_cndmask_b32_e32 v1, v2, v1, vcc
; %bb.8719:                             ;   in Loop: Header=BB6_5473 Depth=4
	s_or_b64 exec, exec, s[36:37]
.LBB6_8720:                             ;   in Loop: Header=BB6_5473 Depth=4
	s_or_b64 exec, exec, s[34:35]
.LBB6_8721:                             ;   in Loop: Header=BB6_5473 Depth=4
	s_or_b64 exec, exec, s[30:31]
	v_cmp_ne_u16_sdwa s[62:63], v14, v33 src0_sel:BYTE_0 src1_sel:DWORD
	s_and_saveexec_b64 s[28:29], s[62:63]
	s_cbranch_execz .LBB6_8729
; %bb.8722:                             ;   in Loop: Header=BB6_5473 Depth=4
	v_cmp_ne_u16_sdwa s[62:63], sext(v14), s46 src0_sel:BYTE_0 src1_sel:DWORD
	v_bfrev_b32_e32 v0, 1
	s_and_saveexec_b64 s[30:31], s[62:63]
	s_cbranch_execz .LBB6_8728
; %bb.8723:                             ;   in Loop: Header=BB6_5473 Depth=4
	v_and_b32_e32 v0, 0x7c, v14
	v_and_b32_e32 v2, 3, v14
	v_cmp_ne_u32_e32 vcc, s86, v0
                                        ; implicit-def: $vgpr0
	s_and_saveexec_b64 s[62:63], vcc
	s_xor_b64 s[34:35], exec, s[62:63]
	s_cbranch_execz .LBB6_8725
; %bb.8724:                             ;   in Loop: Header=BB6_5473 Depth=4
	v_ffbh_u32_e32 v6, v2
	v_min_u32_e32 v6, 32, v6
	v_bfe_u32 v0, v14, 2, 5
	v_subrev_u32_e32 v13, 29, v6
	v_lshlrev_b64 v[20:21], v13, v[14:15]
	v_sub_u32_e32 v6, 30, v6
	v_cmp_eq_u32_e32 vcc, 0, v0
	v_cndmask_b32_e32 v0, v0, v6, vcc
	v_lshlrev_b32_e32 v6, 24, v14
	v_and_b32_e32 v13, 3, v20
	v_and_b32_e32 v6, 0x80000000, v6
	v_cndmask_b32_e32 v2, v2, v13, vcc
	v_lshl_add_u32 v0, v0, 23, v6
	v_lshl_or_b32 v0, v2, 21, v0
	v_add_u32_e32 v0, 0x38000000, v0
                                        ; implicit-def: $vgpr2
.LBB6_8725:                             ;   in Loop: Header=BB6_5473 Depth=4
	s_andn2_saveexec_b64 s[34:35], s[34:35]
; %bb.8726:                             ;   in Loop: Header=BB6_5473 Depth=4
	v_mov_b32_e32 v0, -1
	v_cmp_gt_i16_sdwa vcc, sext(v14), v0 src0_sel:BYTE_0 src1_sel:DWORD
	v_mov_b32_e32 v0, 0xff800000
	v_mov_b32_e32 v6, 0x7f800000
	v_cndmask_b32_e32 v0, v0, v6, vcc
	v_cmp_eq_u32_e32 vcc, 0, v2
	v_mov_b32_e32 v2, 0x7f800001
	v_cndmask_b32_e32 v0, v2, v0, vcc
; %bb.8727:                             ;   in Loop: Header=BB6_5473 Depth=4
	s_or_b64 exec, exec, s[34:35]
.LBB6_8728:                             ;   in Loop: Header=BB6_5473 Depth=4
	s_or_b64 exec, exec, s[30:31]
.LBB6_8729:                             ;   in Loop: Header=BB6_5473 Depth=4
	s_or_b64 exec, exec, s[28:29]
	v_add_f32_e32 v2, v1, v0
	v_and_b32_e32 v20, 0x7f800000, v2
	v_mov_b32_e32 v21, v33
	v_cmp_ne_u64_e32 vcc, s[76:77], v[20:21]
	v_and_b32_e32 v0, 0x7fffff, v2
	v_mov_b32_e32 v1, v33
                                        ; implicit-def: $vgpr13
	s_and_saveexec_b64 s[28:29], vcc
	s_xor_b64 s[30:31], exec, s[28:29]
	s_cbranch_execz .LBB6_8743
; %bb.8730:                             ;   in Loop: Header=BB6_5473 Depth=4
	v_and_b32_e32 v20, 0x7fffffff, v2
	v_mov_b32_e32 v21, v33
	v_cmp_gt_u64_e32 vcc, s[78:79], v[20:21]
	v_and_b32_sdwa v20, v2, s97 dst_sel:DWORD dst_unused:UNUSED_PAD src0_sel:BYTE_3 src1_sel:DWORD
                                        ; implicit-def: $vgpr13
	s_and_saveexec_b64 s[28:29], vcc
	s_xor_b64 s[34:35], exec, s[28:29]
	s_cbranch_execz .LBB6_8740
; %bb.8731:                             ;   in Loop: Header=BB6_5473 Depth=4
	v_mov_b32_e32 v13, 0
	v_cmp_ne_u32_e32 vcc, 0, v2
	s_and_saveexec_b64 s[36:37], vcc
	s_cbranch_execz .LBB6_8739
; %bb.8732:                             ;   in Loop: Header=BB6_5473 Depth=4
	v_bfe_u32 v13, v2, 23, 8
	v_cmp_gt_u32_e64 s[28:29], s47, v13
	v_sub_u32_e32 v2, 0x71, v13
	v_cmp_eq_u32_e32 vcc, 0, v13
	v_cndmask_b32_e64 v2, 0, v2, s[28:29]
	v_mov_b32_e32 v21, 0x70
	v_cndmask_b32_e32 v21, v2, v21, vcc
	v_add_u32_e32 v2, 21, v21
	v_or_b32_e32 v6, 0x800000, v0
	v_lshlrev_b64 v[55:56], v2, -1
	v_cndmask_b32_e32 v0, v6, v0, vcc
	v_add_u32_e32 v2, 20, v21
	v_bfi_b32 v55, v55, 0, v0
	v_lshlrev_b64 v[57:58], v2, 1
	v_lshrrev_b64 v[0:1], v21, v[0:1]
	v_bfi_b32 v56, v56, 0, 0
	v_cmp_eq_u64_e64 s[28:29], v[55:56], v[57:58]
	v_mov_b32_e32 v2, v1
	v_mov_b32_e32 v1, v0
	s_and_saveexec_b64 s[38:39], s[28:29]
; %bb.8733:                             ;   in Loop: Header=BB6_5473 Depth=4
	v_bfe_u32 v1, v0, 21, 1
	v_add_co_u32_e64 v1, s[28:29], v0, v1
	v_add_co_u32_e64 v1, s[28:29], -1, v1
; %bb.8734:                             ;   in Loop: Header=BB6_5473 Depth=4
	s_or_b64 exec, exec, s[38:39]
	v_add_u32_e32 v2, 0xffffff81, v13
	v_mov_b32_e32 v6, 0xffffff82
	v_cndmask_b32_e32 v2, v2, v6, vcc
	v_lshrrev_b32_e32 v6, 23, v0
	v_add3_u32 v13, v21, v2, v6
	v_add_u32_e32 v6, 14, v13
	v_and_b32_e32 v1, 0x1fffff, v1
	v_add_u32_e32 v0, v1, v0
	v_mov_b32_e32 v1, v33
	v_cmp_ne_u32_e32 vcc, 0, v6
                                        ; implicit-def: $vgpr2
	s_and_saveexec_b64 s[28:29], vcc
	s_xor_b64 s[28:29], exec, s[28:29]
; %bb.8735:                             ;   in Loop: Header=BB6_5473 Depth=4
	v_cmp_lt_u64_e32 vcc, s[88:89], v[0:1]
	v_add_u32_e32 v2, 15, v13
	v_cndmask_b32_e32 v2, v6, v2, vcc
	v_cndmask_b32_e64 v6, 0, 1, vcc
	v_lshrrev_b64 v[0:1], v6, v[0:1]
; %bb.8736:                             ;   in Loop: Header=BB6_5473 Depth=4
	s_andn2_saveexec_b64 s[28:29], s[28:29]
; %bb.8737:                             ;   in Loop: Header=BB6_5473 Depth=4
	v_bfe_u32 v2, v0, 23, 1
; %bb.8738:                             ;   in Loop: Header=BB6_5473 Depth=4
	s_or_b64 exec, exec, s[28:29]
	v_lshrrev_b64 v[0:1], 21, v[0:1]
	v_cmp_gt_i32_e32 vcc, 32, v2
	v_cndmask_b32_e32 v1, 0, v1, vcc
	v_cndmask_b32_e32 v0, 3, v0, vcc
	v_cmp_eq_u64_e64 s[28:29], 0, v[0:1]
	v_min_i32_e32 v1, 31, v2
	v_lshlrev_b32_e32 v1, 2, v1
	v_cmp_eq_u32_e32 vcc, 0, v2
	v_and_b32_e32 v1, 0xfc, v1
	v_and_or_b32 v0, v0, 3, v1
	s_and_b64 s[28:29], vcc, s[28:29]
	v_cndmask_b32_e64 v0, v0, 0, s[28:29]
	v_or_b32_e32 v13, v0, v20
.LBB6_8739:                             ;   in Loop: Header=BB6_5473 Depth=4
	s_or_b64 exec, exec, s[36:37]
                                        ; implicit-def: $vgpr20
.LBB6_8740:                             ;   in Loop: Header=BB6_5473 Depth=4
	s_andn2_saveexec_b64 s[28:29], s[34:35]
; %bb.8741:                             ;   in Loop: Header=BB6_5473 Depth=4
	v_or_b32_e32 v13, 0x7b, v20
; %bb.8742:                             ;   in Loop: Header=BB6_5473 Depth=4
	s_or_b64 exec, exec, s[28:29]
                                        ; implicit-def: $vgpr2
                                        ; implicit-def: $vgpr0_vgpr1
.LBB6_8743:                             ;   in Loop: Header=BB6_5473 Depth=4
	s_andn2_saveexec_b64 s[28:29], s[30:31]
	s_cbranch_execz .LBB6_8749
; %bb.8744:                             ;   in Loop: Header=BB6_5473 Depth=4
	v_cmp_ne_u64_e32 vcc, 0, v[0:1]
                                        ; implicit-def: $vgpr13
	s_and_saveexec_b64 s[62:63], vcc
	s_xor_b64 vcc, exec, s[62:63]
; %bb.8745:                             ;   in Loop: Header=BB6_5473 Depth=4
	v_or_b32_sdwa v13, v2, s44 dst_sel:DWORD dst_unused:UNUSED_PAD src0_sel:BYTE_3 src1_sel:DWORD
                                        ; implicit-def: $vgpr2
; %bb.8746:                             ;   in Loop: Header=BB6_5473 Depth=4
	s_andn2_saveexec_b64 s[30:31], vcc
; %bb.8747:                             ;   in Loop: Header=BB6_5473 Depth=4
	v_cmp_lt_i32_e32 vcc, -1, v2
	v_bfrev_b32_e32 v0, 0.5
	v_mov_b32_e32 v1, 0x7c
	v_cndmask_b32_e32 v13, v0, v1, vcc
; %bb.8748:                             ;   in Loop: Header=BB6_5473 Depth=4
	s_or_b64 exec, exec, s[30:31]
.LBB6_8749:                             ;   in Loop: Header=BB6_5473 Depth=4
	s_or_b64 exec, exec, s[28:29]
	v_lshrrev_b16_e32 v0, 8, v4
	v_cmp_ne_u16_e32 vcc, 0, v0
	v_mov_b32_e32 v2, 0
	v_mov_b32_e32 v20, 0
	s_and_saveexec_b64 s[28:29], vcc
	s_cbranch_execz .LBB6_8757
; %bb.8750:                             ;   in Loop: Header=BB6_5473 Depth=4
	v_cmp_ne_u16_e32 vcc, s97, v0
	v_bfrev_b32_e32 v20, 1
	s_and_saveexec_b64 s[30:31], vcc
	s_cbranch_execz .LBB6_8756
; %bb.8751:                             ;   in Loop: Header=BB6_5473 Depth=4
	v_and_b32_e32 v1, 0x7c, v0
	v_and_b32_e32 v6, 3, v0
	v_cmp_ne_u32_e32 vcc, s86, v1
                                        ; implicit-def: $vgpr20
	s_and_saveexec_b64 s[62:63], vcc
	s_xor_b64 s[34:35], exec, s[62:63]
	s_cbranch_execz .LBB6_8753
; %bb.8752:                             ;   in Loop: Header=BB6_5473 Depth=4
	v_ffbh_u32_e32 v21, v6
	v_min_u32_e32 v21, 32, v21
	v_mov_b32_e32 v1, v33
	v_subrev_u32_e32 v22, 29, v21
	v_bfe_u32 v20, v0, 2, 5
	v_lshlrev_b64 v[0:1], v22, v[0:1]
	v_sub_u32_e32 v1, 30, v21
	v_cmp_eq_u32_e32 vcc, 0, v20
	v_lshlrev_b32_e32 v4, 16, v4
	v_and_b32_e32 v0, 3, v0
	v_cndmask_b32_e32 v1, v20, v1, vcc
	v_and_b32_e32 v4, 0x80000000, v4
	v_cndmask_b32_e32 v0, v6, v0, vcc
	v_lshl_add_u32 v1, v1, 23, v4
	v_lshl_or_b32 v0, v0, 21, v1
	v_add_u32_e32 v20, 0x38000000, v0
                                        ; implicit-def: $vgpr6
                                        ; implicit-def: $vgpr4
.LBB6_8753:                             ;   in Loop: Header=BB6_5473 Depth=4
	s_andn2_saveexec_b64 s[34:35], s[34:35]
; %bb.8754:                             ;   in Loop: Header=BB6_5473 Depth=4
	v_cmp_lt_i16_e32 vcc, -1, v4
	v_mov_b32_e32 v0, 0xff800000
	v_mov_b32_e32 v1, 0x7f800000
	v_cndmask_b32_e32 v0, v0, v1, vcc
	v_cmp_eq_u32_e32 vcc, 0, v6
	v_mov_b32_e32 v1, 0x7f800001
	v_cndmask_b32_e32 v20, v1, v0, vcc
; %bb.8755:                             ;   in Loop: Header=BB6_5473 Depth=4
	s_or_b64 exec, exec, s[34:35]
.LBB6_8756:                             ;   in Loop: Header=BB6_5473 Depth=4
	s_or_b64 exec, exec, s[30:31]
.LBB6_8757:                             ;   in Loop: Header=BB6_5473 Depth=4
	s_or_b64 exec, exec, s[28:29]
	v_lshrrev_b16_e32 v0, 8, v14
	v_cmp_ne_u16_e32 vcc, 0, v0
	s_and_saveexec_b64 s[28:29], vcc
	s_cbranch_execz .LBB6_8765
; %bb.8758:                             ;   in Loop: Header=BB6_5473 Depth=4
	v_cmp_ne_u16_e32 vcc, s97, v0
	v_bfrev_b32_e32 v2, 1
	s_and_saveexec_b64 s[30:31], vcc
	s_cbranch_execz .LBB6_8764
; %bb.8759:                             ;   in Loop: Header=BB6_5473 Depth=4
	v_and_b32_e32 v1, 0x7c, v0
	v_and_b32_e32 v4, 3, v0
	v_cmp_ne_u32_e32 vcc, s86, v1
                                        ; implicit-def: $vgpr2
	s_and_saveexec_b64 s[62:63], vcc
	s_xor_b64 s[34:35], exec, s[62:63]
	s_cbranch_execz .LBB6_8761
; %bb.8760:                             ;   in Loop: Header=BB6_5473 Depth=4
	v_ffbh_u32_e32 v6, v4
	v_min_u32_e32 v6, 32, v6
	v_mov_b32_e32 v1, v33
	v_subrev_u32_e32 v21, 29, v6
	v_bfe_u32 v2, v0, 2, 5
	v_lshlrev_b64 v[0:1], v21, v[0:1]
	v_sub_u32_e32 v1, 30, v6
	v_cmp_eq_u32_e32 vcc, 0, v2
	v_cndmask_b32_e32 v1, v2, v1, vcc
	v_lshlrev_b32_e32 v2, 16, v14
	v_and_b32_e32 v0, 3, v0
	v_and_b32_e32 v2, 0x80000000, v2
	v_cndmask_b32_e32 v0, v4, v0, vcc
	v_lshl_add_u32 v1, v1, 23, v2
	v_lshl_or_b32 v0, v0, 21, v1
	v_add_u32_e32 v2, 0x38000000, v0
                                        ; implicit-def: $vgpr4
.LBB6_8761:                             ;   in Loop: Header=BB6_5473 Depth=4
	s_andn2_saveexec_b64 s[34:35], s[34:35]
; %bb.8762:                             ;   in Loop: Header=BB6_5473 Depth=4
	v_cmp_lt_i16_e32 vcc, -1, v14
	v_mov_b32_e32 v0, 0xff800000
	v_mov_b32_e32 v1, 0x7f800000
	v_cndmask_b32_e32 v0, v0, v1, vcc
	v_cmp_eq_u32_e32 vcc, 0, v4
	v_mov_b32_e32 v1, 0x7f800001
	v_cndmask_b32_e32 v2, v1, v0, vcc
; %bb.8763:                             ;   in Loop: Header=BB6_5473 Depth=4
	s_or_b64 exec, exec, s[34:35]
.LBB6_8764:                             ;   in Loop: Header=BB6_5473 Depth=4
	s_or_b64 exec, exec, s[30:31]
.LBB6_8765:                             ;   in Loop: Header=BB6_5473 Depth=4
	s_or_b64 exec, exec, s[28:29]
	v_add_f32_e32 v2, v20, v2
	v_and_b32_e32 v20, 0x7f800000, v2
	v_mov_b32_e32 v21, v33
	v_cmp_ne_u64_e32 vcc, s[76:77], v[20:21]
	v_and_b32_e32 v0, 0x7fffff, v2
	v_mov_b32_e32 v1, v33
                                        ; implicit-def: $vgpr55
	s_and_saveexec_b64 s[28:29], vcc
	s_xor_b64 s[30:31], exec, s[28:29]
	s_cbranch_execz .LBB6_8779
; %bb.8766:                             ;   in Loop: Header=BB6_5473 Depth=4
	v_and_b32_e32 v20, 0x7fffffff, v2
	v_mov_b32_e32 v21, v33
	v_cmp_gt_u64_e32 vcc, s[78:79], v[20:21]
	v_and_b32_sdwa v4, v2, s97 dst_sel:DWORD dst_unused:UNUSED_PAD src0_sel:BYTE_3 src1_sel:DWORD
                                        ; implicit-def: $vgpr55
	s_and_saveexec_b64 s[28:29], vcc
	s_xor_b64 s[34:35], exec, s[28:29]
	s_cbranch_execz .LBB6_8776
; %bb.8767:                             ;   in Loop: Header=BB6_5473 Depth=4
	v_mov_b32_e32 v55, 0
	v_cmp_ne_u32_e32 vcc, 0, v2
	s_and_saveexec_b64 s[36:37], vcc
	s_cbranch_execz .LBB6_8775
; %bb.8768:                             ;   in Loop: Header=BB6_5473 Depth=4
	v_bfe_u32 v20, v2, 23, 8
	v_cmp_gt_u32_e64 s[28:29], s47, v20
	v_sub_u32_e32 v2, 0x71, v20
	v_cmp_eq_u32_e32 vcc, 0, v20
	v_cndmask_b32_e64 v2, 0, v2, s[28:29]
	v_mov_b32_e32 v21, 0x70
	v_cndmask_b32_e32 v21, v2, v21, vcc
	v_add_u32_e32 v2, 21, v21
	v_or_b32_e32 v6, 0x800000, v0
	v_lshlrev_b64 v[55:56], v2, -1
	v_cndmask_b32_e32 v0, v6, v0, vcc
	v_add_u32_e32 v2, 20, v21
	v_bfi_b32 v55, v55, 0, v0
	v_lshlrev_b64 v[57:58], v2, 1
	v_lshrrev_b64 v[0:1], v21, v[0:1]
	v_bfi_b32 v56, v56, 0, 0
	v_cmp_eq_u64_e64 s[28:29], v[55:56], v[57:58]
	v_mov_b32_e32 v2, v1
	v_mov_b32_e32 v1, v0
	s_and_saveexec_b64 s[38:39], s[28:29]
; %bb.8769:                             ;   in Loop: Header=BB6_5473 Depth=4
	v_bfe_u32 v1, v0, 21, 1
	v_add_co_u32_e64 v1, s[28:29], v0, v1
	v_add_co_u32_e64 v1, s[28:29], -1, v1
; %bb.8770:                             ;   in Loop: Header=BB6_5473 Depth=4
	s_or_b64 exec, exec, s[38:39]
	v_add_u32_e32 v2, 0xffffff81, v20
	v_mov_b32_e32 v6, 0xffffff82
	v_cndmask_b32_e32 v2, v2, v6, vcc
	v_lshrrev_b32_e32 v6, 23, v0
	v_add3_u32 v20, v21, v2, v6
	v_add_u32_e32 v6, 14, v20
	v_and_b32_e32 v1, 0x1fffff, v1
	v_add_u32_e32 v0, v1, v0
	v_mov_b32_e32 v1, v33
	v_cmp_ne_u32_e32 vcc, 0, v6
                                        ; implicit-def: $vgpr2
	s_and_saveexec_b64 s[28:29], vcc
	s_xor_b64 s[28:29], exec, s[28:29]
; %bb.8771:                             ;   in Loop: Header=BB6_5473 Depth=4
	v_cmp_lt_u64_e32 vcc, s[88:89], v[0:1]
	v_add_u32_e32 v2, 15, v20
	v_cndmask_b32_e32 v2, v6, v2, vcc
	v_cndmask_b32_e64 v6, 0, 1, vcc
	v_lshrrev_b64 v[0:1], v6, v[0:1]
; %bb.8772:                             ;   in Loop: Header=BB6_5473 Depth=4
	s_andn2_saveexec_b64 s[28:29], s[28:29]
; %bb.8773:                             ;   in Loop: Header=BB6_5473 Depth=4
	v_bfe_u32 v2, v0, 23, 1
; %bb.8774:                             ;   in Loop: Header=BB6_5473 Depth=4
	s_or_b64 exec, exec, s[28:29]
	v_lshrrev_b64 v[0:1], 21, v[0:1]
	v_cmp_gt_i32_e32 vcc, 32, v2
	v_cndmask_b32_e32 v1, 0, v1, vcc
	v_cndmask_b32_e32 v0, 3, v0, vcc
	v_cmp_eq_u64_e64 s[28:29], 0, v[0:1]
	v_min_i32_e32 v1, 31, v2
	v_lshlrev_b32_e32 v1, 2, v1
	v_cmp_eq_u32_e32 vcc, 0, v2
	v_and_b32_e32 v1, 0xfc, v1
	v_and_or_b32 v0, v0, 3, v1
	s_and_b64 s[28:29], vcc, s[28:29]
	v_cndmask_b32_e64 v0, v0, 0, s[28:29]
	v_or_b32_e32 v55, v0, v4
.LBB6_8775:                             ;   in Loop: Header=BB6_5473 Depth=4
	s_or_b64 exec, exec, s[36:37]
                                        ; implicit-def: $vgpr4
.LBB6_8776:                             ;   in Loop: Header=BB6_5473 Depth=4
	s_andn2_saveexec_b64 s[28:29], s[34:35]
; %bb.8777:                             ;   in Loop: Header=BB6_5473 Depth=4
	v_or_b32_e32 v55, 0x7b, v4
; %bb.8778:                             ;   in Loop: Header=BB6_5473 Depth=4
	s_or_b64 exec, exec, s[28:29]
                                        ; implicit-def: $vgpr2
                                        ; implicit-def: $vgpr0_vgpr1
.LBB6_8779:                             ;   in Loop: Header=BB6_5473 Depth=4
	s_andn2_saveexec_b64 s[28:29], s[30:31]
	s_cbranch_execz .LBB6_8785
; %bb.8780:                             ;   in Loop: Header=BB6_5473 Depth=4
	v_cmp_ne_u64_e32 vcc, 0, v[0:1]
                                        ; implicit-def: $vgpr55
	s_and_saveexec_b64 s[62:63], vcc
	s_xor_b64 vcc, exec, s[62:63]
; %bb.8781:                             ;   in Loop: Header=BB6_5473 Depth=4
	v_or_b32_sdwa v55, v2, s44 dst_sel:DWORD dst_unused:UNUSED_PAD src0_sel:BYTE_3 src1_sel:DWORD
                                        ; implicit-def: $vgpr2
; %bb.8782:                             ;   in Loop: Header=BB6_5473 Depth=4
	s_andn2_saveexec_b64 s[30:31], vcc
; %bb.8783:                             ;   in Loop: Header=BB6_5473 Depth=4
	v_cmp_lt_i32_e32 vcc, -1, v2
	v_bfrev_b32_e32 v0, 0.5
	v_mov_b32_e32 v1, 0x7c
	v_cndmask_b32_e32 v55, v0, v1, vcc
; %bb.8784:                             ;   in Loop: Header=BB6_5473 Depth=4
	s_or_b64 exec, exec, s[30:31]
.LBB6_8785:                             ;   in Loop: Header=BB6_5473 Depth=4
	s_or_b64 exec, exec, s[28:29]
	v_and_b32_sdwa v4, v32, s96 dst_sel:DWORD dst_unused:UNUSED_PAD src0_sel:WORD_1 src1_sel:DWORD
	v_lshrrev_b32_e32 v0, 16, v32
	v_cmp_ne_u16_e32 vcc, 0, v4
	v_mov_b32_e32 v1, 0
	v_mov_b32_e32 v2, 0
	s_and_saveexec_b64 s[28:29], vcc
	s_cbranch_execz .LBB6_8793
; %bb.8786:                             ;   in Loop: Header=BB6_5473 Depth=4
	v_cmp_ne_u16_e32 vcc, s97, v4
	v_bfrev_b32_e32 v2, 1
	s_and_saveexec_b64 s[30:31], vcc
	s_cbranch_execz .LBB6_8792
; %bb.8787:                             ;   in Loop: Header=BB6_5473 Depth=4
	v_and_b32_e32 v2, 0x7c0000, v32
	v_bfe_u32 v4, v32, 16, 2
	v_cmp_ne_u32_e32 vcc, s45, v2
                                        ; implicit-def: $vgpr2
	s_and_saveexec_b64 s[62:63], vcc
	s_xor_b64 s[34:35], exec, s[62:63]
	s_cbranch_execz .LBB6_8789
; %bb.8788:                             ;   in Loop: Header=BB6_5473 Depth=4
	v_ffbh_u32_e32 v6, v4
	v_min_u32_e32 v6, 32, v6
	v_subrev_u32_e32 v20, 29, v6
	v_lshlrev_b64 v[20:21], v20, v[0:1]
	v_bfe_u32 v2, v32, 18, 5
	v_sub_u32_e32 v0, 30, v6
	v_and_b32_e32 v6, 3, v20
	v_cmp_eq_u32_e32 vcc, 0, v2
	v_cndmask_b32_e32 v0, v2, v0, vcc
	v_cndmask_b32_e32 v2, v4, v6, vcc
	v_lshlrev_b32_e32 v4, 8, v32
	v_and_b32_e32 v4, 0x80000000, v4
	v_lshl_add_u32 v0, v0, 23, v4
	v_lshl_or_b32 v0, v2, 21, v0
	v_add_u32_e32 v2, 0x38000000, v0
                                        ; implicit-def: $vgpr4
                                        ; implicit-def: $vgpr0
.LBB6_8789:                             ;   in Loop: Header=BB6_5473 Depth=4
	s_andn2_saveexec_b64 s[34:35], s[34:35]
; %bb.8790:                             ;   in Loop: Header=BB6_5473 Depth=4
	v_mov_b32_e32 v2, -1
	v_cmp_gt_i16_sdwa vcc, sext(v0), v2 src0_sel:BYTE_0 src1_sel:DWORD
	v_mov_b32_e32 v0, 0xff800000
	v_mov_b32_e32 v2, 0x7f800000
	v_cndmask_b32_e32 v0, v0, v2, vcc
	v_cmp_eq_u32_e32 vcc, 0, v4
	v_mov_b32_e32 v2, 0x7f800001
	v_cndmask_b32_e32 v2, v2, v0, vcc
; %bb.8791:                             ;   in Loop: Header=BB6_5473 Depth=4
	s_or_b64 exec, exec, s[34:35]
.LBB6_8792:                             ;   in Loop: Header=BB6_5473 Depth=4
	s_or_b64 exec, exec, s[30:31]
.LBB6_8793:                             ;   in Loop: Header=BB6_5473 Depth=4
	s_or_b64 exec, exec, s[28:29]
	v_lshrrev_b32_e32 v0, 16, v14
	v_cmp_ne_u16_sdwa s[62:63], v0, v33 src0_sel:BYTE_0 src1_sel:DWORD
	s_and_saveexec_b64 s[28:29], s[62:63]
	s_cbranch_execz .LBB6_8801
; %bb.8794:                             ;   in Loop: Header=BB6_5473 Depth=4
	v_cmp_ne_u16_sdwa s[62:63], v0, s97 src0_sel:BYTE_0 src1_sel:DWORD
	v_bfrev_b32_e32 v1, 1
	s_and_saveexec_b64 s[30:31], s[62:63]
	s_cbranch_execz .LBB6_8800
; %bb.8795:                             ;   in Loop: Header=BB6_5473 Depth=4
	v_and_b32_e32 v1, 0x7c0000, v14
	v_bfe_u32 v4, v14, 16, 2
	v_cmp_ne_u32_e32 vcc, s45, v1
                                        ; implicit-def: $vgpr1
	s_and_saveexec_b64 s[62:63], vcc
	s_xor_b64 s[34:35], exec, s[62:63]
	s_cbranch_execz .LBB6_8797
; %bb.8796:                             ;   in Loop: Header=BB6_5473 Depth=4
	v_ffbh_u32_e32 v1, v4
	v_min_u32_e32 v20, 32, v1
	v_subrev_u32_e32 v1, 29, v20
	v_lshlrev_b64 v[0:1], v1, v[0:1]
	v_bfe_u32 v6, v14, 18, 5
	v_and_b32_e32 v0, 3, v0
	v_cmp_eq_u32_e32 vcc, 0, v6
	v_sub_u32_e32 v1, 30, v20
	v_cndmask_b32_e32 v0, v4, v0, vcc
	v_lshlrev_b32_e32 v4, 8, v14
	v_cndmask_b32_e32 v1, v6, v1, vcc
	v_and_b32_e32 v4, 0x80000000, v4
	v_lshl_add_u32 v1, v1, 23, v4
	v_lshl_or_b32 v0, v0, 21, v1
	v_add_u32_e32 v1, 0x38000000, v0
                                        ; implicit-def: $vgpr4
                                        ; implicit-def: $vgpr0
.LBB6_8797:                             ;   in Loop: Header=BB6_5473 Depth=4
	s_andn2_saveexec_b64 s[34:35], s[34:35]
; %bb.8798:                             ;   in Loop: Header=BB6_5473 Depth=4
	v_mov_b32_e32 v1, -1
	v_cmp_gt_i16_sdwa vcc, sext(v0), v1 src0_sel:BYTE_0 src1_sel:DWORD
	v_mov_b32_e32 v0, 0xff800000
	v_mov_b32_e32 v1, 0x7f800000
	v_cndmask_b32_e32 v0, v0, v1, vcc
	v_cmp_eq_u32_e32 vcc, 0, v4
	v_mov_b32_e32 v1, 0x7f800001
	v_cndmask_b32_e32 v1, v1, v0, vcc
; %bb.8799:                             ;   in Loop: Header=BB6_5473 Depth=4
	s_or_b64 exec, exec, s[34:35]
.LBB6_8800:                             ;   in Loop: Header=BB6_5473 Depth=4
	s_or_b64 exec, exec, s[30:31]
.LBB6_8801:                             ;   in Loop: Header=BB6_5473 Depth=4
	s_or_b64 exec, exec, s[28:29]
	v_add_f32_e32 v2, v2, v1
	v_and_b32_e32 v20, 0x7f800000, v2
	v_mov_b32_e32 v21, v33
	v_cmp_ne_u64_e32 vcc, s[76:77], v[20:21]
	v_and_b32_e32 v0, 0x7fffff, v2
	v_mov_b32_e32 v1, v33
                                        ; implicit-def: $vgpr56
	s_and_saveexec_b64 s[28:29], vcc
	s_xor_b64 s[30:31], exec, s[28:29]
	s_cbranch_execz .LBB6_8815
; %bb.8802:                             ;   in Loop: Header=BB6_5473 Depth=4
	v_and_b32_e32 v20, 0x7fffffff, v2
	v_mov_b32_e32 v21, v33
	v_cmp_gt_u64_e32 vcc, s[78:79], v[20:21]
	v_and_b32_sdwa v4, v2, s97 dst_sel:DWORD dst_unused:UNUSED_PAD src0_sel:BYTE_3 src1_sel:DWORD
                                        ; implicit-def: $vgpr56
	s_and_saveexec_b64 s[28:29], vcc
	s_xor_b64 s[34:35], exec, s[28:29]
	s_cbranch_execz .LBB6_8812
; %bb.8803:                             ;   in Loop: Header=BB6_5473 Depth=4
	v_mov_b32_e32 v56, 0
	v_cmp_ne_u32_e32 vcc, 0, v2
	s_and_saveexec_b64 s[36:37], vcc
	s_cbranch_execz .LBB6_8811
; %bb.8804:                             ;   in Loop: Header=BB6_5473 Depth=4
	v_bfe_u32 v20, v2, 23, 8
	v_cmp_gt_u32_e64 s[28:29], s47, v20
	v_sub_u32_e32 v2, 0x71, v20
	v_cmp_eq_u32_e32 vcc, 0, v20
	v_cndmask_b32_e64 v2, 0, v2, s[28:29]
	v_mov_b32_e32 v21, 0x70
	v_cndmask_b32_e32 v21, v2, v21, vcc
	v_add_u32_e32 v2, 21, v21
	v_or_b32_e32 v6, 0x800000, v0
	v_lshlrev_b64 v[56:57], v2, -1
	v_cndmask_b32_e32 v0, v6, v0, vcc
	v_add_u32_e32 v2, 20, v21
	v_bfi_b32 v56, v56, 0, v0
	v_lshlrev_b64 v[58:59], v2, 1
	v_lshrrev_b64 v[0:1], v21, v[0:1]
	v_bfi_b32 v57, v57, 0, 0
	v_cmp_eq_u64_e64 s[28:29], v[56:57], v[58:59]
	v_mov_b32_e32 v2, v1
	v_mov_b32_e32 v1, v0
	s_and_saveexec_b64 s[38:39], s[28:29]
; %bb.8805:                             ;   in Loop: Header=BB6_5473 Depth=4
	v_bfe_u32 v1, v0, 21, 1
	v_add_co_u32_e64 v1, s[28:29], v0, v1
	v_add_co_u32_e64 v1, s[28:29], -1, v1
; %bb.8806:                             ;   in Loop: Header=BB6_5473 Depth=4
	s_or_b64 exec, exec, s[38:39]
	v_add_u32_e32 v2, 0xffffff81, v20
	v_mov_b32_e32 v6, 0xffffff82
	v_cndmask_b32_e32 v2, v2, v6, vcc
	v_lshrrev_b32_e32 v6, 23, v0
	v_add3_u32 v20, v21, v2, v6
	v_add_u32_e32 v6, 14, v20
	v_and_b32_e32 v1, 0x1fffff, v1
	v_add_u32_e32 v0, v1, v0
	v_mov_b32_e32 v1, v33
	v_cmp_ne_u32_e32 vcc, 0, v6
                                        ; implicit-def: $vgpr2
	s_and_saveexec_b64 s[28:29], vcc
	s_xor_b64 s[28:29], exec, s[28:29]
; %bb.8807:                             ;   in Loop: Header=BB6_5473 Depth=4
	v_cmp_lt_u64_e32 vcc, s[88:89], v[0:1]
	v_add_u32_e32 v2, 15, v20
	v_cndmask_b32_e32 v2, v6, v2, vcc
	v_cndmask_b32_e64 v6, 0, 1, vcc
	v_lshrrev_b64 v[0:1], v6, v[0:1]
; %bb.8808:                             ;   in Loop: Header=BB6_5473 Depth=4
	s_andn2_saveexec_b64 s[28:29], s[28:29]
; %bb.8809:                             ;   in Loop: Header=BB6_5473 Depth=4
	v_bfe_u32 v2, v0, 23, 1
; %bb.8810:                             ;   in Loop: Header=BB6_5473 Depth=4
	s_or_b64 exec, exec, s[28:29]
	v_lshrrev_b64 v[0:1], 21, v[0:1]
	v_cmp_gt_i32_e32 vcc, 32, v2
	v_cndmask_b32_e32 v1, 0, v1, vcc
	v_cndmask_b32_e32 v0, 3, v0, vcc
	v_cmp_eq_u64_e64 s[28:29], 0, v[0:1]
	v_min_i32_e32 v1, 31, v2
	v_lshlrev_b32_e32 v1, 2, v1
	v_cmp_eq_u32_e32 vcc, 0, v2
	v_and_b32_e32 v1, 0xfc, v1
	v_and_or_b32 v0, v0, 3, v1
	s_and_b64 s[28:29], vcc, s[28:29]
	v_cndmask_b32_e64 v0, v0, 0, s[28:29]
	v_or_b32_e32 v56, v0, v4
.LBB6_8811:                             ;   in Loop: Header=BB6_5473 Depth=4
	s_or_b64 exec, exec, s[36:37]
                                        ; implicit-def: $vgpr4
.LBB6_8812:                             ;   in Loop: Header=BB6_5473 Depth=4
	s_andn2_saveexec_b64 s[28:29], s[34:35]
; %bb.8813:                             ;   in Loop: Header=BB6_5473 Depth=4
	v_or_b32_e32 v56, 0x7b, v4
; %bb.8814:                             ;   in Loop: Header=BB6_5473 Depth=4
	s_or_b64 exec, exec, s[28:29]
                                        ; implicit-def: $vgpr2
                                        ; implicit-def: $vgpr0_vgpr1
.LBB6_8815:                             ;   in Loop: Header=BB6_5473 Depth=4
	s_andn2_saveexec_b64 s[28:29], s[30:31]
	s_cbranch_execz .LBB6_8821
; %bb.8816:                             ;   in Loop: Header=BB6_5473 Depth=4
	v_cmp_ne_u64_e32 vcc, 0, v[0:1]
                                        ; implicit-def: $vgpr56
	s_and_saveexec_b64 s[62:63], vcc
	s_xor_b64 vcc, exec, s[62:63]
; %bb.8817:                             ;   in Loop: Header=BB6_5473 Depth=4
	v_or_b32_sdwa v56, v2, s44 dst_sel:DWORD dst_unused:UNUSED_PAD src0_sel:BYTE_3 src1_sel:DWORD
                                        ; implicit-def: $vgpr2
; %bb.8818:                             ;   in Loop: Header=BB6_5473 Depth=4
	s_andn2_saveexec_b64 s[30:31], vcc
; %bb.8819:                             ;   in Loop: Header=BB6_5473 Depth=4
	v_cmp_lt_i32_e32 vcc, -1, v2
	v_bfrev_b32_e32 v0, 0.5
	v_mov_b32_e32 v1, 0x7c
	v_cndmask_b32_e32 v56, v0, v1, vcc
; %bb.8820:                             ;   in Loop: Header=BB6_5473 Depth=4
	s_or_b64 exec, exec, s[30:31]
.LBB6_8821:                             ;   in Loop: Header=BB6_5473 Depth=4
	s_or_b64 exec, exec, s[28:29]
	v_cmp_lt_u32_e32 vcc, s57, v32
	v_mov_b32_e32 v1, 0
	v_mov_b32_e32 v2, 0
	s_and_saveexec_b64 s[28:29], vcc
	s_cbranch_execz .LBB6_8829
; %bb.8822:                             ;   in Loop: Header=BB6_5473 Depth=4
	v_lshrrev_b32_e32 v0, 24, v32
	v_cmp_ne_u32_e32 vcc, s97, v0
	v_bfrev_b32_e32 v2, 1
	s_and_saveexec_b64 s[30:31], vcc
	s_cbranch_execz .LBB6_8828
; %bb.8823:                             ;   in Loop: Header=BB6_5473 Depth=4
	v_and_b32_e32 v2, 0x7c000000, v32
	v_bfe_u32 v4, v32, 24, 2
	v_cmp_ne_u32_e32 vcc, s68, v2
                                        ; implicit-def: $vgpr2
	s_and_saveexec_b64 s[62:63], vcc
	s_xor_b64 s[34:35], exec, s[62:63]
	s_cbranch_execz .LBB6_8825
; %bb.8824:                             ;   in Loop: Header=BB6_5473 Depth=4
	v_ffbh_u32_e32 v6, v4
	v_min_u32_e32 v6, 32, v6
	v_subrev_u32_e32 v20, 29, v6
	v_lshlrev_b64 v[20:21], v20, v[0:1]
	v_bfe_u32 v2, v32, 26, 5
	v_sub_u32_e32 v0, 30, v6
	v_and_b32_e32 v6, 3, v20
	v_cmp_eq_u32_e32 vcc, 0, v2
	v_cndmask_b32_e32 v0, v2, v0, vcc
	v_cndmask_b32_e32 v2, v4, v6, vcc
	v_and_b32_e32 v4, 0x80000000, v32
	v_lshl_add_u32 v0, v0, 23, v4
	v_lshl_or_b32 v0, v2, 21, v0
	v_add_u32_e32 v2, 0x38000000, v0
                                        ; implicit-def: $vgpr4
.LBB6_8825:                             ;   in Loop: Header=BB6_5473 Depth=4
	s_andn2_saveexec_b64 s[34:35], s[34:35]
; %bb.8826:                             ;   in Loop: Header=BB6_5473 Depth=4
	v_cmp_lt_i32_e32 vcc, -1, v32
	v_mov_b32_e32 v0, 0xff800000
	v_mov_b32_e32 v2, 0x7f800000
	v_cndmask_b32_e32 v0, v0, v2, vcc
	v_cmp_eq_u32_e32 vcc, 0, v4
	v_mov_b32_e32 v2, 0x7f800001
	v_cndmask_b32_e32 v2, v2, v0, vcc
; %bb.8827:                             ;   in Loop: Header=BB6_5473 Depth=4
	s_or_b64 exec, exec, s[34:35]
.LBB6_8828:                             ;   in Loop: Header=BB6_5473 Depth=4
	s_or_b64 exec, exec, s[30:31]
.LBB6_8829:                             ;   in Loop: Header=BB6_5473 Depth=4
	s_or_b64 exec, exec, s[28:29]
	v_cmp_lt_u32_e32 vcc, s57, v14
	s_and_saveexec_b64 s[28:29], vcc
	s_cbranch_execz .LBB6_8837
; %bb.8830:                             ;   in Loop: Header=BB6_5473 Depth=4
	v_lshrrev_b32_e32 v0, 24, v14
	v_cmp_ne_u32_e32 vcc, s97, v0
	v_bfrev_b32_e32 v1, 1
	s_and_saveexec_b64 s[30:31], vcc
	s_cbranch_execz .LBB6_8836
; %bb.8831:                             ;   in Loop: Header=BB6_5473 Depth=4
	v_and_b32_e32 v1, 0x7c000000, v14
	v_bfe_u32 v4, v14, 24, 2
	v_cmp_ne_u32_e32 vcc, s68, v1
                                        ; implicit-def: $vgpr1
	s_and_saveexec_b64 s[62:63], vcc
	s_xor_b64 s[34:35], exec, s[62:63]
	s_cbranch_execz .LBB6_8833
; %bb.8832:                             ;   in Loop: Header=BB6_5473 Depth=4
	v_ffbh_u32_e32 v1, v4
	v_min_u32_e32 v20, 32, v1
	v_subrev_u32_e32 v1, 29, v20
	v_lshlrev_b64 v[0:1], v1, v[0:1]
	v_bfe_u32 v6, v14, 26, 5
	v_sub_u32_e32 v1, 30, v20
	v_and_b32_e32 v0, 3, v0
	v_cmp_eq_u32_e32 vcc, 0, v6
	v_cndmask_b32_e32 v1, v6, v1, vcc
	v_cndmask_b32_e32 v0, v4, v0, vcc
	v_and_b32_e32 v4, 0x80000000, v14
	v_lshl_add_u32 v1, v1, 23, v4
	v_lshl_or_b32 v0, v0, 21, v1
	v_add_u32_e32 v1, 0x38000000, v0
                                        ; implicit-def: $vgpr4
.LBB6_8833:                             ;   in Loop: Header=BB6_5473 Depth=4
	s_andn2_saveexec_b64 s[34:35], s[34:35]
; %bb.8834:                             ;   in Loop: Header=BB6_5473 Depth=4
	v_cmp_lt_i32_e32 vcc, -1, v14
	v_mov_b32_e32 v0, 0xff800000
	v_mov_b32_e32 v1, 0x7f800000
	v_cndmask_b32_e32 v0, v0, v1, vcc
	v_cmp_eq_u32_e32 vcc, 0, v4
	v_mov_b32_e32 v1, 0x7f800001
	v_cndmask_b32_e32 v1, v1, v0, vcc
; %bb.8835:                             ;   in Loop: Header=BB6_5473 Depth=4
	s_or_b64 exec, exec, s[34:35]
.LBB6_8836:                             ;   in Loop: Header=BB6_5473 Depth=4
	s_or_b64 exec, exec, s[30:31]
.LBB6_8837:                             ;   in Loop: Header=BB6_5473 Depth=4
	s_or_b64 exec, exec, s[28:29]
	v_add_f32_e32 v0, v2, v1
	v_and_b32_e32 v1, 0x7f800000, v0
	v_mov_b32_e32 v2, v33
	v_cmp_ne_u64_e32 vcc, s[76:77], v[1:2]
	v_and_b32_e32 v32, 0x7fffff, v0
                                        ; implicit-def: $vgpr57
	s_and_saveexec_b64 s[28:29], vcc
	s_xor_b64 s[30:31], exec, s[28:29]
	s_cbranch_execz .LBB6_8851
; %bb.8838:                             ;   in Loop: Header=BB6_5473 Depth=4
	v_and_b32_e32 v1, 0x7fffffff, v0
	v_mov_b32_e32 v2, v33
	v_cmp_gt_u64_e32 vcc, s[78:79], v[1:2]
	v_and_b32_sdwa v4, v0, s97 dst_sel:DWORD dst_unused:UNUSED_PAD src0_sel:BYTE_3 src1_sel:DWORD
                                        ; implicit-def: $vgpr57
	s_and_saveexec_b64 s[28:29], vcc
	s_xor_b64 s[34:35], exec, s[28:29]
	s_cbranch_execz .LBB6_8848
; %bb.8839:                             ;   in Loop: Header=BB6_5473 Depth=4
	v_mov_b32_e32 v57, 0
	v_cmp_ne_u32_e32 vcc, 0, v0
	s_and_saveexec_b64 s[36:37], vcc
	s_cbranch_execz .LBB6_8847
; %bb.8840:                             ;   in Loop: Header=BB6_5473 Depth=4
	v_bfe_u32 v20, v0, 23, 8
	v_cmp_gt_u32_e64 s[28:29], s47, v20
	v_sub_u32_e32 v0, 0x71, v20
	v_cmp_eq_u32_e32 vcc, 0, v20
	v_cndmask_b32_e64 v0, 0, v0, s[28:29]
	v_mov_b32_e32 v2, 0x70
	v_cndmask_b32_e32 v21, v0, v2, vcc
	v_add_u32_e32 v2, 21, v21
	v_or_b32_e32 v1, 0x800000, v32
	v_lshlrev_b64 v[57:58], v2, -1
	v_cndmask_b32_e32 v0, v1, v32, vcc
	v_mov_b32_e32 v1, v33
	v_add_u32_e32 v2, 20, v21
	v_bfi_b32 v57, v57, 0, v0
	v_lshlrev_b64 v[22:23], v2, 1
	v_lshrrev_b64 v[0:1], v21, v[0:1]
	v_bfi_b32 v58, v58, 0, 0
	v_cmp_eq_u64_e64 s[28:29], v[57:58], v[22:23]
	v_mov_b32_e32 v2, v1
	v_mov_b32_e32 v1, v0
	s_and_saveexec_b64 s[38:39], s[28:29]
; %bb.8841:                             ;   in Loop: Header=BB6_5473 Depth=4
	v_bfe_u32 v1, v0, 21, 1
	v_add_co_u32_e64 v1, s[28:29], v0, v1
	v_add_co_u32_e64 v1, s[28:29], -1, v1
; %bb.8842:                             ;   in Loop: Header=BB6_5473 Depth=4
	s_or_b64 exec, exec, s[38:39]
	v_add_u32_e32 v2, 0xffffff81, v20
	v_mov_b32_e32 v6, 0xffffff82
	v_cndmask_b32_e32 v2, v2, v6, vcc
	v_lshrrev_b32_e32 v6, 23, v0
	v_add3_u32 v20, v21, v2, v6
	v_add_u32_e32 v6, 14, v20
	v_and_b32_e32 v1, 0x1fffff, v1
	v_add_u32_e32 v32, v1, v0
	v_cmp_ne_u32_e32 vcc, 0, v6
                                        ; implicit-def: $vgpr0_vgpr1
                                        ; implicit-def: $vgpr2
	s_and_saveexec_b64 s[28:29], vcc
	s_xor_b64 s[28:29], exec, s[28:29]
; %bb.8843:                             ;   in Loop: Header=BB6_5473 Depth=4
	v_cmp_lt_u64_e32 vcc, s[88:89], v[32:33]
	v_add_u32_e32 v0, 15, v20
	v_cndmask_b32_e32 v2, v6, v0, vcc
	v_cndmask_b32_e64 v0, 0, 1, vcc
	v_lshrrev_b64 v[0:1], v0, v[32:33]
; %bb.8844:                             ;   in Loop: Header=BB6_5473 Depth=4
	s_andn2_saveexec_b64 s[28:29], s[28:29]
; %bb.8845:                             ;   in Loop: Header=BB6_5473 Depth=4
	v_mov_b32_e32 v0, v32
	v_mov_b32_e32 v1, v33
	v_bfe_u32 v2, v32, 23, 1
; %bb.8846:                             ;   in Loop: Header=BB6_5473 Depth=4
	s_or_b64 exec, exec, s[28:29]
	v_lshrrev_b64 v[0:1], 21, v[0:1]
	v_cmp_gt_i32_e32 vcc, 32, v2
	v_cndmask_b32_e32 v1, 0, v1, vcc
	v_cndmask_b32_e32 v0, 3, v0, vcc
	v_cmp_eq_u64_e64 s[28:29], 0, v[0:1]
	v_min_i32_e32 v1, 31, v2
	v_lshlrev_b32_e32 v1, 2, v1
	v_cmp_eq_u32_e32 vcc, 0, v2
	v_and_b32_e32 v1, 0xfc, v1
	v_and_or_b32 v0, v0, 3, v1
	s_and_b64 s[28:29], vcc, s[28:29]
	v_cndmask_b32_e64 v0, v0, 0, s[28:29]
	v_or_b32_e32 v57, v0, v4
.LBB6_8847:                             ;   in Loop: Header=BB6_5473 Depth=4
	s_or_b64 exec, exec, s[36:37]
                                        ; implicit-def: $vgpr4
.LBB6_8848:                             ;   in Loop: Header=BB6_5473 Depth=4
	s_andn2_saveexec_b64 s[28:29], s[34:35]
; %bb.8849:                             ;   in Loop: Header=BB6_5473 Depth=4
	v_or_b32_e32 v57, 0x7b, v4
; %bb.8850:                             ;   in Loop: Header=BB6_5473 Depth=4
	s_or_b64 exec, exec, s[28:29]
                                        ; implicit-def: $vgpr0
.LBB6_8851:                             ;   in Loop: Header=BB6_5473 Depth=4
	s_andn2_saveexec_b64 s[28:29], s[30:31]
	s_cbranch_execz .LBB6_8857
; %bb.8852:                             ;   in Loop: Header=BB6_5473 Depth=4
	v_cmp_ne_u64_e32 vcc, 0, v[32:33]
                                        ; implicit-def: $vgpr57
	s_and_saveexec_b64 s[62:63], vcc
	s_xor_b64 vcc, exec, s[62:63]
; %bb.8853:                             ;   in Loop: Header=BB6_5473 Depth=4
	v_or_b32_sdwa v57, v0, s44 dst_sel:DWORD dst_unused:UNUSED_PAD src0_sel:BYTE_3 src1_sel:DWORD
                                        ; implicit-def: $vgpr0
; %bb.8854:                             ;   in Loop: Header=BB6_5473 Depth=4
	s_andn2_saveexec_b64 s[30:31], vcc
; %bb.8855:                             ;   in Loop: Header=BB6_5473 Depth=4
	v_cmp_lt_i32_e32 vcc, -1, v0
	v_bfrev_b32_e32 v0, 0.5
	v_mov_b32_e32 v1, 0x7c
	v_cndmask_b32_e32 v57, v0, v1, vcc
; %bb.8856:                             ;   in Loop: Header=BB6_5473 Depth=4
	s_or_b64 exec, exec, s[30:31]
.LBB6_8857:                             ;   in Loop: Header=BB6_5473 Depth=4
	s_or_b64 exec, exec, s[28:29]
	buffer_load_dword v0, off, s[0:3], s33 offset:268 ; 4-byte Folded Reload
	buffer_load_dword v1, off, s[0:3], s33 offset:236 ; 4-byte Folded Reload
	buffer_load_dword v2, off, s[0:3], s33 offset:212 ; 4-byte Folded Reload
	v_cmp_ne_u32_e32 vcc, 0, v50
	s_waitcnt vmcnt(2)
	v_lshlrev_b32_e32 v0, 24, v0
	s_waitcnt vmcnt(1)
	v_lshlrev_b32_e32 v1, 16, v1
	s_waitcnt vmcnt(0)
	v_lshl_or_b32 v4, v2, 8, v50
	v_or3_b32 v32, v1, v0, v4
	v_mov_b32_e32 v0, 0
	v_mov_b32_e32 v1, 0
	s_and_saveexec_b64 s[30:31], vcc
	s_cbranch_execz .LBB6_8865
; %bb.8858:                             ;   in Loop: Header=BB6_5473 Depth=4
	v_cmp_ne_u32_e32 vcc, s97, v50
	v_bfrev_b32_e32 v1, 1
	s_and_saveexec_b64 s[34:35], vcc
	s_cbranch_execz .LBB6_8864
; %bb.8859:                             ;   in Loop: Header=BB6_5473 Depth=4
	v_and_b32_e32 v1, 0x7c, v50
	v_and_b32_e32 v2, 3, v50
	v_cmp_ne_u32_e32 vcc, s86, v1
                                        ; implicit-def: $vgpr1
	s_and_saveexec_b64 s[28:29], vcc
	s_xor_b64 s[28:29], exec, s[28:29]
	s_cbranch_execz .LBB6_8861
; %bb.8860:                             ;   in Loop: Header=BB6_5473 Depth=4
	v_ffbh_u32_e32 v6, v2
	v_min_u32_e32 v6, 32, v6
	v_bfe_u32 v1, v50, 2, 5
	v_subrev_u32_e32 v20, 29, v6
	v_lshlrev_b64 v[20:21], v20, v[32:33]
	v_sub_u32_e32 v6, 30, v6
	v_cmp_eq_u32_e32 vcc, 0, v1
	v_cndmask_b32_e32 v1, v1, v6, vcc
	v_lshlrev_b32_e32 v6, 24, v50
	v_and_b32_e32 v20, 3, v20
	v_and_b32_e32 v6, 0x80000000, v6
	v_cndmask_b32_e32 v2, v2, v20, vcc
	v_lshl_add_u32 v1, v1, 23, v6
	v_lshl_or_b32 v1, v2, 21, v1
	v_add_u32_e32 v1, 0x38000000, v1
                                        ; implicit-def: $vgpr2
                                        ; implicit-def: $vgpr50
.LBB6_8861:                             ;   in Loop: Header=BB6_5473 Depth=4
	s_andn2_saveexec_b64 s[36:37], s[28:29]
; %bb.8862:                             ;   in Loop: Header=BB6_5473 Depth=4
	v_and_b32_e32 v1, 0x80, v50
	v_cmp_eq_u32_e32 vcc, 0, v2
	v_cmp_eq_u32_e64 s[28:29], 0, v1
	v_mov_b32_e32 v1, 0xff800000
	v_mov_b32_e32 v2, 0x7f800000
	v_cndmask_b32_e64 v1, v1, v2, s[28:29]
	v_mov_b32_e32 v2, 0x7f800001
	v_cndmask_b32_e32 v1, v2, v1, vcc
; %bb.8863:                             ;   in Loop: Header=BB6_5473 Depth=4
	s_or_b64 exec, exec, s[36:37]
.LBB6_8864:                             ;   in Loop: Header=BB6_5473 Depth=4
	s_or_b64 exec, exec, s[34:35]
.LBB6_8865:                             ;   in Loop: Header=BB6_5473 Depth=4
	s_or_b64 exec, exec, s[30:31]
	v_cmp_ne_u16_sdwa s[62:63], v15, v33 src0_sel:BYTE_0 src1_sel:DWORD
	s_and_saveexec_b64 s[28:29], s[62:63]
	s_cbranch_execz .LBB6_8873
; %bb.8866:                             ;   in Loop: Header=BB6_5473 Depth=4
	v_cmp_ne_u16_sdwa s[62:63], v15, s97 src0_sel:BYTE_0 src1_sel:DWORD
	v_bfrev_b32_e32 v0, 1
	s_and_saveexec_b64 s[30:31], s[62:63]
	s_cbranch_execz .LBB6_8872
; %bb.8867:                             ;   in Loop: Header=BB6_5473 Depth=4
	v_and_b32_e32 v0, 0x7c, v15
	v_and_b32_e32 v2, 3, v15
	v_cmp_ne_u32_e32 vcc, s86, v0
                                        ; implicit-def: $vgpr0
	s_and_saveexec_b64 s[62:63], vcc
	s_xor_b64 s[34:35], exec, s[62:63]
	s_cbranch_execz .LBB6_8869
; %bb.8868:                             ;   in Loop: Header=BB6_5473 Depth=4
	v_ffbh_u32_e32 v6, v2
	v_min_u32_e32 v6, 32, v6
	v_mov_b32_e32 v20, v15
	v_mov_b32_e32 v21, v33
	v_bfe_u32 v0, v15, 2, 5
	v_subrev_u32_e32 v22, 29, v6
	v_lshlrev_b64 v[20:21], v22, v[20:21]
	v_sub_u32_e32 v6, 30, v6
	v_cmp_eq_u32_e32 vcc, 0, v0
	v_cndmask_b32_e32 v0, v0, v6, vcc
	v_lshlrev_b32_e32 v6, 24, v15
	v_and_b32_e32 v20, 3, v20
	v_and_b32_e32 v6, 0x80000000, v6
	v_cndmask_b32_e32 v2, v2, v20, vcc
	v_lshl_add_u32 v0, v0, 23, v6
	v_lshl_or_b32 v0, v2, 21, v0
	v_add_u32_e32 v0, 0x38000000, v0
                                        ; implicit-def: $vgpr2
.LBB6_8869:                             ;   in Loop: Header=BB6_5473 Depth=4
	s_andn2_saveexec_b64 s[34:35], s[34:35]
; %bb.8870:                             ;   in Loop: Header=BB6_5473 Depth=4
	v_mov_b32_e32 v0, -1
	v_cmp_gt_i16_sdwa vcc, sext(v15), v0 src0_sel:BYTE_0 src1_sel:DWORD
	v_mov_b32_e32 v0, 0xff800000
	v_mov_b32_e32 v6, 0x7f800000
	v_cndmask_b32_e32 v0, v0, v6, vcc
	v_cmp_eq_u32_e32 vcc, 0, v2
	v_mov_b32_e32 v2, 0x7f800001
	v_cndmask_b32_e32 v0, v2, v0, vcc
; %bb.8871:                             ;   in Loop: Header=BB6_5473 Depth=4
	s_or_b64 exec, exec, s[34:35]
.LBB6_8872:                             ;   in Loop: Header=BB6_5473 Depth=4
	s_or_b64 exec, exec, s[30:31]
.LBB6_8873:                             ;   in Loop: Header=BB6_5473 Depth=4
	s_or_b64 exec, exec, s[28:29]
	v_add_f32_e32 v2, v1, v0
	v_and_b32_e32 v20, 0x7f800000, v2
	v_mov_b32_e32 v21, v33
	v_cmp_ne_u64_e32 vcc, s[76:77], v[20:21]
	v_and_b32_e32 v0, 0x7fffff, v2
	v_mov_b32_e32 v1, v33
                                        ; implicit-def: $vgpr50
	s_and_saveexec_b64 s[28:29], vcc
	s_xor_b64 s[30:31], exec, s[28:29]
	s_cbranch_execz .LBB6_8887
; %bb.8874:                             ;   in Loop: Header=BB6_5473 Depth=4
	v_and_b32_e32 v20, 0x7fffffff, v2
	v_mov_b32_e32 v21, v33
	v_cmp_gt_u64_e32 vcc, s[78:79], v[20:21]
	v_and_b32_sdwa v20, v2, s97 dst_sel:DWORD dst_unused:UNUSED_PAD src0_sel:BYTE_3 src1_sel:DWORD
                                        ; implicit-def: $vgpr50
	s_and_saveexec_b64 s[28:29], vcc
	s_xor_b64 s[34:35], exec, s[28:29]
	s_cbranch_execz .LBB6_8884
; %bb.8875:                             ;   in Loop: Header=BB6_5473 Depth=4
	v_mov_b32_e32 v50, 0
	v_cmp_ne_u32_e32 vcc, 0, v2
	s_and_saveexec_b64 s[36:37], vcc
	s_cbranch_execz .LBB6_8883
; %bb.8876:                             ;   in Loop: Header=BB6_5473 Depth=4
	v_bfe_u32 v21, v2, 23, 8
	v_cmp_gt_u32_e64 s[28:29], s47, v21
	v_sub_u32_e32 v2, 0x71, v21
	v_cmp_eq_u32_e32 vcc, 0, v21
	v_cndmask_b32_e64 v2, 0, v2, s[28:29]
	v_mov_b32_e32 v22, 0x70
	v_cndmask_b32_e32 v22, v2, v22, vcc
	v_add_u32_e32 v2, 21, v22
	v_or_b32_e32 v6, 0x800000, v0
	v_lshlrev_b64 v[23:24], v2, -1
	v_cndmask_b32_e32 v0, v6, v0, vcc
	v_add_u32_e32 v2, 20, v22
	v_bfi_b32 v23, v23, 0, v0
	v_lshlrev_b64 v[58:59], v2, 1
	v_lshrrev_b64 v[0:1], v22, v[0:1]
	v_bfi_b32 v24, v24, 0, 0
	v_cmp_eq_u64_e64 s[28:29], v[23:24], v[58:59]
	v_mov_b32_e32 v2, v1
	v_mov_b32_e32 v1, v0
	s_and_saveexec_b64 s[38:39], s[28:29]
; %bb.8877:                             ;   in Loop: Header=BB6_5473 Depth=4
	v_bfe_u32 v1, v0, 21, 1
	v_add_co_u32_e64 v1, s[28:29], v0, v1
	v_add_co_u32_e64 v1, s[28:29], -1, v1
; %bb.8878:                             ;   in Loop: Header=BB6_5473 Depth=4
	s_or_b64 exec, exec, s[38:39]
	v_add_u32_e32 v2, 0xffffff81, v21
	v_mov_b32_e32 v6, 0xffffff82
	v_cndmask_b32_e32 v2, v2, v6, vcc
	v_lshrrev_b32_e32 v6, 23, v0
	v_add3_u32 v21, v22, v2, v6
	v_add_u32_e32 v6, 14, v21
	v_and_b32_e32 v1, 0x1fffff, v1
	v_add_u32_e32 v0, v1, v0
	v_mov_b32_e32 v1, v33
	v_cmp_ne_u32_e32 vcc, 0, v6
                                        ; implicit-def: $vgpr2
	s_and_saveexec_b64 s[28:29], vcc
	s_xor_b64 s[28:29], exec, s[28:29]
; %bb.8879:                             ;   in Loop: Header=BB6_5473 Depth=4
	v_cmp_lt_u64_e32 vcc, s[88:89], v[0:1]
	v_add_u32_e32 v2, 15, v21
	v_cndmask_b32_e32 v2, v6, v2, vcc
	v_cndmask_b32_e64 v6, 0, 1, vcc
	v_lshrrev_b64 v[0:1], v6, v[0:1]
; %bb.8880:                             ;   in Loop: Header=BB6_5473 Depth=4
	s_andn2_saveexec_b64 s[28:29], s[28:29]
; %bb.8881:                             ;   in Loop: Header=BB6_5473 Depth=4
	v_bfe_u32 v2, v0, 23, 1
; %bb.8882:                             ;   in Loop: Header=BB6_5473 Depth=4
	s_or_b64 exec, exec, s[28:29]
	v_lshrrev_b64 v[0:1], 21, v[0:1]
	v_cmp_gt_i32_e32 vcc, 32, v2
	v_cndmask_b32_e32 v1, 0, v1, vcc
	v_cndmask_b32_e32 v0, 3, v0, vcc
	v_cmp_eq_u64_e64 s[28:29], 0, v[0:1]
	v_min_i32_e32 v1, 31, v2
	v_lshlrev_b32_e32 v1, 2, v1
	v_cmp_eq_u32_e32 vcc, 0, v2
	v_and_b32_e32 v1, 0xfc, v1
	v_and_or_b32 v0, v0, 3, v1
	s_and_b64 s[28:29], vcc, s[28:29]
	v_cndmask_b32_e64 v0, v0, 0, s[28:29]
	v_or_b32_e32 v50, v0, v20
.LBB6_8883:                             ;   in Loop: Header=BB6_5473 Depth=4
	s_or_b64 exec, exec, s[36:37]
                                        ; implicit-def: $vgpr20
.LBB6_8884:                             ;   in Loop: Header=BB6_5473 Depth=4
	s_andn2_saveexec_b64 s[28:29], s[34:35]
; %bb.8885:                             ;   in Loop: Header=BB6_5473 Depth=4
	v_or_b32_e32 v50, 0x7b, v20
; %bb.8886:                             ;   in Loop: Header=BB6_5473 Depth=4
	s_or_b64 exec, exec, s[28:29]
                                        ; implicit-def: $vgpr2
                                        ; implicit-def: $vgpr0_vgpr1
.LBB6_8887:                             ;   in Loop: Header=BB6_5473 Depth=4
	s_andn2_saveexec_b64 s[28:29], s[30:31]
	s_cbranch_execz .LBB6_8893
; %bb.8888:                             ;   in Loop: Header=BB6_5473 Depth=4
	v_cmp_ne_u64_e32 vcc, 0, v[0:1]
                                        ; implicit-def: $vgpr50
	s_and_saveexec_b64 s[62:63], vcc
	s_xor_b64 vcc, exec, s[62:63]
; %bb.8889:                             ;   in Loop: Header=BB6_5473 Depth=4
	v_or_b32_sdwa v50, v2, s44 dst_sel:DWORD dst_unused:UNUSED_PAD src0_sel:BYTE_3 src1_sel:DWORD
                                        ; implicit-def: $vgpr2
; %bb.8890:                             ;   in Loop: Header=BB6_5473 Depth=4
	s_andn2_saveexec_b64 s[30:31], vcc
; %bb.8891:                             ;   in Loop: Header=BB6_5473 Depth=4
	v_cmp_lt_i32_e32 vcc, -1, v2
	v_bfrev_b32_e32 v0, 0.5
	v_mov_b32_e32 v1, 0x7c
	v_cndmask_b32_e32 v50, v0, v1, vcc
; %bb.8892:                             ;   in Loop: Header=BB6_5473 Depth=4
	s_or_b64 exec, exec, s[30:31]
.LBB6_8893:                             ;   in Loop: Header=BB6_5473 Depth=4
	s_or_b64 exec, exec, s[28:29]
	v_lshrrev_b16_e32 v0, 8, v4
	v_cmp_ne_u16_e32 vcc, 0, v0
	v_mov_b32_e32 v2, 0
	v_mov_b32_e32 v20, 0
	s_and_saveexec_b64 s[28:29], vcc
	s_cbranch_execz .LBB6_8901
; %bb.8894:                             ;   in Loop: Header=BB6_5473 Depth=4
	v_cmp_ne_u16_e32 vcc, s97, v0
	v_bfrev_b32_e32 v20, 1
	s_and_saveexec_b64 s[30:31], vcc
	s_cbranch_execz .LBB6_8900
; %bb.8895:                             ;   in Loop: Header=BB6_5473 Depth=4
	v_and_b32_e32 v1, 0x7c, v0
	v_and_b32_e32 v6, 3, v0
	v_cmp_ne_u32_e32 vcc, s86, v1
                                        ; implicit-def: $vgpr20
	s_and_saveexec_b64 s[62:63], vcc
	s_xor_b64 s[34:35], exec, s[62:63]
	s_cbranch_execz .LBB6_8897
; %bb.8896:                             ;   in Loop: Header=BB6_5473 Depth=4
	v_ffbh_u32_e32 v21, v6
	v_min_u32_e32 v21, 32, v21
	v_mov_b32_e32 v1, v33
	v_subrev_u32_e32 v22, 29, v21
	v_bfe_u32 v20, v0, 2, 5
	v_lshlrev_b64 v[0:1], v22, v[0:1]
	v_sub_u32_e32 v1, 30, v21
	v_cmp_eq_u32_e32 vcc, 0, v20
	v_lshlrev_b32_e32 v4, 16, v4
	v_and_b32_e32 v0, 3, v0
	v_cndmask_b32_e32 v1, v20, v1, vcc
	v_and_b32_e32 v4, 0x80000000, v4
	v_cndmask_b32_e32 v0, v6, v0, vcc
	v_lshl_add_u32 v1, v1, 23, v4
	v_lshl_or_b32 v0, v0, 21, v1
	v_add_u32_e32 v20, 0x38000000, v0
                                        ; implicit-def: $vgpr6
                                        ; implicit-def: $vgpr4
.LBB6_8897:                             ;   in Loop: Header=BB6_5473 Depth=4
	s_andn2_saveexec_b64 s[34:35], s[34:35]
; %bb.8898:                             ;   in Loop: Header=BB6_5473 Depth=4
	v_cmp_lt_i16_e32 vcc, -1, v4
	v_mov_b32_e32 v0, 0xff800000
	v_mov_b32_e32 v1, 0x7f800000
	v_cndmask_b32_e32 v0, v0, v1, vcc
	v_cmp_eq_u32_e32 vcc, 0, v6
	v_mov_b32_e32 v1, 0x7f800001
	v_cndmask_b32_e32 v20, v1, v0, vcc
; %bb.8899:                             ;   in Loop: Header=BB6_5473 Depth=4
	s_or_b64 exec, exec, s[34:35]
.LBB6_8900:                             ;   in Loop: Header=BB6_5473 Depth=4
	s_or_b64 exec, exec, s[30:31]
.LBB6_8901:                             ;   in Loop: Header=BB6_5473 Depth=4
	s_or_b64 exec, exec, s[28:29]
	v_lshrrev_b16_e32 v0, 8, v15
	v_cmp_ne_u16_e32 vcc, 0, v0
	s_and_saveexec_b64 s[28:29], vcc
	s_cbranch_execz .LBB6_8909
; %bb.8902:                             ;   in Loop: Header=BB6_5473 Depth=4
	v_cmp_ne_u16_e32 vcc, s97, v0
	v_bfrev_b32_e32 v2, 1
	s_and_saveexec_b64 s[30:31], vcc
	s_cbranch_execz .LBB6_8908
; %bb.8903:                             ;   in Loop: Header=BB6_5473 Depth=4
	v_and_b32_e32 v1, 0x7c, v0
	v_and_b32_e32 v4, 3, v0
	v_cmp_ne_u32_e32 vcc, s86, v1
                                        ; implicit-def: $vgpr2
	s_and_saveexec_b64 s[62:63], vcc
	s_xor_b64 s[34:35], exec, s[62:63]
	s_cbranch_execz .LBB6_8905
; %bb.8904:                             ;   in Loop: Header=BB6_5473 Depth=4
	v_ffbh_u32_e32 v6, v4
	v_min_u32_e32 v6, 32, v6
	v_mov_b32_e32 v1, v33
	v_subrev_u32_e32 v21, 29, v6
	v_bfe_u32 v2, v0, 2, 5
	v_lshlrev_b64 v[0:1], v21, v[0:1]
	v_sub_u32_e32 v1, 30, v6
	v_cmp_eq_u32_e32 vcc, 0, v2
	v_cndmask_b32_e32 v1, v2, v1, vcc
	v_lshlrev_b32_e32 v2, 16, v15
	v_and_b32_e32 v0, 3, v0
	v_and_b32_e32 v2, 0x80000000, v2
	v_cndmask_b32_e32 v0, v4, v0, vcc
	v_lshl_add_u32 v1, v1, 23, v2
	v_lshl_or_b32 v0, v0, 21, v1
	v_add_u32_e32 v2, 0x38000000, v0
                                        ; implicit-def: $vgpr4
.LBB6_8905:                             ;   in Loop: Header=BB6_5473 Depth=4
	s_andn2_saveexec_b64 s[34:35], s[34:35]
; %bb.8906:                             ;   in Loop: Header=BB6_5473 Depth=4
	v_cmp_lt_i16_e32 vcc, -1, v15
	v_mov_b32_e32 v0, 0xff800000
	v_mov_b32_e32 v1, 0x7f800000
	v_cndmask_b32_e32 v0, v0, v1, vcc
	v_cmp_eq_u32_e32 vcc, 0, v4
	v_mov_b32_e32 v1, 0x7f800001
	v_cndmask_b32_e32 v2, v1, v0, vcc
; %bb.8907:                             ;   in Loop: Header=BB6_5473 Depth=4
	s_or_b64 exec, exec, s[34:35]
.LBB6_8908:                             ;   in Loop: Header=BB6_5473 Depth=4
	s_or_b64 exec, exec, s[30:31]
.LBB6_8909:                             ;   in Loop: Header=BB6_5473 Depth=4
	s_or_b64 exec, exec, s[28:29]
	v_add_f32_e32 v2, v20, v2
	v_and_b32_e32 v20, 0x7f800000, v2
	v_mov_b32_e32 v21, v33
	v_cmp_ne_u64_e32 vcc, s[76:77], v[20:21]
	v_and_b32_e32 v0, 0x7fffff, v2
	v_mov_b32_e32 v1, v33
                                        ; implicit-def: $vgpr58
	s_and_saveexec_b64 s[28:29], vcc
	s_xor_b64 s[30:31], exec, s[28:29]
	s_cbranch_execz .LBB6_8923
; %bb.8910:                             ;   in Loop: Header=BB6_5473 Depth=4
	v_and_b32_e32 v20, 0x7fffffff, v2
	v_mov_b32_e32 v21, v33
	v_cmp_gt_u64_e32 vcc, s[78:79], v[20:21]
	v_and_b32_sdwa v4, v2, s97 dst_sel:DWORD dst_unused:UNUSED_PAD src0_sel:BYTE_3 src1_sel:DWORD
                                        ; implicit-def: $vgpr58
	s_and_saveexec_b64 s[28:29], vcc
	s_xor_b64 s[34:35], exec, s[28:29]
	s_cbranch_execz .LBB6_8920
; %bb.8911:                             ;   in Loop: Header=BB6_5473 Depth=4
	v_mov_b32_e32 v58, 0
	v_cmp_ne_u32_e32 vcc, 0, v2
	s_and_saveexec_b64 s[36:37], vcc
	s_cbranch_execz .LBB6_8919
; %bb.8912:                             ;   in Loop: Header=BB6_5473 Depth=4
	v_bfe_u32 v20, v2, 23, 8
	v_cmp_gt_u32_e64 s[28:29], s47, v20
	v_sub_u32_e32 v2, 0x71, v20
	v_cmp_eq_u32_e32 vcc, 0, v20
	v_cndmask_b32_e64 v2, 0, v2, s[28:29]
	v_mov_b32_e32 v21, 0x70
	v_cndmask_b32_e32 v21, v2, v21, vcc
	v_add_u32_e32 v2, 21, v21
	v_or_b32_e32 v6, 0x800000, v0
	v_lshlrev_b64 v[22:23], v2, -1
	v_cndmask_b32_e32 v0, v6, v0, vcc
	v_add_u32_e32 v2, 20, v21
	v_bfi_b32 v22, v22, 0, v0
	v_lshlrev_b64 v[58:59], v2, 1
	v_lshrrev_b64 v[0:1], v21, v[0:1]
	v_bfi_b32 v23, v23, 0, 0
	v_cmp_eq_u64_e64 s[28:29], v[22:23], v[58:59]
	v_mov_b32_e32 v2, v1
	v_mov_b32_e32 v1, v0
	s_and_saveexec_b64 s[38:39], s[28:29]
; %bb.8913:                             ;   in Loop: Header=BB6_5473 Depth=4
	v_bfe_u32 v1, v0, 21, 1
	v_add_co_u32_e64 v1, s[28:29], v0, v1
	v_add_co_u32_e64 v1, s[28:29], -1, v1
; %bb.8914:                             ;   in Loop: Header=BB6_5473 Depth=4
	s_or_b64 exec, exec, s[38:39]
	v_add_u32_e32 v2, 0xffffff81, v20
	v_mov_b32_e32 v6, 0xffffff82
	v_cndmask_b32_e32 v2, v2, v6, vcc
	v_lshrrev_b32_e32 v6, 23, v0
	v_add3_u32 v20, v21, v2, v6
	v_add_u32_e32 v6, 14, v20
	v_and_b32_e32 v1, 0x1fffff, v1
	v_add_u32_e32 v0, v1, v0
	v_mov_b32_e32 v1, v33
	v_cmp_ne_u32_e32 vcc, 0, v6
                                        ; implicit-def: $vgpr2
	s_and_saveexec_b64 s[28:29], vcc
	s_xor_b64 s[28:29], exec, s[28:29]
; %bb.8915:                             ;   in Loop: Header=BB6_5473 Depth=4
	v_cmp_lt_u64_e32 vcc, s[88:89], v[0:1]
	v_add_u32_e32 v2, 15, v20
	v_cndmask_b32_e32 v2, v6, v2, vcc
	v_cndmask_b32_e64 v6, 0, 1, vcc
	v_lshrrev_b64 v[0:1], v6, v[0:1]
; %bb.8916:                             ;   in Loop: Header=BB6_5473 Depth=4
	s_andn2_saveexec_b64 s[28:29], s[28:29]
; %bb.8917:                             ;   in Loop: Header=BB6_5473 Depth=4
	v_bfe_u32 v2, v0, 23, 1
; %bb.8918:                             ;   in Loop: Header=BB6_5473 Depth=4
	s_or_b64 exec, exec, s[28:29]
	v_lshrrev_b64 v[0:1], 21, v[0:1]
	v_cmp_gt_i32_e32 vcc, 32, v2
	v_cndmask_b32_e32 v1, 0, v1, vcc
	v_cndmask_b32_e32 v0, 3, v0, vcc
	v_cmp_eq_u64_e64 s[28:29], 0, v[0:1]
	v_min_i32_e32 v1, 31, v2
	v_lshlrev_b32_e32 v1, 2, v1
	v_cmp_eq_u32_e32 vcc, 0, v2
	v_and_b32_e32 v1, 0xfc, v1
	v_and_or_b32 v0, v0, 3, v1
	s_and_b64 s[28:29], vcc, s[28:29]
	v_cndmask_b32_e64 v0, v0, 0, s[28:29]
	v_or_b32_e32 v58, v0, v4
.LBB6_8919:                             ;   in Loop: Header=BB6_5473 Depth=4
	s_or_b64 exec, exec, s[36:37]
                                        ; implicit-def: $vgpr4
.LBB6_8920:                             ;   in Loop: Header=BB6_5473 Depth=4
	s_andn2_saveexec_b64 s[28:29], s[34:35]
; %bb.8921:                             ;   in Loop: Header=BB6_5473 Depth=4
	v_or_b32_e32 v58, 0x7b, v4
; %bb.8922:                             ;   in Loop: Header=BB6_5473 Depth=4
	s_or_b64 exec, exec, s[28:29]
                                        ; implicit-def: $vgpr2
                                        ; implicit-def: $vgpr0_vgpr1
.LBB6_8923:                             ;   in Loop: Header=BB6_5473 Depth=4
	s_andn2_saveexec_b64 s[28:29], s[30:31]
	s_cbranch_execz .LBB6_8929
; %bb.8924:                             ;   in Loop: Header=BB6_5473 Depth=4
	v_cmp_ne_u64_e32 vcc, 0, v[0:1]
                                        ; implicit-def: $vgpr58
	s_and_saveexec_b64 s[62:63], vcc
	s_xor_b64 vcc, exec, s[62:63]
; %bb.8925:                             ;   in Loop: Header=BB6_5473 Depth=4
	v_or_b32_sdwa v58, v2, s44 dst_sel:DWORD dst_unused:UNUSED_PAD src0_sel:BYTE_3 src1_sel:DWORD
                                        ; implicit-def: $vgpr2
; %bb.8926:                             ;   in Loop: Header=BB6_5473 Depth=4
	s_andn2_saveexec_b64 s[30:31], vcc
; %bb.8927:                             ;   in Loop: Header=BB6_5473 Depth=4
	v_cmp_lt_i32_e32 vcc, -1, v2
	v_bfrev_b32_e32 v0, 0.5
	v_mov_b32_e32 v1, 0x7c
	v_cndmask_b32_e32 v58, v0, v1, vcc
; %bb.8928:                             ;   in Loop: Header=BB6_5473 Depth=4
	s_or_b64 exec, exec, s[30:31]
.LBB6_8929:                             ;   in Loop: Header=BB6_5473 Depth=4
	s_or_b64 exec, exec, s[28:29]
	v_and_b32_sdwa v4, v32, s96 dst_sel:DWORD dst_unused:UNUSED_PAD src0_sel:WORD_1 src1_sel:DWORD
	v_lshrrev_b32_e32 v0, 16, v32
	v_cmp_ne_u16_e32 vcc, 0, v4
	v_mov_b32_e32 v1, 0
	v_mov_b32_e32 v2, 0
	s_and_saveexec_b64 s[28:29], vcc
	s_cbranch_execz .LBB6_8937
; %bb.8930:                             ;   in Loop: Header=BB6_5473 Depth=4
	v_cmp_ne_u16_e32 vcc, s97, v4
	v_bfrev_b32_e32 v2, 1
	s_and_saveexec_b64 s[30:31], vcc
	s_cbranch_execz .LBB6_8936
; %bb.8931:                             ;   in Loop: Header=BB6_5473 Depth=4
	v_and_b32_e32 v2, 0x7c0000, v32
	v_bfe_u32 v4, v32, 16, 2
	v_cmp_ne_u32_e32 vcc, s45, v2
                                        ; implicit-def: $vgpr2
	s_and_saveexec_b64 s[62:63], vcc
	s_xor_b64 s[34:35], exec, s[62:63]
	s_cbranch_execz .LBB6_8933
; %bb.8932:                             ;   in Loop: Header=BB6_5473 Depth=4
	v_ffbh_u32_e32 v6, v4
	v_min_u32_e32 v6, 32, v6
	v_subrev_u32_e32 v20, 29, v6
	v_lshlrev_b64 v[20:21], v20, v[0:1]
	v_bfe_u32 v2, v32, 18, 5
	v_sub_u32_e32 v0, 30, v6
	v_and_b32_e32 v6, 3, v20
	v_cmp_eq_u32_e32 vcc, 0, v2
	v_cndmask_b32_e32 v0, v2, v0, vcc
	v_cndmask_b32_e32 v2, v4, v6, vcc
	v_lshlrev_b32_e32 v4, 8, v32
	v_and_b32_e32 v4, 0x80000000, v4
	v_lshl_add_u32 v0, v0, 23, v4
	v_lshl_or_b32 v0, v2, 21, v0
	v_add_u32_e32 v2, 0x38000000, v0
                                        ; implicit-def: $vgpr4
                                        ; implicit-def: $vgpr0
.LBB6_8933:                             ;   in Loop: Header=BB6_5473 Depth=4
	s_andn2_saveexec_b64 s[34:35], s[34:35]
; %bb.8934:                             ;   in Loop: Header=BB6_5473 Depth=4
	v_mov_b32_e32 v2, -1
	v_cmp_gt_i16_sdwa vcc, sext(v0), v2 src0_sel:BYTE_0 src1_sel:DWORD
	v_mov_b32_e32 v0, 0xff800000
	v_mov_b32_e32 v2, 0x7f800000
	v_cndmask_b32_e32 v0, v0, v2, vcc
	v_cmp_eq_u32_e32 vcc, 0, v4
	v_mov_b32_e32 v2, 0x7f800001
	v_cndmask_b32_e32 v2, v2, v0, vcc
; %bb.8935:                             ;   in Loop: Header=BB6_5473 Depth=4
	s_or_b64 exec, exec, s[34:35]
.LBB6_8936:                             ;   in Loop: Header=BB6_5473 Depth=4
	s_or_b64 exec, exec, s[30:31]
.LBB6_8937:                             ;   in Loop: Header=BB6_5473 Depth=4
	s_or_b64 exec, exec, s[28:29]
	v_lshrrev_b32_e32 v0, 16, v15
	v_cmp_ne_u16_sdwa s[62:63], v0, v33 src0_sel:BYTE_0 src1_sel:DWORD
	s_and_saveexec_b64 s[28:29], s[62:63]
	s_cbranch_execz .LBB6_8945
; %bb.8938:                             ;   in Loop: Header=BB6_5473 Depth=4
	v_cmp_ne_u16_sdwa s[62:63], v0, s97 src0_sel:BYTE_0 src1_sel:DWORD
	v_bfrev_b32_e32 v1, 1
	s_and_saveexec_b64 s[30:31], s[62:63]
	s_cbranch_execz .LBB6_8944
; %bb.8939:                             ;   in Loop: Header=BB6_5473 Depth=4
	v_and_b32_e32 v1, 0x7c0000, v15
	v_bfe_u32 v4, v15, 16, 2
	v_cmp_ne_u32_e32 vcc, s45, v1
                                        ; implicit-def: $vgpr1
	s_and_saveexec_b64 s[62:63], vcc
	s_xor_b64 s[34:35], exec, s[62:63]
	s_cbranch_execz .LBB6_8941
; %bb.8940:                             ;   in Loop: Header=BB6_5473 Depth=4
	v_ffbh_u32_e32 v1, v4
	v_min_u32_e32 v20, 32, v1
	v_subrev_u32_e32 v1, 29, v20
	v_lshlrev_b64 v[0:1], v1, v[0:1]
	v_bfe_u32 v6, v15, 18, 5
	v_and_b32_e32 v0, 3, v0
	v_cmp_eq_u32_e32 vcc, 0, v6
	v_sub_u32_e32 v1, 30, v20
	v_cndmask_b32_e32 v0, v4, v0, vcc
	v_lshlrev_b32_e32 v4, 8, v15
	v_cndmask_b32_e32 v1, v6, v1, vcc
	v_and_b32_e32 v4, 0x80000000, v4
	v_lshl_add_u32 v1, v1, 23, v4
	v_lshl_or_b32 v0, v0, 21, v1
	v_add_u32_e32 v1, 0x38000000, v0
                                        ; implicit-def: $vgpr4
                                        ; implicit-def: $vgpr0
.LBB6_8941:                             ;   in Loop: Header=BB6_5473 Depth=4
	s_andn2_saveexec_b64 s[34:35], s[34:35]
; %bb.8942:                             ;   in Loop: Header=BB6_5473 Depth=4
	v_mov_b32_e32 v1, -1
	v_cmp_gt_i16_sdwa vcc, sext(v0), v1 src0_sel:BYTE_0 src1_sel:DWORD
	v_mov_b32_e32 v0, 0xff800000
	v_mov_b32_e32 v1, 0x7f800000
	v_cndmask_b32_e32 v0, v0, v1, vcc
	v_cmp_eq_u32_e32 vcc, 0, v4
	v_mov_b32_e32 v1, 0x7f800001
	v_cndmask_b32_e32 v1, v1, v0, vcc
; %bb.8943:                             ;   in Loop: Header=BB6_5473 Depth=4
	s_or_b64 exec, exec, s[34:35]
.LBB6_8944:                             ;   in Loop: Header=BB6_5473 Depth=4
	s_or_b64 exec, exec, s[30:31]
.LBB6_8945:                             ;   in Loop: Header=BB6_5473 Depth=4
	s_or_b64 exec, exec, s[28:29]
	v_add_f32_e32 v2, v2, v1
	v_and_b32_e32 v20, 0x7f800000, v2
	v_mov_b32_e32 v21, v33
	v_cmp_ne_u64_e32 vcc, s[76:77], v[20:21]
	v_and_b32_e32 v0, 0x7fffff, v2
	v_mov_b32_e32 v1, v33
                                        ; implicit-def: $vgpr59
	s_and_saveexec_b64 s[28:29], vcc
	s_xor_b64 s[30:31], exec, s[28:29]
	s_cbranch_execz .LBB6_8959
; %bb.8946:                             ;   in Loop: Header=BB6_5473 Depth=4
	v_and_b32_e32 v20, 0x7fffffff, v2
	v_mov_b32_e32 v21, v33
	v_cmp_gt_u64_e32 vcc, s[78:79], v[20:21]
	v_and_b32_sdwa v4, v2, s97 dst_sel:DWORD dst_unused:UNUSED_PAD src0_sel:BYTE_3 src1_sel:DWORD
                                        ; implicit-def: $vgpr59
	s_and_saveexec_b64 s[28:29], vcc
	s_xor_b64 s[34:35], exec, s[28:29]
	s_cbranch_execz .LBB6_8956
; %bb.8947:                             ;   in Loop: Header=BB6_5473 Depth=4
	v_mov_b32_e32 v59, 0
	v_cmp_ne_u32_e32 vcc, 0, v2
	s_and_saveexec_b64 s[36:37], vcc
	s_cbranch_execz .LBB6_8955
; %bb.8948:                             ;   in Loop: Header=BB6_5473 Depth=4
	v_bfe_u32 v20, v2, 23, 8
	v_cmp_gt_u32_e64 s[28:29], s47, v20
	v_sub_u32_e32 v2, 0x71, v20
	v_cmp_eq_u32_e32 vcc, 0, v20
	v_cndmask_b32_e64 v2, 0, v2, s[28:29]
	v_mov_b32_e32 v21, 0x70
	v_cndmask_b32_e32 v21, v2, v21, vcc
	v_add_u32_e32 v2, 21, v21
	v_or_b32_e32 v6, 0x800000, v0
	v_lshlrev_b64 v[22:23], v2, -1
	v_cndmask_b32_e32 v0, v6, v0, vcc
	v_add_u32_e32 v2, 20, v21
	v_bfi_b32 v22, v22, 0, v0
	v_lshlrev_b64 v[35:36], v2, 1
	v_lshrrev_b64 v[0:1], v21, v[0:1]
	v_bfi_b32 v23, v23, 0, 0
	v_cmp_eq_u64_e64 s[28:29], v[22:23], v[35:36]
	v_mov_b32_e32 v2, v1
	v_mov_b32_e32 v1, v0
	s_and_saveexec_b64 s[38:39], s[28:29]
; %bb.8949:                             ;   in Loop: Header=BB6_5473 Depth=4
	v_bfe_u32 v1, v0, 21, 1
	v_add_co_u32_e64 v1, s[28:29], v0, v1
	v_add_co_u32_e64 v1, s[28:29], -1, v1
; %bb.8950:                             ;   in Loop: Header=BB6_5473 Depth=4
	s_or_b64 exec, exec, s[38:39]
	v_add_u32_e32 v2, 0xffffff81, v20
	v_mov_b32_e32 v6, 0xffffff82
	v_cndmask_b32_e32 v2, v2, v6, vcc
	v_lshrrev_b32_e32 v6, 23, v0
	v_add3_u32 v20, v21, v2, v6
	v_add_u32_e32 v6, 14, v20
	v_and_b32_e32 v1, 0x1fffff, v1
	v_add_u32_e32 v0, v1, v0
	v_mov_b32_e32 v1, v33
	v_cmp_ne_u32_e32 vcc, 0, v6
                                        ; implicit-def: $vgpr2
	s_and_saveexec_b64 s[28:29], vcc
	s_xor_b64 s[28:29], exec, s[28:29]
; %bb.8951:                             ;   in Loop: Header=BB6_5473 Depth=4
	v_cmp_lt_u64_e32 vcc, s[88:89], v[0:1]
	v_add_u32_e32 v2, 15, v20
	v_cndmask_b32_e32 v2, v6, v2, vcc
	v_cndmask_b32_e64 v6, 0, 1, vcc
	v_lshrrev_b64 v[0:1], v6, v[0:1]
; %bb.8952:                             ;   in Loop: Header=BB6_5473 Depth=4
	s_andn2_saveexec_b64 s[28:29], s[28:29]
; %bb.8953:                             ;   in Loop: Header=BB6_5473 Depth=4
	v_bfe_u32 v2, v0, 23, 1
; %bb.8954:                             ;   in Loop: Header=BB6_5473 Depth=4
	s_or_b64 exec, exec, s[28:29]
	v_lshrrev_b64 v[0:1], 21, v[0:1]
	v_cmp_gt_i32_e32 vcc, 32, v2
	v_cndmask_b32_e32 v1, 0, v1, vcc
	v_cndmask_b32_e32 v0, 3, v0, vcc
	v_cmp_eq_u64_e64 s[28:29], 0, v[0:1]
	v_min_i32_e32 v1, 31, v2
	v_lshlrev_b32_e32 v1, 2, v1
	v_cmp_eq_u32_e32 vcc, 0, v2
	v_and_b32_e32 v1, 0xfc, v1
	v_and_or_b32 v0, v0, 3, v1
	s_and_b64 s[28:29], vcc, s[28:29]
	v_cndmask_b32_e64 v0, v0, 0, s[28:29]
	v_or_b32_e32 v59, v0, v4
.LBB6_8955:                             ;   in Loop: Header=BB6_5473 Depth=4
	s_or_b64 exec, exec, s[36:37]
                                        ; implicit-def: $vgpr4
.LBB6_8956:                             ;   in Loop: Header=BB6_5473 Depth=4
	s_andn2_saveexec_b64 s[28:29], s[34:35]
; %bb.8957:                             ;   in Loop: Header=BB6_5473 Depth=4
	v_or_b32_e32 v59, 0x7b, v4
; %bb.8958:                             ;   in Loop: Header=BB6_5473 Depth=4
	s_or_b64 exec, exec, s[28:29]
                                        ; implicit-def: $vgpr2
                                        ; implicit-def: $vgpr0_vgpr1
.LBB6_8959:                             ;   in Loop: Header=BB6_5473 Depth=4
	s_andn2_saveexec_b64 s[28:29], s[30:31]
	s_cbranch_execz .LBB6_8965
; %bb.8960:                             ;   in Loop: Header=BB6_5473 Depth=4
	v_cmp_ne_u64_e32 vcc, 0, v[0:1]
                                        ; implicit-def: $vgpr59
	s_and_saveexec_b64 s[62:63], vcc
	s_xor_b64 vcc, exec, s[62:63]
; %bb.8961:                             ;   in Loop: Header=BB6_5473 Depth=4
	v_or_b32_sdwa v59, v2, s44 dst_sel:DWORD dst_unused:UNUSED_PAD src0_sel:BYTE_3 src1_sel:DWORD
                                        ; implicit-def: $vgpr2
; %bb.8962:                             ;   in Loop: Header=BB6_5473 Depth=4
	s_andn2_saveexec_b64 s[30:31], vcc
; %bb.8963:                             ;   in Loop: Header=BB6_5473 Depth=4
	v_cmp_lt_i32_e32 vcc, -1, v2
	v_bfrev_b32_e32 v0, 0.5
	v_mov_b32_e32 v1, 0x7c
	v_cndmask_b32_e32 v59, v0, v1, vcc
; %bb.8964:                             ;   in Loop: Header=BB6_5473 Depth=4
	s_or_b64 exec, exec, s[30:31]
.LBB6_8965:                             ;   in Loop: Header=BB6_5473 Depth=4
	s_or_b64 exec, exec, s[28:29]
	v_cmp_lt_u32_e32 vcc, s57, v32
	v_mov_b32_e32 v1, 0
	v_mov_b32_e32 v2, 0
	s_and_saveexec_b64 s[28:29], vcc
	s_cbranch_execz .LBB6_8973
; %bb.8966:                             ;   in Loop: Header=BB6_5473 Depth=4
	v_lshrrev_b32_e32 v0, 24, v32
	v_cmp_ne_u32_e32 vcc, s97, v0
	v_bfrev_b32_e32 v2, 1
	s_and_saveexec_b64 s[30:31], vcc
	s_cbranch_execz .LBB6_8972
; %bb.8967:                             ;   in Loop: Header=BB6_5473 Depth=4
	v_and_b32_e32 v2, 0x7c000000, v32
	v_bfe_u32 v4, v32, 24, 2
	v_cmp_ne_u32_e32 vcc, s68, v2
                                        ; implicit-def: $vgpr2
	s_and_saveexec_b64 s[62:63], vcc
	s_xor_b64 s[34:35], exec, s[62:63]
	s_cbranch_execz .LBB6_8969
; %bb.8968:                             ;   in Loop: Header=BB6_5473 Depth=4
	v_ffbh_u32_e32 v6, v4
	v_min_u32_e32 v6, 32, v6
	v_subrev_u32_e32 v20, 29, v6
	v_lshlrev_b64 v[20:21], v20, v[0:1]
	v_bfe_u32 v2, v32, 26, 5
	v_sub_u32_e32 v0, 30, v6
	v_and_b32_e32 v6, 3, v20
	v_cmp_eq_u32_e32 vcc, 0, v2
	v_cndmask_b32_e32 v0, v2, v0, vcc
	v_cndmask_b32_e32 v2, v4, v6, vcc
	v_and_b32_e32 v4, 0x80000000, v32
	v_lshl_add_u32 v0, v0, 23, v4
	v_lshl_or_b32 v0, v2, 21, v0
	v_add_u32_e32 v2, 0x38000000, v0
                                        ; implicit-def: $vgpr4
.LBB6_8969:                             ;   in Loop: Header=BB6_5473 Depth=4
	s_andn2_saveexec_b64 s[34:35], s[34:35]
; %bb.8970:                             ;   in Loop: Header=BB6_5473 Depth=4
	v_cmp_lt_i32_e32 vcc, -1, v32
	v_mov_b32_e32 v0, 0xff800000
	v_mov_b32_e32 v2, 0x7f800000
	v_cndmask_b32_e32 v0, v0, v2, vcc
	v_cmp_eq_u32_e32 vcc, 0, v4
	v_mov_b32_e32 v2, 0x7f800001
	v_cndmask_b32_e32 v2, v2, v0, vcc
; %bb.8971:                             ;   in Loop: Header=BB6_5473 Depth=4
	s_or_b64 exec, exec, s[34:35]
.LBB6_8972:                             ;   in Loop: Header=BB6_5473 Depth=4
	s_or_b64 exec, exec, s[30:31]
.LBB6_8973:                             ;   in Loop: Header=BB6_5473 Depth=4
	s_or_b64 exec, exec, s[28:29]
	v_cmp_lt_u64_e32 vcc, s[56:57], v[14:15]
	s_and_saveexec_b64 s[28:29], vcc
	s_cbranch_execz .LBB6_8981
; %bb.8974:                             ;   in Loop: Header=BB6_5473 Depth=4
	v_lshrrev_b32_e32 v0, 24, v15
	v_cmp_ne_u32_e32 vcc, s97, v0
	v_bfrev_b32_e32 v1, 1
	s_and_saveexec_b64 s[30:31], vcc
	s_cbranch_execz .LBB6_8980
; %bb.8975:                             ;   in Loop: Header=BB6_5473 Depth=4
	v_and_b32_e32 v1, 0x7c000000, v15
	v_bfe_u32 v4, v15, 24, 2
	v_cmp_ne_u32_e32 vcc, s68, v1
                                        ; implicit-def: $vgpr1
	s_and_saveexec_b64 s[62:63], vcc
	s_xor_b64 s[34:35], exec, s[62:63]
	s_cbranch_execz .LBB6_8977
; %bb.8976:                             ;   in Loop: Header=BB6_5473 Depth=4
	v_ffbh_u32_e32 v1, v4
	v_min_u32_e32 v14, 32, v1
	v_subrev_u32_e32 v1, 29, v14
	v_lshlrev_b64 v[0:1], v1, v[0:1]
	v_bfe_u32 v6, v15, 26, 5
	v_sub_u32_e32 v1, 30, v14
	v_and_b32_e32 v0, 3, v0
	v_cmp_eq_u32_e32 vcc, 0, v6
	v_cndmask_b32_e32 v1, v6, v1, vcc
	v_cndmask_b32_e32 v0, v4, v0, vcc
	v_and_b32_e32 v4, 0x80000000, v15
	v_lshl_add_u32 v1, v1, 23, v4
	v_lshl_or_b32 v0, v0, 21, v1
	v_add_u32_e32 v1, 0x38000000, v0
                                        ; implicit-def: $vgpr4
                                        ; implicit-def: $vgpr14_vgpr15
.LBB6_8977:                             ;   in Loop: Header=BB6_5473 Depth=4
	s_andn2_saveexec_b64 s[34:35], s[34:35]
; %bb.8978:                             ;   in Loop: Header=BB6_5473 Depth=4
	v_cmp_lt_i64_e32 vcc, -1, v[14:15]
	v_mov_b32_e32 v0, 0xff800000
	v_mov_b32_e32 v1, 0x7f800000
	v_cndmask_b32_e32 v0, v0, v1, vcc
	v_cmp_eq_u32_e32 vcc, 0, v4
	v_mov_b32_e32 v1, 0x7f800001
	v_cndmask_b32_e32 v1, v1, v0, vcc
; %bb.8979:                             ;   in Loop: Header=BB6_5473 Depth=4
	s_or_b64 exec, exec, s[34:35]
.LBB6_8980:                             ;   in Loop: Header=BB6_5473 Depth=4
	s_or_b64 exec, exec, s[30:31]
.LBB6_8981:                             ;   in Loop: Header=BB6_5473 Depth=4
	s_or_b64 exec, exec, s[28:29]
	v_add_f32_e32 v0, v2, v1
	v_and_b32_e32 v1, 0x7f800000, v0
	v_mov_b32_e32 v2, v33
	v_cmp_ne_u64_e32 vcc, s[76:77], v[1:2]
	v_and_b32_e32 v32, 0x7fffff, v0
                                        ; implicit-def: $vgpr14
	s_and_saveexec_b64 s[28:29], vcc
	s_xor_b64 s[30:31], exec, s[28:29]
	s_cbranch_execz .LBB6_8995
; %bb.8982:                             ;   in Loop: Header=BB6_5473 Depth=4
	v_and_b32_e32 v1, 0x7fffffff, v0
	v_mov_b32_e32 v2, v33
	v_cmp_gt_u64_e32 vcc, s[78:79], v[1:2]
	v_and_b32_sdwa v4, v0, s97 dst_sel:DWORD dst_unused:UNUSED_PAD src0_sel:BYTE_3 src1_sel:DWORD
                                        ; implicit-def: $vgpr14
	s_and_saveexec_b64 s[28:29], vcc
	s_xor_b64 s[34:35], exec, s[28:29]
	s_cbranch_execz .LBB6_8992
; %bb.8983:                             ;   in Loop: Header=BB6_5473 Depth=4
	v_mov_b32_e32 v14, 0
	v_cmp_ne_u32_e32 vcc, 0, v0
	s_and_saveexec_b64 s[36:37], vcc
	s_cbranch_execz .LBB6_8991
; %bb.8984:                             ;   in Loop: Header=BB6_5473 Depth=4
	v_bfe_u32 v14, v0, 23, 8
	v_cmp_gt_u32_e64 s[28:29], s47, v14
	v_sub_u32_e32 v0, 0x71, v14
	v_cmp_eq_u32_e32 vcc, 0, v14
	v_cndmask_b32_e64 v0, 0, v0, s[28:29]
	v_mov_b32_e32 v2, 0x70
	v_cndmask_b32_e32 v15, v0, v2, vcc
	v_add_u32_e32 v2, 21, v15
	v_or_b32_e32 v1, 0x800000, v32
	v_lshlrev_b64 v[20:21], v2, -1
	v_cndmask_b32_e32 v0, v1, v32, vcc
	v_mov_b32_e32 v1, v33
	v_add_u32_e32 v2, 20, v15
	v_bfi_b32 v20, v20, 0, v0
	v_lshlrev_b64 v[22:23], v2, 1
	v_lshrrev_b64 v[0:1], v15, v[0:1]
	v_bfi_b32 v21, v21, 0, 0
	v_cmp_eq_u64_e64 s[28:29], v[20:21], v[22:23]
	v_mov_b32_e32 v2, v1
	v_mov_b32_e32 v1, v0
	s_and_saveexec_b64 s[38:39], s[28:29]
; %bb.8985:                             ;   in Loop: Header=BB6_5473 Depth=4
	v_bfe_u32 v1, v0, 21, 1
	v_add_co_u32_e64 v1, s[28:29], v0, v1
	v_add_co_u32_e64 v1, s[28:29], -1, v1
; %bb.8986:                             ;   in Loop: Header=BB6_5473 Depth=4
	s_or_b64 exec, exec, s[38:39]
	v_add_u32_e32 v2, 0xffffff81, v14
	v_mov_b32_e32 v6, 0xffffff82
	v_cndmask_b32_e32 v2, v2, v6, vcc
	v_lshrrev_b32_e32 v6, 23, v0
	v_add3_u32 v14, v15, v2, v6
	v_add_u32_e32 v6, 14, v14
	v_and_b32_e32 v1, 0x1fffff, v1
	v_add_u32_e32 v32, v1, v0
	v_cmp_ne_u32_e32 vcc, 0, v6
                                        ; implicit-def: $vgpr0_vgpr1
                                        ; implicit-def: $vgpr2
	s_and_saveexec_b64 s[28:29], vcc
	s_xor_b64 s[28:29], exec, s[28:29]
; %bb.8987:                             ;   in Loop: Header=BB6_5473 Depth=4
	v_cmp_lt_u64_e32 vcc, s[88:89], v[32:33]
	v_add_u32_e32 v0, 15, v14
	v_cndmask_b32_e32 v2, v6, v0, vcc
	v_cndmask_b32_e64 v0, 0, 1, vcc
	v_lshrrev_b64 v[0:1], v0, v[32:33]
; %bb.8988:                             ;   in Loop: Header=BB6_5473 Depth=4
	s_andn2_saveexec_b64 s[28:29], s[28:29]
; %bb.8989:                             ;   in Loop: Header=BB6_5473 Depth=4
	v_mov_b32_e32 v0, v32
	v_mov_b32_e32 v1, v33
	v_bfe_u32 v2, v32, 23, 1
; %bb.8990:                             ;   in Loop: Header=BB6_5473 Depth=4
	s_or_b64 exec, exec, s[28:29]
	v_lshrrev_b64 v[0:1], 21, v[0:1]
	v_cmp_gt_i32_e32 vcc, 32, v2
	v_cndmask_b32_e32 v1, 0, v1, vcc
	v_cndmask_b32_e32 v0, 3, v0, vcc
	v_cmp_eq_u64_e64 s[28:29], 0, v[0:1]
	v_min_i32_e32 v1, 31, v2
	v_lshlrev_b32_e32 v1, 2, v1
	v_cmp_eq_u32_e32 vcc, 0, v2
	v_and_b32_e32 v1, 0xfc, v1
	v_and_or_b32 v0, v0, 3, v1
	s_and_b64 s[28:29], vcc, s[28:29]
	v_cndmask_b32_e64 v0, v0, 0, s[28:29]
	v_or_b32_e32 v14, v0, v4
.LBB6_8991:                             ;   in Loop: Header=BB6_5473 Depth=4
	s_or_b64 exec, exec, s[36:37]
                                        ; implicit-def: $vgpr4
.LBB6_8992:                             ;   in Loop: Header=BB6_5473 Depth=4
	s_andn2_saveexec_b64 s[28:29], s[34:35]
; %bb.8993:                             ;   in Loop: Header=BB6_5473 Depth=4
	v_or_b32_e32 v14, 0x7b, v4
; %bb.8994:                             ;   in Loop: Header=BB6_5473 Depth=4
	s_or_b64 exec, exec, s[28:29]
                                        ; implicit-def: $vgpr0
.LBB6_8995:                             ;   in Loop: Header=BB6_5473 Depth=4
	s_andn2_saveexec_b64 s[28:29], s[30:31]
	s_cbranch_execz .LBB6_9001
; %bb.8996:                             ;   in Loop: Header=BB6_5473 Depth=4
	v_cmp_ne_u64_e32 vcc, 0, v[32:33]
                                        ; implicit-def: $vgpr14
	s_and_saveexec_b64 s[62:63], vcc
	s_xor_b64 vcc, exec, s[62:63]
; %bb.8997:                             ;   in Loop: Header=BB6_5473 Depth=4
	v_or_b32_sdwa v14, v0, s44 dst_sel:DWORD dst_unused:UNUSED_PAD src0_sel:BYTE_3 src1_sel:DWORD
                                        ; implicit-def: $vgpr0
; %bb.8998:                             ;   in Loop: Header=BB6_5473 Depth=4
	s_andn2_saveexec_b64 s[30:31], vcc
; %bb.8999:                             ;   in Loop: Header=BB6_5473 Depth=4
	v_cmp_lt_i32_e32 vcc, -1, v0
	v_bfrev_b32_e32 v0, 0.5
	v_mov_b32_e32 v1, 0x7c
	v_cndmask_b32_e32 v14, v0, v1, vcc
; %bb.9000:                             ;   in Loop: Header=BB6_5473 Depth=4
	s_or_b64 exec, exec, s[30:31]
.LBB6_9001:                             ;   in Loop: Header=BB6_5473 Depth=4
	s_or_b64 exec, exec, s[28:29]
	buffer_load_dword v0, off, s[0:3], s33 offset:180 ; 4-byte Folded Reload
	buffer_load_dword v1, off, s[0:3], s33 offset:228 ; 4-byte Folded Reload
	v_cmp_ne_u32_e32 vcc, 0, v37
	s_waitcnt vmcnt(1)
	v_lshl_or_b32 v4, v0, 8, v37
	buffer_load_dword v0, off, s[0:3], s33 offset:204 ; 4-byte Folded Reload
	s_waitcnt vmcnt(1)
	v_lshlrev_b32_e32 v1, 24, v1
	s_waitcnt vmcnt(0)
	v_lshlrev_b32_e32 v0, 16, v0
	v_or3_b32 v32, v0, v1, v4
	v_mov_b32_e32 v0, 0
	v_mov_b32_e32 v1, 0
	s_and_saveexec_b64 s[30:31], vcc
	s_cbranch_execz .LBB6_9009
; %bb.9002:                             ;   in Loop: Header=BB6_5473 Depth=4
	v_cmp_ne_u32_e32 vcc, s97, v37
	v_bfrev_b32_e32 v1, 1
	s_and_saveexec_b64 s[34:35], vcc
	s_cbranch_execz .LBB6_9008
; %bb.9003:                             ;   in Loop: Header=BB6_5473 Depth=4
	v_and_b32_e32 v1, 0x7c, v37
	v_and_b32_e32 v2, 3, v37
	v_cmp_ne_u32_e32 vcc, s86, v1
                                        ; implicit-def: $vgpr1
	s_and_saveexec_b64 s[28:29], vcc
	s_xor_b64 s[28:29], exec, s[28:29]
	s_cbranch_execz .LBB6_9005
; %bb.9004:                             ;   in Loop: Header=BB6_5473 Depth=4
	v_ffbh_u32_e32 v6, v2
	v_min_u32_e32 v6, 32, v6
	v_bfe_u32 v1, v37, 2, 5
	v_subrev_u32_e32 v15, 29, v6
	v_lshlrev_b64 v[20:21], v15, v[32:33]
	v_sub_u32_e32 v6, 30, v6
	v_cmp_eq_u32_e32 vcc, 0, v1
	v_cndmask_b32_e32 v1, v1, v6, vcc
	v_lshlrev_b32_e32 v6, 24, v37
	v_and_b32_e32 v15, 3, v20
	v_and_b32_e32 v6, 0x80000000, v6
	v_cndmask_b32_e32 v2, v2, v15, vcc
	v_lshl_add_u32 v1, v1, 23, v6
	v_lshl_or_b32 v1, v2, 21, v1
	v_add_u32_e32 v1, 0x38000000, v1
                                        ; implicit-def: $vgpr2
                                        ; implicit-def: $vgpr37
.LBB6_9005:                             ;   in Loop: Header=BB6_5473 Depth=4
	s_andn2_saveexec_b64 s[36:37], s[28:29]
; %bb.9006:                             ;   in Loop: Header=BB6_5473 Depth=4
	v_and_b32_e32 v1, 0x80, v37
	v_cmp_eq_u32_e32 vcc, 0, v2
	v_cmp_eq_u32_e64 s[28:29], 0, v1
	v_mov_b32_e32 v1, 0xff800000
	v_mov_b32_e32 v2, 0x7f800000
	v_cndmask_b32_e64 v1, v1, v2, s[28:29]
	v_mov_b32_e32 v2, 0x7f800001
	v_cndmask_b32_e32 v1, v2, v1, vcc
; %bb.9007:                             ;   in Loop: Header=BB6_5473 Depth=4
	s_or_b64 exec, exec, s[36:37]
.LBB6_9008:                             ;   in Loop: Header=BB6_5473 Depth=4
	s_or_b64 exec, exec, s[34:35]
.LBB6_9009:                             ;   in Loop: Header=BB6_5473 Depth=4
	s_or_b64 exec, exec, s[30:31]
	v_cmp_ne_u16_sdwa s[62:63], v8, v33 src0_sel:BYTE_0 src1_sel:DWORD
	s_and_saveexec_b64 s[28:29], s[62:63]
	s_cbranch_execz .LBB6_9017
; %bb.9010:                             ;   in Loop: Header=BB6_5473 Depth=4
	v_cmp_ne_u16_sdwa s[62:63], sext(v8), s46 src0_sel:BYTE_0 src1_sel:DWORD
	v_bfrev_b32_e32 v0, 1
	s_and_saveexec_b64 s[30:31], s[62:63]
	s_cbranch_execz .LBB6_9016
; %bb.9011:                             ;   in Loop: Header=BB6_5473 Depth=4
	v_and_b32_e32 v0, 0x7c, v8
	v_and_b32_e32 v2, 3, v8
	v_cmp_ne_u32_e32 vcc, s86, v0
                                        ; implicit-def: $vgpr0
	s_and_saveexec_b64 s[62:63], vcc
	s_xor_b64 s[34:35], exec, s[62:63]
	s_cbranch_execz .LBB6_9013
; %bb.9012:                             ;   in Loop: Header=BB6_5473 Depth=4
	v_ffbh_u32_e32 v6, v2
	v_min_u32_e32 v6, 32, v6
	v_bfe_u32 v0, v8, 2, 5
	v_subrev_u32_e32 v15, 29, v6
	v_lshlrev_b64 v[20:21], v15, v[8:9]
	v_sub_u32_e32 v6, 30, v6
	v_cmp_eq_u32_e32 vcc, 0, v0
	v_cndmask_b32_e32 v0, v0, v6, vcc
	v_lshlrev_b32_e32 v6, 24, v8
	v_and_b32_e32 v15, 3, v20
	v_and_b32_e32 v6, 0x80000000, v6
	v_cndmask_b32_e32 v2, v2, v15, vcc
	v_lshl_add_u32 v0, v0, 23, v6
	v_lshl_or_b32 v0, v2, 21, v0
	v_add_u32_e32 v0, 0x38000000, v0
                                        ; implicit-def: $vgpr2
.LBB6_9013:                             ;   in Loop: Header=BB6_5473 Depth=4
	s_andn2_saveexec_b64 s[34:35], s[34:35]
; %bb.9014:                             ;   in Loop: Header=BB6_5473 Depth=4
	v_mov_b32_e32 v0, -1
	v_cmp_gt_i16_sdwa vcc, sext(v8), v0 src0_sel:BYTE_0 src1_sel:DWORD
	v_mov_b32_e32 v0, 0xff800000
	v_mov_b32_e32 v6, 0x7f800000
	v_cndmask_b32_e32 v0, v0, v6, vcc
	v_cmp_eq_u32_e32 vcc, 0, v2
	v_mov_b32_e32 v2, 0x7f800001
	v_cndmask_b32_e32 v0, v2, v0, vcc
; %bb.9015:                             ;   in Loop: Header=BB6_5473 Depth=4
	s_or_b64 exec, exec, s[34:35]
.LBB6_9016:                             ;   in Loop: Header=BB6_5473 Depth=4
	s_or_b64 exec, exec, s[30:31]
.LBB6_9017:                             ;   in Loop: Header=BB6_5473 Depth=4
	s_or_b64 exec, exec, s[28:29]
	v_add_f32_e32 v2, v1, v0
	v_and_b32_e32 v20, 0x7f800000, v2
	v_mov_b32_e32 v21, v33
	v_cmp_ne_u64_e32 vcc, s[76:77], v[20:21]
	v_and_b32_e32 v0, 0x7fffff, v2
	v_mov_b32_e32 v1, v33
                                        ; implicit-def: $vgpr15
	s_and_saveexec_b64 s[28:29], vcc
	s_xor_b64 s[30:31], exec, s[28:29]
	s_cbranch_execz .LBB6_9031
; %bb.9018:                             ;   in Loop: Header=BB6_5473 Depth=4
	v_and_b32_e32 v20, 0x7fffffff, v2
	v_mov_b32_e32 v21, v33
	v_cmp_gt_u64_e32 vcc, s[78:79], v[20:21]
	v_and_b32_sdwa v20, v2, s97 dst_sel:DWORD dst_unused:UNUSED_PAD src0_sel:BYTE_3 src1_sel:DWORD
                                        ; implicit-def: $vgpr15
	s_and_saveexec_b64 s[28:29], vcc
	s_xor_b64 s[34:35], exec, s[28:29]
	s_cbranch_execz .LBB6_9028
; %bb.9019:                             ;   in Loop: Header=BB6_5473 Depth=4
	v_mov_b32_e32 v15, 0
	v_cmp_ne_u32_e32 vcc, 0, v2
	s_and_saveexec_b64 s[36:37], vcc
	s_cbranch_execz .LBB6_9027
; %bb.9020:                             ;   in Loop: Header=BB6_5473 Depth=4
	v_bfe_u32 v15, v2, 23, 8
	v_cmp_gt_u32_e64 s[28:29], s47, v15
	v_sub_u32_e32 v2, 0x71, v15
	v_cmp_eq_u32_e32 vcc, 0, v15
	v_cndmask_b32_e64 v2, 0, v2, s[28:29]
	v_mov_b32_e32 v21, 0x70
	v_cndmask_b32_e32 v21, v2, v21, vcc
	v_add_u32_e32 v2, 21, v21
	v_or_b32_e32 v6, 0x800000, v0
	v_lshlrev_b64 v[22:23], v2, -1
	v_cndmask_b32_e32 v0, v6, v0, vcc
	v_add_u32_e32 v2, 20, v21
	v_bfi_b32 v22, v22, 0, v0
	v_lshlrev_b64 v[35:36], v2, 1
	v_lshrrev_b64 v[0:1], v21, v[0:1]
	v_bfi_b32 v23, v23, 0, 0
	v_cmp_eq_u64_e64 s[28:29], v[22:23], v[35:36]
	v_mov_b32_e32 v2, v1
	v_mov_b32_e32 v1, v0
	s_and_saveexec_b64 s[38:39], s[28:29]
; %bb.9021:                             ;   in Loop: Header=BB6_5473 Depth=4
	v_bfe_u32 v1, v0, 21, 1
	v_add_co_u32_e64 v1, s[28:29], v0, v1
	v_add_co_u32_e64 v1, s[28:29], -1, v1
; %bb.9022:                             ;   in Loop: Header=BB6_5473 Depth=4
	s_or_b64 exec, exec, s[38:39]
	v_add_u32_e32 v2, 0xffffff81, v15
	v_mov_b32_e32 v6, 0xffffff82
	v_cndmask_b32_e32 v2, v2, v6, vcc
	v_lshrrev_b32_e32 v6, 23, v0
	v_add3_u32 v15, v21, v2, v6
	v_add_u32_e32 v6, 14, v15
	v_and_b32_e32 v1, 0x1fffff, v1
	v_add_u32_e32 v0, v1, v0
	v_mov_b32_e32 v1, v33
	v_cmp_ne_u32_e32 vcc, 0, v6
                                        ; implicit-def: $vgpr2
	s_and_saveexec_b64 s[28:29], vcc
	s_xor_b64 s[28:29], exec, s[28:29]
; %bb.9023:                             ;   in Loop: Header=BB6_5473 Depth=4
	v_cmp_lt_u64_e32 vcc, s[88:89], v[0:1]
	v_add_u32_e32 v2, 15, v15
	v_cndmask_b32_e32 v2, v6, v2, vcc
	v_cndmask_b32_e64 v6, 0, 1, vcc
	v_lshrrev_b64 v[0:1], v6, v[0:1]
; %bb.9024:                             ;   in Loop: Header=BB6_5473 Depth=4
	s_andn2_saveexec_b64 s[28:29], s[28:29]
; %bb.9025:                             ;   in Loop: Header=BB6_5473 Depth=4
	v_bfe_u32 v2, v0, 23, 1
; %bb.9026:                             ;   in Loop: Header=BB6_5473 Depth=4
	s_or_b64 exec, exec, s[28:29]
	v_lshrrev_b64 v[0:1], 21, v[0:1]
	v_cmp_gt_i32_e32 vcc, 32, v2
	v_cndmask_b32_e32 v1, 0, v1, vcc
	v_cndmask_b32_e32 v0, 3, v0, vcc
	v_cmp_eq_u64_e64 s[28:29], 0, v[0:1]
	v_min_i32_e32 v1, 31, v2
	v_lshlrev_b32_e32 v1, 2, v1
	v_cmp_eq_u32_e32 vcc, 0, v2
	v_and_b32_e32 v1, 0xfc, v1
	v_and_or_b32 v0, v0, 3, v1
	s_and_b64 s[28:29], vcc, s[28:29]
	v_cndmask_b32_e64 v0, v0, 0, s[28:29]
	v_or_b32_e32 v15, v0, v20
.LBB6_9027:                             ;   in Loop: Header=BB6_5473 Depth=4
	s_or_b64 exec, exec, s[36:37]
                                        ; implicit-def: $vgpr20
.LBB6_9028:                             ;   in Loop: Header=BB6_5473 Depth=4
	s_andn2_saveexec_b64 s[28:29], s[34:35]
; %bb.9029:                             ;   in Loop: Header=BB6_5473 Depth=4
	v_or_b32_e32 v15, 0x7b, v20
; %bb.9030:                             ;   in Loop: Header=BB6_5473 Depth=4
	s_or_b64 exec, exec, s[28:29]
                                        ; implicit-def: $vgpr2
                                        ; implicit-def: $vgpr0_vgpr1
.LBB6_9031:                             ;   in Loop: Header=BB6_5473 Depth=4
	s_andn2_saveexec_b64 s[28:29], s[30:31]
	s_cbranch_execz .LBB6_9037
; %bb.9032:                             ;   in Loop: Header=BB6_5473 Depth=4
	v_cmp_ne_u64_e32 vcc, 0, v[0:1]
                                        ; implicit-def: $vgpr15
	s_and_saveexec_b64 s[62:63], vcc
	s_xor_b64 vcc, exec, s[62:63]
; %bb.9033:                             ;   in Loop: Header=BB6_5473 Depth=4
	v_or_b32_sdwa v15, v2, s44 dst_sel:DWORD dst_unused:UNUSED_PAD src0_sel:BYTE_3 src1_sel:DWORD
                                        ; implicit-def: $vgpr2
; %bb.9034:                             ;   in Loop: Header=BB6_5473 Depth=4
	s_andn2_saveexec_b64 s[30:31], vcc
; %bb.9035:                             ;   in Loop: Header=BB6_5473 Depth=4
	v_cmp_lt_i32_e32 vcc, -1, v2
	v_bfrev_b32_e32 v0, 0.5
	v_mov_b32_e32 v1, 0x7c
	v_cndmask_b32_e32 v15, v0, v1, vcc
; %bb.9036:                             ;   in Loop: Header=BB6_5473 Depth=4
	s_or_b64 exec, exec, s[30:31]
.LBB6_9037:                             ;   in Loop: Header=BB6_5473 Depth=4
	s_or_b64 exec, exec, s[28:29]
	v_lshrrev_b16_e32 v0, 8, v4
	v_cmp_ne_u16_e32 vcc, 0, v0
	v_mov_b32_e32 v2, 0
	v_mov_b32_e32 v20, 0
	s_and_saveexec_b64 s[28:29], vcc
	s_cbranch_execz .LBB6_9045
; %bb.9038:                             ;   in Loop: Header=BB6_5473 Depth=4
	v_cmp_ne_u16_e32 vcc, s97, v0
	v_bfrev_b32_e32 v20, 1
	s_and_saveexec_b64 s[30:31], vcc
	s_cbranch_execz .LBB6_9044
; %bb.9039:                             ;   in Loop: Header=BB6_5473 Depth=4
	v_and_b32_e32 v1, 0x7c, v0
	v_and_b32_e32 v6, 3, v0
	v_cmp_ne_u32_e32 vcc, s86, v1
                                        ; implicit-def: $vgpr20
	s_and_saveexec_b64 s[62:63], vcc
	s_xor_b64 s[34:35], exec, s[62:63]
	s_cbranch_execz .LBB6_9041
; %bb.9040:                             ;   in Loop: Header=BB6_5473 Depth=4
	v_ffbh_u32_e32 v21, v6
	v_min_u32_e32 v21, 32, v21
	v_mov_b32_e32 v1, v33
	v_subrev_u32_e32 v22, 29, v21
	v_bfe_u32 v20, v0, 2, 5
	v_lshlrev_b64 v[0:1], v22, v[0:1]
	v_sub_u32_e32 v1, 30, v21
	v_cmp_eq_u32_e32 vcc, 0, v20
	v_lshlrev_b32_e32 v4, 16, v4
	v_and_b32_e32 v0, 3, v0
	v_cndmask_b32_e32 v1, v20, v1, vcc
	v_and_b32_e32 v4, 0x80000000, v4
	v_cndmask_b32_e32 v0, v6, v0, vcc
	v_lshl_add_u32 v1, v1, 23, v4
	v_lshl_or_b32 v0, v0, 21, v1
	v_add_u32_e32 v20, 0x38000000, v0
                                        ; implicit-def: $vgpr6
                                        ; implicit-def: $vgpr4
.LBB6_9041:                             ;   in Loop: Header=BB6_5473 Depth=4
	s_andn2_saveexec_b64 s[34:35], s[34:35]
; %bb.9042:                             ;   in Loop: Header=BB6_5473 Depth=4
	v_cmp_lt_i16_e32 vcc, -1, v4
	v_mov_b32_e32 v0, 0xff800000
	v_mov_b32_e32 v1, 0x7f800000
	v_cndmask_b32_e32 v0, v0, v1, vcc
	v_cmp_eq_u32_e32 vcc, 0, v6
	v_mov_b32_e32 v1, 0x7f800001
	v_cndmask_b32_e32 v20, v1, v0, vcc
; %bb.9043:                             ;   in Loop: Header=BB6_5473 Depth=4
	s_or_b64 exec, exec, s[34:35]
.LBB6_9044:                             ;   in Loop: Header=BB6_5473 Depth=4
	s_or_b64 exec, exec, s[30:31]
.LBB6_9045:                             ;   in Loop: Header=BB6_5473 Depth=4
	s_or_b64 exec, exec, s[28:29]
	v_lshrrev_b16_e32 v0, 8, v8
	v_cmp_ne_u16_e32 vcc, 0, v0
	s_and_saveexec_b64 s[28:29], vcc
	s_cbranch_execz .LBB6_9053
; %bb.9046:                             ;   in Loop: Header=BB6_5473 Depth=4
	v_cmp_ne_u16_e32 vcc, s97, v0
	v_bfrev_b32_e32 v2, 1
	s_and_saveexec_b64 s[30:31], vcc
	s_cbranch_execz .LBB6_9052
; %bb.9047:                             ;   in Loop: Header=BB6_5473 Depth=4
	v_and_b32_e32 v1, 0x7c, v0
	v_and_b32_e32 v4, 3, v0
	v_cmp_ne_u32_e32 vcc, s86, v1
                                        ; implicit-def: $vgpr2
	s_and_saveexec_b64 s[62:63], vcc
	s_xor_b64 s[34:35], exec, s[62:63]
	s_cbranch_execz .LBB6_9049
; %bb.9048:                             ;   in Loop: Header=BB6_5473 Depth=4
	v_ffbh_u32_e32 v6, v4
	v_min_u32_e32 v6, 32, v6
	v_mov_b32_e32 v1, v33
	v_subrev_u32_e32 v21, 29, v6
	v_bfe_u32 v2, v0, 2, 5
	v_lshlrev_b64 v[0:1], v21, v[0:1]
	v_sub_u32_e32 v1, 30, v6
	v_cmp_eq_u32_e32 vcc, 0, v2
	v_cndmask_b32_e32 v1, v2, v1, vcc
	v_lshlrev_b32_e32 v2, 16, v8
	v_and_b32_e32 v0, 3, v0
	v_and_b32_e32 v2, 0x80000000, v2
	v_cndmask_b32_e32 v0, v4, v0, vcc
	v_lshl_add_u32 v1, v1, 23, v2
	v_lshl_or_b32 v0, v0, 21, v1
	v_add_u32_e32 v2, 0x38000000, v0
                                        ; implicit-def: $vgpr4
.LBB6_9049:                             ;   in Loop: Header=BB6_5473 Depth=4
	s_andn2_saveexec_b64 s[34:35], s[34:35]
; %bb.9050:                             ;   in Loop: Header=BB6_5473 Depth=4
	v_cmp_lt_i16_e32 vcc, -1, v8
	v_mov_b32_e32 v0, 0xff800000
	v_mov_b32_e32 v1, 0x7f800000
	v_cndmask_b32_e32 v0, v0, v1, vcc
	v_cmp_eq_u32_e32 vcc, 0, v4
	v_mov_b32_e32 v1, 0x7f800001
	v_cndmask_b32_e32 v2, v1, v0, vcc
; %bb.9051:                             ;   in Loop: Header=BB6_5473 Depth=4
	s_or_b64 exec, exec, s[34:35]
.LBB6_9052:                             ;   in Loop: Header=BB6_5473 Depth=4
	s_or_b64 exec, exec, s[30:31]
.LBB6_9053:                             ;   in Loop: Header=BB6_5473 Depth=4
	s_or_b64 exec, exec, s[28:29]
	v_add_f32_e32 v2, v20, v2
	v_and_b32_e32 v20, 0x7f800000, v2
	v_mov_b32_e32 v21, v33
	v_cmp_ne_u64_e32 vcc, s[76:77], v[20:21]
	v_and_b32_e32 v0, 0x7fffff, v2
	v_mov_b32_e32 v1, v33
                                        ; implicit-def: $vgpr37
	s_and_saveexec_b64 s[28:29], vcc
	s_xor_b64 s[30:31], exec, s[28:29]
	s_cbranch_execz .LBB6_9067
; %bb.9054:                             ;   in Loop: Header=BB6_5473 Depth=4
	v_and_b32_e32 v20, 0x7fffffff, v2
	v_mov_b32_e32 v21, v33
	v_cmp_gt_u64_e32 vcc, s[78:79], v[20:21]
	v_and_b32_sdwa v4, v2, s97 dst_sel:DWORD dst_unused:UNUSED_PAD src0_sel:BYTE_3 src1_sel:DWORD
                                        ; implicit-def: $vgpr37
	s_and_saveexec_b64 s[28:29], vcc
	s_xor_b64 s[34:35], exec, s[28:29]
	s_cbranch_execz .LBB6_9064
; %bb.9055:                             ;   in Loop: Header=BB6_5473 Depth=4
	v_mov_b32_e32 v37, 0
	v_cmp_ne_u32_e32 vcc, 0, v2
	s_and_saveexec_b64 s[36:37], vcc
	s_cbranch_execz .LBB6_9063
; %bb.9056:                             ;   in Loop: Header=BB6_5473 Depth=4
	v_bfe_u32 v20, v2, 23, 8
	v_cmp_gt_u32_e64 s[28:29], s47, v20
	v_sub_u32_e32 v2, 0x71, v20
	v_cmp_eq_u32_e32 vcc, 0, v20
	v_cndmask_b32_e64 v2, 0, v2, s[28:29]
	v_mov_b32_e32 v21, 0x70
	v_cndmask_b32_e32 v21, v2, v21, vcc
	v_add_u32_e32 v2, 21, v21
	v_or_b32_e32 v6, 0x800000, v0
	v_lshlrev_b64 v[22:23], v2, -1
	v_cndmask_b32_e32 v0, v6, v0, vcc
	v_add_u32_e32 v2, 20, v21
	v_bfi_b32 v22, v22, 0, v0
	v_lshlrev_b64 v[35:36], v2, 1
	v_lshrrev_b64 v[0:1], v21, v[0:1]
	v_bfi_b32 v23, v23, 0, 0
	v_cmp_eq_u64_e64 s[28:29], v[22:23], v[35:36]
	v_mov_b32_e32 v2, v1
	v_mov_b32_e32 v1, v0
	s_and_saveexec_b64 s[38:39], s[28:29]
; %bb.9057:                             ;   in Loop: Header=BB6_5473 Depth=4
	v_bfe_u32 v1, v0, 21, 1
	v_add_co_u32_e64 v1, s[28:29], v0, v1
	v_add_co_u32_e64 v1, s[28:29], -1, v1
; %bb.9058:                             ;   in Loop: Header=BB6_5473 Depth=4
	s_or_b64 exec, exec, s[38:39]
	v_add_u32_e32 v2, 0xffffff81, v20
	v_mov_b32_e32 v6, 0xffffff82
	v_cndmask_b32_e32 v2, v2, v6, vcc
	v_lshrrev_b32_e32 v6, 23, v0
	v_add3_u32 v20, v21, v2, v6
	v_add_u32_e32 v6, 14, v20
	v_and_b32_e32 v1, 0x1fffff, v1
	v_add_u32_e32 v0, v1, v0
	v_mov_b32_e32 v1, v33
	v_cmp_ne_u32_e32 vcc, 0, v6
                                        ; implicit-def: $vgpr2
	s_and_saveexec_b64 s[28:29], vcc
	s_xor_b64 s[28:29], exec, s[28:29]
; %bb.9059:                             ;   in Loop: Header=BB6_5473 Depth=4
	v_cmp_lt_u64_e32 vcc, s[88:89], v[0:1]
	v_add_u32_e32 v2, 15, v20
	v_cndmask_b32_e32 v2, v6, v2, vcc
	v_cndmask_b32_e64 v6, 0, 1, vcc
	v_lshrrev_b64 v[0:1], v6, v[0:1]
; %bb.9060:                             ;   in Loop: Header=BB6_5473 Depth=4
	s_andn2_saveexec_b64 s[28:29], s[28:29]
; %bb.9061:                             ;   in Loop: Header=BB6_5473 Depth=4
	v_bfe_u32 v2, v0, 23, 1
; %bb.9062:                             ;   in Loop: Header=BB6_5473 Depth=4
	s_or_b64 exec, exec, s[28:29]
	v_lshrrev_b64 v[0:1], 21, v[0:1]
	v_cmp_gt_i32_e32 vcc, 32, v2
	v_cndmask_b32_e32 v1, 0, v1, vcc
	v_cndmask_b32_e32 v0, 3, v0, vcc
	v_cmp_eq_u64_e64 s[28:29], 0, v[0:1]
	v_min_i32_e32 v1, 31, v2
	v_lshlrev_b32_e32 v1, 2, v1
	v_cmp_eq_u32_e32 vcc, 0, v2
	v_and_b32_e32 v1, 0xfc, v1
	v_and_or_b32 v0, v0, 3, v1
	s_and_b64 s[28:29], vcc, s[28:29]
	v_cndmask_b32_e64 v0, v0, 0, s[28:29]
	v_or_b32_e32 v37, v0, v4
.LBB6_9063:                             ;   in Loop: Header=BB6_5473 Depth=4
	s_or_b64 exec, exec, s[36:37]
                                        ; implicit-def: $vgpr4
.LBB6_9064:                             ;   in Loop: Header=BB6_5473 Depth=4
	s_andn2_saveexec_b64 s[28:29], s[34:35]
; %bb.9065:                             ;   in Loop: Header=BB6_5473 Depth=4
	v_or_b32_e32 v37, 0x7b, v4
; %bb.9066:                             ;   in Loop: Header=BB6_5473 Depth=4
	s_or_b64 exec, exec, s[28:29]
                                        ; implicit-def: $vgpr2
                                        ; implicit-def: $vgpr0_vgpr1
.LBB6_9067:                             ;   in Loop: Header=BB6_5473 Depth=4
	s_andn2_saveexec_b64 s[28:29], s[30:31]
	s_cbranch_execz .LBB6_9073
; %bb.9068:                             ;   in Loop: Header=BB6_5473 Depth=4
	v_cmp_ne_u64_e32 vcc, 0, v[0:1]
                                        ; implicit-def: $vgpr37
	s_and_saveexec_b64 s[62:63], vcc
	s_xor_b64 vcc, exec, s[62:63]
; %bb.9069:                             ;   in Loop: Header=BB6_5473 Depth=4
	v_or_b32_sdwa v37, v2, s44 dst_sel:DWORD dst_unused:UNUSED_PAD src0_sel:BYTE_3 src1_sel:DWORD
                                        ; implicit-def: $vgpr2
; %bb.9070:                             ;   in Loop: Header=BB6_5473 Depth=4
	s_andn2_saveexec_b64 s[30:31], vcc
; %bb.9071:                             ;   in Loop: Header=BB6_5473 Depth=4
	v_cmp_lt_i32_e32 vcc, -1, v2
	v_bfrev_b32_e32 v0, 0.5
	v_mov_b32_e32 v1, 0x7c
	v_cndmask_b32_e32 v37, v0, v1, vcc
; %bb.9072:                             ;   in Loop: Header=BB6_5473 Depth=4
	s_or_b64 exec, exec, s[30:31]
.LBB6_9073:                             ;   in Loop: Header=BB6_5473 Depth=4
	s_or_b64 exec, exec, s[28:29]
	v_and_b32_sdwa v4, v32, s96 dst_sel:DWORD dst_unused:UNUSED_PAD src0_sel:WORD_1 src1_sel:DWORD
	v_lshrrev_b32_e32 v0, 16, v32
	v_cmp_ne_u16_e32 vcc, 0, v4
	v_mov_b32_e32 v1, 0
	v_mov_b32_e32 v2, 0
	s_and_saveexec_b64 s[28:29], vcc
	s_cbranch_execz .LBB6_9081
; %bb.9074:                             ;   in Loop: Header=BB6_5473 Depth=4
	v_cmp_ne_u16_e32 vcc, s97, v4
	v_bfrev_b32_e32 v2, 1
	s_and_saveexec_b64 s[30:31], vcc
	s_cbranch_execz .LBB6_9080
; %bb.9075:                             ;   in Loop: Header=BB6_5473 Depth=4
	v_and_b32_e32 v2, 0x7c0000, v32
	v_bfe_u32 v4, v32, 16, 2
	v_cmp_ne_u32_e32 vcc, s45, v2
                                        ; implicit-def: $vgpr2
	s_and_saveexec_b64 s[62:63], vcc
	s_xor_b64 s[34:35], exec, s[62:63]
	s_cbranch_execz .LBB6_9077
; %bb.9076:                             ;   in Loop: Header=BB6_5473 Depth=4
	v_ffbh_u32_e32 v6, v4
	v_min_u32_e32 v6, 32, v6
	v_subrev_u32_e32 v20, 29, v6
	v_lshlrev_b64 v[20:21], v20, v[0:1]
	v_bfe_u32 v2, v32, 18, 5
	v_sub_u32_e32 v0, 30, v6
	v_and_b32_e32 v6, 3, v20
	v_cmp_eq_u32_e32 vcc, 0, v2
	v_cndmask_b32_e32 v0, v2, v0, vcc
	v_cndmask_b32_e32 v2, v4, v6, vcc
	v_lshlrev_b32_e32 v4, 8, v32
	v_and_b32_e32 v4, 0x80000000, v4
	v_lshl_add_u32 v0, v0, 23, v4
	v_lshl_or_b32 v0, v2, 21, v0
	v_add_u32_e32 v2, 0x38000000, v0
                                        ; implicit-def: $vgpr4
                                        ; implicit-def: $vgpr0
.LBB6_9077:                             ;   in Loop: Header=BB6_5473 Depth=4
	s_andn2_saveexec_b64 s[34:35], s[34:35]
; %bb.9078:                             ;   in Loop: Header=BB6_5473 Depth=4
	v_mov_b32_e32 v2, -1
	v_cmp_gt_i16_sdwa vcc, sext(v0), v2 src0_sel:BYTE_0 src1_sel:DWORD
	v_mov_b32_e32 v0, 0xff800000
	v_mov_b32_e32 v2, 0x7f800000
	v_cndmask_b32_e32 v0, v0, v2, vcc
	v_cmp_eq_u32_e32 vcc, 0, v4
	v_mov_b32_e32 v2, 0x7f800001
	v_cndmask_b32_e32 v2, v2, v0, vcc
; %bb.9079:                             ;   in Loop: Header=BB6_5473 Depth=4
	s_or_b64 exec, exec, s[34:35]
.LBB6_9080:                             ;   in Loop: Header=BB6_5473 Depth=4
	s_or_b64 exec, exec, s[30:31]
.LBB6_9081:                             ;   in Loop: Header=BB6_5473 Depth=4
	s_or_b64 exec, exec, s[28:29]
	v_lshrrev_b32_e32 v0, 16, v8
	v_cmp_ne_u16_sdwa s[62:63], v0, v33 src0_sel:BYTE_0 src1_sel:DWORD
	s_and_saveexec_b64 s[28:29], s[62:63]
	s_cbranch_execz .LBB6_9089
; %bb.9082:                             ;   in Loop: Header=BB6_5473 Depth=4
	v_cmp_ne_u16_sdwa s[62:63], v0, s97 src0_sel:BYTE_0 src1_sel:DWORD
	v_bfrev_b32_e32 v1, 1
	s_and_saveexec_b64 s[30:31], s[62:63]
	s_cbranch_execz .LBB6_9088
; %bb.9083:                             ;   in Loop: Header=BB6_5473 Depth=4
	v_and_b32_e32 v1, 0x7c0000, v8
	v_bfe_u32 v4, v8, 16, 2
	v_cmp_ne_u32_e32 vcc, s45, v1
                                        ; implicit-def: $vgpr1
	s_and_saveexec_b64 s[62:63], vcc
	s_xor_b64 s[34:35], exec, s[62:63]
	s_cbranch_execz .LBB6_9085
; %bb.9084:                             ;   in Loop: Header=BB6_5473 Depth=4
	v_ffbh_u32_e32 v1, v4
	v_min_u32_e32 v20, 32, v1
	v_subrev_u32_e32 v1, 29, v20
	v_lshlrev_b64 v[0:1], v1, v[0:1]
	v_bfe_u32 v6, v8, 18, 5
	v_and_b32_e32 v0, 3, v0
	v_cmp_eq_u32_e32 vcc, 0, v6
	v_sub_u32_e32 v1, 30, v20
	v_cndmask_b32_e32 v0, v4, v0, vcc
	v_lshlrev_b32_e32 v4, 8, v8
	v_cndmask_b32_e32 v1, v6, v1, vcc
	v_and_b32_e32 v4, 0x80000000, v4
	v_lshl_add_u32 v1, v1, 23, v4
	v_lshl_or_b32 v0, v0, 21, v1
	v_add_u32_e32 v1, 0x38000000, v0
                                        ; implicit-def: $vgpr4
                                        ; implicit-def: $vgpr0
.LBB6_9085:                             ;   in Loop: Header=BB6_5473 Depth=4
	s_andn2_saveexec_b64 s[34:35], s[34:35]
; %bb.9086:                             ;   in Loop: Header=BB6_5473 Depth=4
	v_mov_b32_e32 v1, -1
	v_cmp_gt_i16_sdwa vcc, sext(v0), v1 src0_sel:BYTE_0 src1_sel:DWORD
	v_mov_b32_e32 v0, 0xff800000
	v_mov_b32_e32 v1, 0x7f800000
	v_cndmask_b32_e32 v0, v0, v1, vcc
	v_cmp_eq_u32_e32 vcc, 0, v4
	v_mov_b32_e32 v1, 0x7f800001
	v_cndmask_b32_e32 v1, v1, v0, vcc
; %bb.9087:                             ;   in Loop: Header=BB6_5473 Depth=4
	s_or_b64 exec, exec, s[34:35]
.LBB6_9088:                             ;   in Loop: Header=BB6_5473 Depth=4
	s_or_b64 exec, exec, s[30:31]
.LBB6_9089:                             ;   in Loop: Header=BB6_5473 Depth=4
	s_or_b64 exec, exec, s[28:29]
	v_add_f32_e32 v2, v2, v1
	v_and_b32_e32 v20, 0x7f800000, v2
	v_mov_b32_e32 v21, v33
	v_cmp_ne_u64_e32 vcc, s[76:77], v[20:21]
	v_and_b32_e32 v0, 0x7fffff, v2
	v_mov_b32_e32 v1, v33
                                        ; implicit-def: $vgpr20
	s_and_saveexec_b64 s[28:29], vcc
	s_xor_b64 s[30:31], exec, s[28:29]
	s_cbranch_execz .LBB6_9103
; %bb.9090:                             ;   in Loop: Header=BB6_5473 Depth=4
	v_and_b32_e32 v20, 0x7fffffff, v2
	v_mov_b32_e32 v21, v33
	v_cmp_gt_u64_e32 vcc, s[78:79], v[20:21]
	v_and_b32_sdwa v4, v2, s97 dst_sel:DWORD dst_unused:UNUSED_PAD src0_sel:BYTE_3 src1_sel:DWORD
                                        ; implicit-def: $vgpr20
	s_and_saveexec_b64 s[28:29], vcc
	s_xor_b64 s[34:35], exec, s[28:29]
	s_cbranch_execz .LBB6_9100
; %bb.9091:                             ;   in Loop: Header=BB6_5473 Depth=4
	v_mov_b32_e32 v20, 0
	v_cmp_ne_u32_e32 vcc, 0, v2
	s_and_saveexec_b64 s[36:37], vcc
	s_cbranch_execz .LBB6_9099
; %bb.9092:                             ;   in Loop: Header=BB6_5473 Depth=4
	v_bfe_u32 v20, v2, 23, 8
	v_cmp_gt_u32_e64 s[28:29], s47, v20
	v_sub_u32_e32 v2, 0x71, v20
	v_cmp_eq_u32_e32 vcc, 0, v20
	v_cndmask_b32_e64 v2, 0, v2, s[28:29]
	v_mov_b32_e32 v21, 0x70
	v_cndmask_b32_e32 v21, v2, v21, vcc
	v_add_u32_e32 v2, 21, v21
	v_or_b32_e32 v6, 0x800000, v0
	v_lshlrev_b64 v[22:23], v2, -1
	v_cndmask_b32_e32 v0, v6, v0, vcc
	v_add_u32_e32 v2, 20, v21
	v_bfi_b32 v22, v22, 0, v0
	v_lshlrev_b64 v[35:36], v2, 1
	v_lshrrev_b64 v[0:1], v21, v[0:1]
	v_bfi_b32 v23, v23, 0, 0
	v_cmp_eq_u64_e64 s[28:29], v[22:23], v[35:36]
	v_mov_b32_e32 v2, v1
	v_mov_b32_e32 v1, v0
	s_and_saveexec_b64 s[38:39], s[28:29]
; %bb.9093:                             ;   in Loop: Header=BB6_5473 Depth=4
	v_bfe_u32 v1, v0, 21, 1
	v_add_co_u32_e64 v1, s[28:29], v0, v1
	v_add_co_u32_e64 v1, s[28:29], -1, v1
; %bb.9094:                             ;   in Loop: Header=BB6_5473 Depth=4
	s_or_b64 exec, exec, s[38:39]
	v_add_u32_e32 v2, 0xffffff81, v20
	v_mov_b32_e32 v6, 0xffffff82
	v_cndmask_b32_e32 v2, v2, v6, vcc
	v_lshrrev_b32_e32 v6, 23, v0
	v_add3_u32 v20, v21, v2, v6
	v_add_u32_e32 v6, 14, v20
	v_and_b32_e32 v1, 0x1fffff, v1
	v_add_u32_e32 v0, v1, v0
	v_mov_b32_e32 v1, v33
	v_cmp_ne_u32_e32 vcc, 0, v6
                                        ; implicit-def: $vgpr2
	s_and_saveexec_b64 s[28:29], vcc
	s_xor_b64 s[28:29], exec, s[28:29]
; %bb.9095:                             ;   in Loop: Header=BB6_5473 Depth=4
	v_cmp_lt_u64_e32 vcc, s[88:89], v[0:1]
	v_add_u32_e32 v2, 15, v20
	v_cndmask_b32_e32 v2, v6, v2, vcc
	v_cndmask_b32_e64 v6, 0, 1, vcc
	v_lshrrev_b64 v[0:1], v6, v[0:1]
; %bb.9096:                             ;   in Loop: Header=BB6_5473 Depth=4
	s_andn2_saveexec_b64 s[28:29], s[28:29]
; %bb.9097:                             ;   in Loop: Header=BB6_5473 Depth=4
	v_bfe_u32 v2, v0, 23, 1
; %bb.9098:                             ;   in Loop: Header=BB6_5473 Depth=4
	s_or_b64 exec, exec, s[28:29]
	v_lshrrev_b64 v[0:1], 21, v[0:1]
	v_cmp_gt_i32_e32 vcc, 32, v2
	v_cndmask_b32_e32 v1, 0, v1, vcc
	v_cndmask_b32_e32 v0, 3, v0, vcc
	v_cmp_eq_u64_e64 s[28:29], 0, v[0:1]
	v_min_i32_e32 v1, 31, v2
	v_lshlrev_b32_e32 v1, 2, v1
	v_cmp_eq_u32_e32 vcc, 0, v2
	v_and_b32_e32 v1, 0xfc, v1
	v_and_or_b32 v0, v0, 3, v1
	s_and_b64 s[28:29], vcc, s[28:29]
	v_cndmask_b32_e64 v0, v0, 0, s[28:29]
	v_or_b32_e32 v20, v0, v4
.LBB6_9099:                             ;   in Loop: Header=BB6_5473 Depth=4
	s_or_b64 exec, exec, s[36:37]
                                        ; implicit-def: $vgpr4
.LBB6_9100:                             ;   in Loop: Header=BB6_5473 Depth=4
	s_andn2_saveexec_b64 s[28:29], s[34:35]
; %bb.9101:                             ;   in Loop: Header=BB6_5473 Depth=4
	v_or_b32_e32 v20, 0x7b, v4
; %bb.9102:                             ;   in Loop: Header=BB6_5473 Depth=4
	s_or_b64 exec, exec, s[28:29]
                                        ; implicit-def: $vgpr2
                                        ; implicit-def: $vgpr0_vgpr1
.LBB6_9103:                             ;   in Loop: Header=BB6_5473 Depth=4
	s_andn2_saveexec_b64 s[28:29], s[30:31]
	s_cbranch_execz .LBB6_9109
; %bb.9104:                             ;   in Loop: Header=BB6_5473 Depth=4
	v_cmp_ne_u64_e32 vcc, 0, v[0:1]
                                        ; implicit-def: $vgpr20
	s_and_saveexec_b64 s[62:63], vcc
	s_xor_b64 vcc, exec, s[62:63]
; %bb.9105:                             ;   in Loop: Header=BB6_5473 Depth=4
	v_or_b32_sdwa v20, v2, s44 dst_sel:DWORD dst_unused:UNUSED_PAD src0_sel:BYTE_3 src1_sel:DWORD
                                        ; implicit-def: $vgpr2
; %bb.9106:                             ;   in Loop: Header=BB6_5473 Depth=4
	s_andn2_saveexec_b64 s[30:31], vcc
; %bb.9107:                             ;   in Loop: Header=BB6_5473 Depth=4
	v_cmp_lt_i32_e32 vcc, -1, v2
	v_bfrev_b32_e32 v0, 0.5
	v_mov_b32_e32 v1, 0x7c
	v_cndmask_b32_e32 v20, v0, v1, vcc
; %bb.9108:                             ;   in Loop: Header=BB6_5473 Depth=4
	s_or_b64 exec, exec, s[30:31]
.LBB6_9109:                             ;   in Loop: Header=BB6_5473 Depth=4
	s_or_b64 exec, exec, s[28:29]
	v_cmp_lt_u32_e32 vcc, s57, v32
	v_mov_b32_e32 v1, 0
	v_mov_b32_e32 v2, 0
	s_and_saveexec_b64 s[28:29], vcc
	s_cbranch_execz .LBB6_9117
; %bb.9110:                             ;   in Loop: Header=BB6_5473 Depth=4
	v_lshrrev_b32_e32 v0, 24, v32
	v_cmp_ne_u32_e32 vcc, s97, v0
	v_bfrev_b32_e32 v2, 1
	s_and_saveexec_b64 s[30:31], vcc
	s_cbranch_execz .LBB6_9116
; %bb.9111:                             ;   in Loop: Header=BB6_5473 Depth=4
	v_and_b32_e32 v2, 0x7c000000, v32
	v_bfe_u32 v4, v32, 24, 2
	v_cmp_ne_u32_e32 vcc, s68, v2
                                        ; implicit-def: $vgpr2
	s_and_saveexec_b64 s[62:63], vcc
	s_xor_b64 s[34:35], exec, s[62:63]
	s_cbranch_execz .LBB6_9113
; %bb.9112:                             ;   in Loop: Header=BB6_5473 Depth=4
	v_ffbh_u32_e32 v6, v4
	v_min_u32_e32 v6, 32, v6
	v_subrev_u32_e32 v21, 29, v6
	v_lshlrev_b64 v[21:22], v21, v[0:1]
	v_bfe_u32 v2, v32, 26, 5
	v_sub_u32_e32 v0, 30, v6
	v_and_b32_e32 v6, 3, v21
	v_cmp_eq_u32_e32 vcc, 0, v2
	v_cndmask_b32_e32 v0, v2, v0, vcc
	v_cndmask_b32_e32 v2, v4, v6, vcc
	v_and_b32_e32 v4, 0x80000000, v32
	v_lshl_add_u32 v0, v0, 23, v4
	v_lshl_or_b32 v0, v2, 21, v0
	v_add_u32_e32 v2, 0x38000000, v0
                                        ; implicit-def: $vgpr4
.LBB6_9113:                             ;   in Loop: Header=BB6_5473 Depth=4
	s_andn2_saveexec_b64 s[34:35], s[34:35]
; %bb.9114:                             ;   in Loop: Header=BB6_5473 Depth=4
	v_cmp_lt_i32_e32 vcc, -1, v32
	v_mov_b32_e32 v0, 0xff800000
	v_mov_b32_e32 v2, 0x7f800000
	v_cndmask_b32_e32 v0, v0, v2, vcc
	v_cmp_eq_u32_e32 vcc, 0, v4
	v_mov_b32_e32 v2, 0x7f800001
	v_cndmask_b32_e32 v2, v2, v0, vcc
; %bb.9115:                             ;   in Loop: Header=BB6_5473 Depth=4
	s_or_b64 exec, exec, s[34:35]
.LBB6_9116:                             ;   in Loop: Header=BB6_5473 Depth=4
	s_or_b64 exec, exec, s[30:31]
.LBB6_9117:                             ;   in Loop: Header=BB6_5473 Depth=4
	s_or_b64 exec, exec, s[28:29]
	v_cmp_lt_u32_e32 vcc, s57, v8
	s_and_saveexec_b64 s[28:29], vcc
	s_cbranch_execz .LBB6_9125
; %bb.9118:                             ;   in Loop: Header=BB6_5473 Depth=4
	v_lshrrev_b32_e32 v0, 24, v8
	v_cmp_ne_u32_e32 vcc, s97, v0
	v_bfrev_b32_e32 v1, 1
	s_and_saveexec_b64 s[30:31], vcc
	s_cbranch_execz .LBB6_9124
; %bb.9119:                             ;   in Loop: Header=BB6_5473 Depth=4
	v_and_b32_e32 v1, 0x7c000000, v8
	v_bfe_u32 v4, v8, 24, 2
	v_cmp_ne_u32_e32 vcc, s68, v1
                                        ; implicit-def: $vgpr1
	s_and_saveexec_b64 s[62:63], vcc
	s_xor_b64 s[34:35], exec, s[62:63]
	s_cbranch_execz .LBB6_9121
; %bb.9120:                             ;   in Loop: Header=BB6_5473 Depth=4
	v_ffbh_u32_e32 v1, v4
	v_min_u32_e32 v21, 32, v1
	v_subrev_u32_e32 v1, 29, v21
	v_lshlrev_b64 v[0:1], v1, v[0:1]
	v_bfe_u32 v6, v8, 26, 5
	v_sub_u32_e32 v1, 30, v21
	v_and_b32_e32 v0, 3, v0
	v_cmp_eq_u32_e32 vcc, 0, v6
	v_cndmask_b32_e32 v1, v6, v1, vcc
	v_cndmask_b32_e32 v0, v4, v0, vcc
	v_and_b32_e32 v4, 0x80000000, v8
	v_lshl_add_u32 v1, v1, 23, v4
	v_lshl_or_b32 v0, v0, 21, v1
	v_add_u32_e32 v1, 0x38000000, v0
                                        ; implicit-def: $vgpr4
.LBB6_9121:                             ;   in Loop: Header=BB6_5473 Depth=4
	s_andn2_saveexec_b64 s[34:35], s[34:35]
; %bb.9122:                             ;   in Loop: Header=BB6_5473 Depth=4
	v_cmp_lt_i32_e32 vcc, -1, v8
	v_mov_b32_e32 v0, 0xff800000
	v_mov_b32_e32 v1, 0x7f800000
	v_cndmask_b32_e32 v0, v0, v1, vcc
	v_cmp_eq_u32_e32 vcc, 0, v4
	v_mov_b32_e32 v1, 0x7f800001
	v_cndmask_b32_e32 v1, v1, v0, vcc
; %bb.9123:                             ;   in Loop: Header=BB6_5473 Depth=4
	s_or_b64 exec, exec, s[34:35]
.LBB6_9124:                             ;   in Loop: Header=BB6_5473 Depth=4
	s_or_b64 exec, exec, s[30:31]
.LBB6_9125:                             ;   in Loop: Header=BB6_5473 Depth=4
	s_or_b64 exec, exec, s[28:29]
	v_add_f32_e32 v0, v2, v1
	v_and_b32_e32 v1, 0x7f800000, v0
	v_mov_b32_e32 v2, v33
	v_cmp_ne_u64_e32 vcc, s[76:77], v[1:2]
	v_and_b32_e32 v32, 0x7fffff, v0
                                        ; implicit-def: $vgpr21
	s_and_saveexec_b64 s[28:29], vcc
	s_xor_b64 s[30:31], exec, s[28:29]
	s_cbranch_execz .LBB6_9139
; %bb.9126:                             ;   in Loop: Header=BB6_5473 Depth=4
	v_and_b32_e32 v1, 0x7fffffff, v0
	v_mov_b32_e32 v2, v33
	v_cmp_gt_u64_e32 vcc, s[78:79], v[1:2]
	v_and_b32_sdwa v4, v0, s97 dst_sel:DWORD dst_unused:UNUSED_PAD src0_sel:BYTE_3 src1_sel:DWORD
                                        ; implicit-def: $vgpr21
	s_and_saveexec_b64 s[28:29], vcc
	s_xor_b64 s[34:35], exec, s[28:29]
	s_cbranch_execz .LBB6_9136
; %bb.9127:                             ;   in Loop: Header=BB6_5473 Depth=4
	v_mov_b32_e32 v21, 0
	v_cmp_ne_u32_e32 vcc, 0, v0
	s_and_saveexec_b64 s[36:37], vcc
	s_cbranch_execz .LBB6_9135
; %bb.9128:                             ;   in Loop: Header=BB6_5473 Depth=4
	v_bfe_u32 v21, v0, 23, 8
	v_cmp_gt_u32_e64 s[28:29], s47, v21
	v_sub_u32_e32 v0, 0x71, v21
	v_cmp_eq_u32_e32 vcc, 0, v21
	v_cndmask_b32_e64 v0, 0, v0, s[28:29]
	v_mov_b32_e32 v2, 0x70
	v_cndmask_b32_e32 v22, v0, v2, vcc
	v_add_u32_e32 v2, 21, v22
	v_or_b32_e32 v1, 0x800000, v32
	v_lshlrev_b64 v[23:24], v2, -1
	v_cndmask_b32_e32 v0, v1, v32, vcc
	v_mov_b32_e32 v1, v33
	v_add_u32_e32 v2, 20, v22
	v_bfi_b32 v23, v23, 0, v0
	v_lshlrev_b64 v[35:36], v2, 1
	v_lshrrev_b64 v[0:1], v22, v[0:1]
	v_bfi_b32 v24, v24, 0, 0
	v_cmp_eq_u64_e64 s[28:29], v[23:24], v[35:36]
	v_mov_b32_e32 v2, v1
	v_mov_b32_e32 v1, v0
	s_and_saveexec_b64 s[38:39], s[28:29]
; %bb.9129:                             ;   in Loop: Header=BB6_5473 Depth=4
	v_bfe_u32 v1, v0, 21, 1
	v_add_co_u32_e64 v1, s[28:29], v0, v1
	v_add_co_u32_e64 v1, s[28:29], -1, v1
; %bb.9130:                             ;   in Loop: Header=BB6_5473 Depth=4
	s_or_b64 exec, exec, s[38:39]
	v_add_u32_e32 v2, 0xffffff81, v21
	v_mov_b32_e32 v6, 0xffffff82
	v_cndmask_b32_e32 v2, v2, v6, vcc
	v_lshrrev_b32_e32 v6, 23, v0
	v_add3_u32 v21, v22, v2, v6
	v_add_u32_e32 v6, 14, v21
	v_and_b32_e32 v1, 0x1fffff, v1
	v_add_u32_e32 v32, v1, v0
	v_cmp_ne_u32_e32 vcc, 0, v6
                                        ; implicit-def: $vgpr0_vgpr1
                                        ; implicit-def: $vgpr2
	s_and_saveexec_b64 s[28:29], vcc
	s_xor_b64 s[28:29], exec, s[28:29]
; %bb.9131:                             ;   in Loop: Header=BB6_5473 Depth=4
	v_cmp_lt_u64_e32 vcc, s[88:89], v[32:33]
	v_add_u32_e32 v0, 15, v21
	v_cndmask_b32_e32 v2, v6, v0, vcc
	v_cndmask_b32_e64 v0, 0, 1, vcc
	v_lshrrev_b64 v[0:1], v0, v[32:33]
; %bb.9132:                             ;   in Loop: Header=BB6_5473 Depth=4
	s_andn2_saveexec_b64 s[28:29], s[28:29]
; %bb.9133:                             ;   in Loop: Header=BB6_5473 Depth=4
	v_mov_b32_e32 v0, v32
	v_mov_b32_e32 v1, v33
	v_bfe_u32 v2, v32, 23, 1
; %bb.9134:                             ;   in Loop: Header=BB6_5473 Depth=4
	s_or_b64 exec, exec, s[28:29]
	v_lshrrev_b64 v[0:1], 21, v[0:1]
	v_cmp_gt_i32_e32 vcc, 32, v2
	v_cndmask_b32_e32 v1, 0, v1, vcc
	v_cndmask_b32_e32 v0, 3, v0, vcc
	v_cmp_eq_u64_e64 s[28:29], 0, v[0:1]
	v_min_i32_e32 v1, 31, v2
	v_lshlrev_b32_e32 v1, 2, v1
	v_cmp_eq_u32_e32 vcc, 0, v2
	v_and_b32_e32 v1, 0xfc, v1
	v_and_or_b32 v0, v0, 3, v1
	s_and_b64 s[28:29], vcc, s[28:29]
	v_cndmask_b32_e64 v0, v0, 0, s[28:29]
	v_or_b32_e32 v21, v0, v4
.LBB6_9135:                             ;   in Loop: Header=BB6_5473 Depth=4
	s_or_b64 exec, exec, s[36:37]
                                        ; implicit-def: $vgpr4
.LBB6_9136:                             ;   in Loop: Header=BB6_5473 Depth=4
	s_andn2_saveexec_b64 s[28:29], s[34:35]
; %bb.9137:                             ;   in Loop: Header=BB6_5473 Depth=4
	v_or_b32_e32 v21, 0x7b, v4
; %bb.9138:                             ;   in Loop: Header=BB6_5473 Depth=4
	s_or_b64 exec, exec, s[28:29]
                                        ; implicit-def: $vgpr0
.LBB6_9139:                             ;   in Loop: Header=BB6_5473 Depth=4
	s_andn2_saveexec_b64 s[28:29], s[30:31]
	s_cbranch_execz .LBB6_9145
; %bb.9140:                             ;   in Loop: Header=BB6_5473 Depth=4
	v_cmp_ne_u64_e32 vcc, 0, v[32:33]
                                        ; implicit-def: $vgpr21
	s_and_saveexec_b64 s[62:63], vcc
	s_xor_b64 vcc, exec, s[62:63]
; %bb.9141:                             ;   in Loop: Header=BB6_5473 Depth=4
	v_or_b32_sdwa v21, v0, s44 dst_sel:DWORD dst_unused:UNUSED_PAD src0_sel:BYTE_3 src1_sel:DWORD
                                        ; implicit-def: $vgpr0
; %bb.9142:                             ;   in Loop: Header=BB6_5473 Depth=4
	s_andn2_saveexec_b64 s[30:31], vcc
; %bb.9143:                             ;   in Loop: Header=BB6_5473 Depth=4
	v_cmp_lt_i32_e32 vcc, -1, v0
	v_bfrev_b32_e32 v0, 0.5
	v_mov_b32_e32 v1, 0x7c
	v_cndmask_b32_e32 v21, v0, v1, vcc
; %bb.9144:                             ;   in Loop: Header=BB6_5473 Depth=4
	s_or_b64 exec, exec, s[30:31]
.LBB6_9145:                             ;   in Loop: Header=BB6_5473 Depth=4
	s_or_b64 exec, exec, s[28:29]
	buffer_load_dword v0, off, s[0:3], s33 offset:156 ; 4-byte Folded Reload
	buffer_load_dword v1, off, s[0:3], s33 offset:196 ; 4-byte Folded Reload
	v_cmp_ne_u32_e32 vcc, 0, v34
	s_waitcnt vmcnt(1)
	v_lshl_or_b32 v4, v0, 8, v34
	buffer_load_dword v0, off, s[0:3], s33 offset:172 ; 4-byte Folded Reload
	s_waitcnt vmcnt(1)
	v_lshlrev_b32_e32 v1, 24, v1
	s_waitcnt vmcnt(0)
	v_lshlrev_b32_e32 v0, 16, v0
	v_or3_b32 v32, v0, v1, v4
	v_mov_b32_e32 v0, 0
	v_mov_b32_e32 v1, 0
	s_and_saveexec_b64 s[30:31], vcc
	s_cbranch_execz .LBB6_9153
; %bb.9146:                             ;   in Loop: Header=BB6_5473 Depth=4
	v_cmp_ne_u32_e32 vcc, s97, v34
	v_bfrev_b32_e32 v1, 1
	s_and_saveexec_b64 s[34:35], vcc
	s_cbranch_execz .LBB6_9152
; %bb.9147:                             ;   in Loop: Header=BB6_5473 Depth=4
	v_and_b32_e32 v1, 0x7c, v34
	v_and_b32_e32 v2, 3, v34
	v_cmp_ne_u32_e32 vcc, s86, v1
                                        ; implicit-def: $vgpr1
	s_and_saveexec_b64 s[28:29], vcc
	s_xor_b64 s[28:29], exec, s[28:29]
	s_cbranch_execz .LBB6_9149
; %bb.9148:                             ;   in Loop: Header=BB6_5473 Depth=4
	v_ffbh_u32_e32 v6, v2
	v_min_u32_e32 v6, 32, v6
	v_bfe_u32 v1, v34, 2, 5
	v_subrev_u32_e32 v22, 29, v6
	v_lshlrev_b64 v[22:23], v22, v[32:33]
	v_sub_u32_e32 v6, 30, v6
	v_cmp_eq_u32_e32 vcc, 0, v1
	v_cndmask_b32_e32 v1, v1, v6, vcc
	v_lshlrev_b32_e32 v6, 24, v34
	v_and_b32_e32 v22, 3, v22
	v_and_b32_e32 v6, 0x80000000, v6
	v_cndmask_b32_e32 v2, v2, v22, vcc
	v_lshl_add_u32 v1, v1, 23, v6
	v_lshl_or_b32 v1, v2, 21, v1
	v_add_u32_e32 v1, 0x38000000, v1
                                        ; implicit-def: $vgpr2
                                        ; implicit-def: $vgpr34
.LBB6_9149:                             ;   in Loop: Header=BB6_5473 Depth=4
	s_andn2_saveexec_b64 s[36:37], s[28:29]
; %bb.9150:                             ;   in Loop: Header=BB6_5473 Depth=4
	v_and_b32_e32 v1, 0x80, v34
	v_cmp_eq_u32_e32 vcc, 0, v2
	v_cmp_eq_u32_e64 s[28:29], 0, v1
	v_mov_b32_e32 v1, 0xff800000
	v_mov_b32_e32 v2, 0x7f800000
	v_cndmask_b32_e64 v1, v1, v2, s[28:29]
	v_mov_b32_e32 v2, 0x7f800001
	v_cndmask_b32_e32 v1, v2, v1, vcc
; %bb.9151:                             ;   in Loop: Header=BB6_5473 Depth=4
	s_or_b64 exec, exec, s[36:37]
.LBB6_9152:                             ;   in Loop: Header=BB6_5473 Depth=4
	s_or_b64 exec, exec, s[34:35]
.LBB6_9153:                             ;   in Loop: Header=BB6_5473 Depth=4
	s_or_b64 exec, exec, s[30:31]
	v_cmp_ne_u16_sdwa s[62:63], v9, v33 src0_sel:BYTE_0 src1_sel:DWORD
	s_and_saveexec_b64 s[28:29], s[62:63]
	s_cbranch_execz .LBB6_9161
; %bb.9154:                             ;   in Loop: Header=BB6_5473 Depth=4
	v_cmp_ne_u16_sdwa s[62:63], v9, s97 src0_sel:BYTE_0 src1_sel:DWORD
	v_bfrev_b32_e32 v0, 1
	s_and_saveexec_b64 s[30:31], s[62:63]
	s_cbranch_execz .LBB6_9160
; %bb.9155:                             ;   in Loop: Header=BB6_5473 Depth=4
	v_and_b32_e32 v0, 0x7c, v9
	v_and_b32_e32 v2, 3, v9
	v_cmp_ne_u32_e32 vcc, s86, v0
                                        ; implicit-def: $vgpr0
	s_and_saveexec_b64 s[62:63], vcc
	s_xor_b64 s[34:35], exec, s[62:63]
	s_cbranch_execz .LBB6_9157
; %bb.9156:                             ;   in Loop: Header=BB6_5473 Depth=4
	v_ffbh_u32_e32 v6, v2
	v_min_u32_e32 v6, 32, v6
	v_mov_b32_e32 v22, v9
	v_mov_b32_e32 v23, v33
	v_bfe_u32 v0, v9, 2, 5
	v_subrev_u32_e32 v24, 29, v6
	v_lshlrev_b64 v[22:23], v24, v[22:23]
	v_sub_u32_e32 v6, 30, v6
	v_cmp_eq_u32_e32 vcc, 0, v0
	v_cndmask_b32_e32 v0, v0, v6, vcc
	v_lshlrev_b32_e32 v6, 24, v9
	v_and_b32_e32 v22, 3, v22
	v_and_b32_e32 v6, 0x80000000, v6
	v_cndmask_b32_e32 v2, v2, v22, vcc
	v_lshl_add_u32 v0, v0, 23, v6
	v_lshl_or_b32 v0, v2, 21, v0
	v_add_u32_e32 v0, 0x38000000, v0
                                        ; implicit-def: $vgpr2
.LBB6_9157:                             ;   in Loop: Header=BB6_5473 Depth=4
	s_andn2_saveexec_b64 s[34:35], s[34:35]
; %bb.9158:                             ;   in Loop: Header=BB6_5473 Depth=4
	v_mov_b32_e32 v0, -1
	v_cmp_gt_i16_sdwa vcc, sext(v9), v0 src0_sel:BYTE_0 src1_sel:DWORD
	v_mov_b32_e32 v0, 0xff800000
	v_mov_b32_e32 v6, 0x7f800000
	v_cndmask_b32_e32 v0, v0, v6, vcc
	v_cmp_eq_u32_e32 vcc, 0, v2
	v_mov_b32_e32 v2, 0x7f800001
	v_cndmask_b32_e32 v0, v2, v0, vcc
; %bb.9159:                             ;   in Loop: Header=BB6_5473 Depth=4
	s_or_b64 exec, exec, s[34:35]
.LBB6_9160:                             ;   in Loop: Header=BB6_5473 Depth=4
	s_or_b64 exec, exec, s[30:31]
.LBB6_9161:                             ;   in Loop: Header=BB6_5473 Depth=4
	s_or_b64 exec, exec, s[28:29]
	v_add_f32_e32 v2, v1, v0
	v_and_b32_e32 v22, 0x7f800000, v2
	v_mov_b32_e32 v23, v33
	v_cmp_ne_u64_e32 vcc, s[76:77], v[22:23]
	v_and_b32_e32 v0, 0x7fffff, v2
	v_mov_b32_e32 v1, v33
                                        ; implicit-def: $vgpr34
	s_and_saveexec_b64 s[28:29], vcc
	s_xor_b64 s[30:31], exec, s[28:29]
	s_cbranch_execz .LBB6_9175
; %bb.9162:                             ;   in Loop: Header=BB6_5473 Depth=4
	v_and_b32_e32 v22, 0x7fffffff, v2
	v_mov_b32_e32 v23, v33
	v_cmp_gt_u64_e32 vcc, s[78:79], v[22:23]
	v_and_b32_sdwa v24, v2, s97 dst_sel:DWORD dst_unused:UNUSED_PAD src0_sel:BYTE_3 src1_sel:DWORD
                                        ; implicit-def: $vgpr34
	s_and_saveexec_b64 s[28:29], vcc
	s_xor_b64 s[34:35], exec, s[28:29]
	s_cbranch_execz .LBB6_9172
; %bb.9163:                             ;   in Loop: Header=BB6_5473 Depth=4
	v_mov_b32_e32 v34, 0
	v_cmp_ne_u32_e32 vcc, 0, v2
	s_and_saveexec_b64 s[36:37], vcc
	s_cbranch_execz .LBB6_9171
; %bb.9164:                             ;   in Loop: Header=BB6_5473 Depth=4
	v_bfe_u32 v22, v2, 23, 8
	v_cmp_gt_u32_e64 s[28:29], s47, v22
	v_sub_u32_e32 v2, 0x71, v22
	v_cmp_eq_u32_e32 vcc, 0, v22
	v_cndmask_b32_e64 v2, 0, v2, s[28:29]
	v_mov_b32_e32 v23, 0x70
	v_cndmask_b32_e32 v30, v2, v23, vcc
	v_add_u32_e32 v2, 21, v30
	v_or_b32_e32 v6, 0x800000, v0
	v_lshlrev_b64 v[34:35], v2, -1
	v_cndmask_b32_e32 v0, v6, v0, vcc
	v_add_u32_e32 v2, 20, v30
	v_bfi_b32 v34, v34, 0, v0
	v_lshlrev_b64 v[38:39], v2, 1
	v_lshrrev_b64 v[0:1], v30, v[0:1]
	v_bfi_b32 v35, v35, 0, 0
	v_cmp_eq_u64_e64 s[28:29], v[34:35], v[38:39]
	v_mov_b32_e32 v2, v1
	v_mov_b32_e32 v1, v0
	s_and_saveexec_b64 s[38:39], s[28:29]
; %bb.9165:                             ;   in Loop: Header=BB6_5473 Depth=4
	v_bfe_u32 v1, v0, 21, 1
	v_add_co_u32_e64 v1, s[28:29], v0, v1
	v_add_co_u32_e64 v1, s[28:29], -1, v1
; %bb.9166:                             ;   in Loop: Header=BB6_5473 Depth=4
	s_or_b64 exec, exec, s[38:39]
	v_add_u32_e32 v2, 0xffffff81, v22
	v_mov_b32_e32 v6, 0xffffff82
	v_cndmask_b32_e32 v2, v2, v6, vcc
	v_lshrrev_b32_e32 v6, 23, v0
	v_add3_u32 v22, v30, v2, v6
	v_add_u32_e32 v6, 14, v22
	v_and_b32_e32 v1, 0x1fffff, v1
	v_add_u32_e32 v0, v1, v0
	v_mov_b32_e32 v1, v33
	v_cmp_ne_u32_e32 vcc, 0, v6
                                        ; implicit-def: $vgpr2
	s_and_saveexec_b64 s[28:29], vcc
	s_xor_b64 s[28:29], exec, s[28:29]
; %bb.9167:                             ;   in Loop: Header=BB6_5473 Depth=4
	v_cmp_lt_u64_e32 vcc, s[88:89], v[0:1]
	v_add_u32_e32 v2, 15, v22
	v_cndmask_b32_e32 v2, v6, v2, vcc
	v_cndmask_b32_e64 v6, 0, 1, vcc
	v_lshrrev_b64 v[0:1], v6, v[0:1]
; %bb.9168:                             ;   in Loop: Header=BB6_5473 Depth=4
	s_andn2_saveexec_b64 s[28:29], s[28:29]
; %bb.9169:                             ;   in Loop: Header=BB6_5473 Depth=4
	v_bfe_u32 v2, v0, 23, 1
; %bb.9170:                             ;   in Loop: Header=BB6_5473 Depth=4
	s_or_b64 exec, exec, s[28:29]
	v_lshrrev_b64 v[0:1], 21, v[0:1]
	v_cmp_gt_i32_e32 vcc, 32, v2
	v_cndmask_b32_e32 v1, 0, v1, vcc
	v_cndmask_b32_e32 v0, 3, v0, vcc
	v_cmp_eq_u64_e64 s[28:29], 0, v[0:1]
	v_min_i32_e32 v1, 31, v2
	v_lshlrev_b32_e32 v1, 2, v1
	v_cmp_eq_u32_e32 vcc, 0, v2
	v_and_b32_e32 v1, 0xfc, v1
	v_and_or_b32 v0, v0, 3, v1
	s_and_b64 s[28:29], vcc, s[28:29]
	v_cndmask_b32_e64 v0, v0, 0, s[28:29]
	v_or_b32_e32 v34, v0, v24
.LBB6_9171:                             ;   in Loop: Header=BB6_5473 Depth=4
	s_or_b64 exec, exec, s[36:37]
                                        ; implicit-def: $vgpr24
.LBB6_9172:                             ;   in Loop: Header=BB6_5473 Depth=4
	s_andn2_saveexec_b64 s[28:29], s[34:35]
; %bb.9173:                             ;   in Loop: Header=BB6_5473 Depth=4
	v_or_b32_e32 v34, 0x7b, v24
; %bb.9174:                             ;   in Loop: Header=BB6_5473 Depth=4
	s_or_b64 exec, exec, s[28:29]
                                        ; implicit-def: $vgpr2
                                        ; implicit-def: $vgpr0_vgpr1
.LBB6_9175:                             ;   in Loop: Header=BB6_5473 Depth=4
	s_andn2_saveexec_b64 s[28:29], s[30:31]
	s_cbranch_execz .LBB6_9181
; %bb.9176:                             ;   in Loop: Header=BB6_5473 Depth=4
	v_cmp_ne_u64_e32 vcc, 0, v[0:1]
                                        ; implicit-def: $vgpr34
	s_and_saveexec_b64 s[62:63], vcc
	s_xor_b64 vcc, exec, s[62:63]
; %bb.9177:                             ;   in Loop: Header=BB6_5473 Depth=4
	v_or_b32_sdwa v34, v2, s44 dst_sel:DWORD dst_unused:UNUSED_PAD src0_sel:BYTE_3 src1_sel:DWORD
                                        ; implicit-def: $vgpr2
; %bb.9178:                             ;   in Loop: Header=BB6_5473 Depth=4
	s_andn2_saveexec_b64 s[30:31], vcc
; %bb.9179:                             ;   in Loop: Header=BB6_5473 Depth=4
	v_cmp_lt_i32_e32 vcc, -1, v2
	v_bfrev_b32_e32 v0, 0.5
	v_mov_b32_e32 v1, 0x7c
	v_cndmask_b32_e32 v34, v0, v1, vcc
; %bb.9180:                             ;   in Loop: Header=BB6_5473 Depth=4
	s_or_b64 exec, exec, s[30:31]
.LBB6_9181:                             ;   in Loop: Header=BB6_5473 Depth=4
	s_or_b64 exec, exec, s[28:29]
	v_lshrrev_b16_e32 v0, 8, v4
	v_cmp_ne_u16_e32 vcc, 0, v0
	v_mov_b32_e32 v2, 0
	v_mov_b32_e32 v22, 0
	s_and_saveexec_b64 s[28:29], vcc
	s_cbranch_execz .LBB6_9189
; %bb.9182:                             ;   in Loop: Header=BB6_5473 Depth=4
	v_cmp_ne_u16_e32 vcc, s97, v0
	v_bfrev_b32_e32 v22, 1
	s_and_saveexec_b64 s[30:31], vcc
	s_cbranch_execz .LBB6_9188
; %bb.9183:                             ;   in Loop: Header=BB6_5473 Depth=4
	v_and_b32_e32 v1, 0x7c, v0
	v_and_b32_e32 v6, 3, v0
	v_cmp_ne_u32_e32 vcc, s86, v1
                                        ; implicit-def: $vgpr22
	s_and_saveexec_b64 s[62:63], vcc
	s_xor_b64 s[34:35], exec, s[62:63]
	s_cbranch_execz .LBB6_9185
; %bb.9184:                             ;   in Loop: Header=BB6_5473 Depth=4
	v_ffbh_u32_e32 v23, v6
	v_min_u32_e32 v23, 32, v23
	v_mov_b32_e32 v1, v33
	v_subrev_u32_e32 v24, 29, v23
	v_bfe_u32 v22, v0, 2, 5
	v_lshlrev_b64 v[0:1], v24, v[0:1]
	v_sub_u32_e32 v1, 30, v23
	v_cmp_eq_u32_e32 vcc, 0, v22
	v_lshlrev_b32_e32 v4, 16, v4
	v_and_b32_e32 v0, 3, v0
	v_cndmask_b32_e32 v1, v22, v1, vcc
	v_and_b32_e32 v4, 0x80000000, v4
	v_cndmask_b32_e32 v0, v6, v0, vcc
	v_lshl_add_u32 v1, v1, 23, v4
	v_lshl_or_b32 v0, v0, 21, v1
	v_add_u32_e32 v22, 0x38000000, v0
                                        ; implicit-def: $vgpr6
                                        ; implicit-def: $vgpr4
.LBB6_9185:                             ;   in Loop: Header=BB6_5473 Depth=4
	s_andn2_saveexec_b64 s[34:35], s[34:35]
; %bb.9186:                             ;   in Loop: Header=BB6_5473 Depth=4
	v_cmp_lt_i16_e32 vcc, -1, v4
	v_mov_b32_e32 v0, 0xff800000
	v_mov_b32_e32 v1, 0x7f800000
	v_cndmask_b32_e32 v0, v0, v1, vcc
	v_cmp_eq_u32_e32 vcc, 0, v6
	v_mov_b32_e32 v1, 0x7f800001
	v_cndmask_b32_e32 v22, v1, v0, vcc
; %bb.9187:                             ;   in Loop: Header=BB6_5473 Depth=4
	s_or_b64 exec, exec, s[34:35]
.LBB6_9188:                             ;   in Loop: Header=BB6_5473 Depth=4
	s_or_b64 exec, exec, s[30:31]
.LBB6_9189:                             ;   in Loop: Header=BB6_5473 Depth=4
	s_or_b64 exec, exec, s[28:29]
	v_lshrrev_b16_e32 v0, 8, v9
	v_cmp_ne_u16_e32 vcc, 0, v0
	s_and_saveexec_b64 s[28:29], vcc
	s_cbranch_execz .LBB6_9197
; %bb.9190:                             ;   in Loop: Header=BB6_5473 Depth=4
	v_cmp_ne_u16_e32 vcc, s97, v0
	v_bfrev_b32_e32 v2, 1
	s_and_saveexec_b64 s[30:31], vcc
	s_cbranch_execz .LBB6_9196
; %bb.9191:                             ;   in Loop: Header=BB6_5473 Depth=4
	v_and_b32_e32 v1, 0x7c, v0
	v_and_b32_e32 v4, 3, v0
	v_cmp_ne_u32_e32 vcc, s86, v1
                                        ; implicit-def: $vgpr2
	s_and_saveexec_b64 s[62:63], vcc
	s_xor_b64 s[34:35], exec, s[62:63]
	s_cbranch_execz .LBB6_9193
; %bb.9192:                             ;   in Loop: Header=BB6_5473 Depth=4
	v_ffbh_u32_e32 v6, v4
	v_min_u32_e32 v6, 32, v6
	v_mov_b32_e32 v1, v33
	v_subrev_u32_e32 v23, 29, v6
	v_bfe_u32 v2, v0, 2, 5
	v_lshlrev_b64 v[0:1], v23, v[0:1]
	v_sub_u32_e32 v1, 30, v6
	v_cmp_eq_u32_e32 vcc, 0, v2
	v_cndmask_b32_e32 v1, v2, v1, vcc
	v_lshlrev_b32_e32 v2, 16, v9
	v_and_b32_e32 v0, 3, v0
	v_and_b32_e32 v2, 0x80000000, v2
	v_cndmask_b32_e32 v0, v4, v0, vcc
	v_lshl_add_u32 v1, v1, 23, v2
	v_lshl_or_b32 v0, v0, 21, v1
	v_add_u32_e32 v2, 0x38000000, v0
                                        ; implicit-def: $vgpr4
.LBB6_9193:                             ;   in Loop: Header=BB6_5473 Depth=4
	s_andn2_saveexec_b64 s[34:35], s[34:35]
; %bb.9194:                             ;   in Loop: Header=BB6_5473 Depth=4
	v_cmp_lt_i16_e32 vcc, -1, v9
	v_mov_b32_e32 v0, 0xff800000
	v_mov_b32_e32 v1, 0x7f800000
	v_cndmask_b32_e32 v0, v0, v1, vcc
	v_cmp_eq_u32_e32 vcc, 0, v4
	v_mov_b32_e32 v1, 0x7f800001
	v_cndmask_b32_e32 v2, v1, v0, vcc
; %bb.9195:                             ;   in Loop: Header=BB6_5473 Depth=4
	s_or_b64 exec, exec, s[34:35]
.LBB6_9196:                             ;   in Loop: Header=BB6_5473 Depth=4
	s_or_b64 exec, exec, s[30:31]
.LBB6_9197:                             ;   in Loop: Header=BB6_5473 Depth=4
	s_or_b64 exec, exec, s[28:29]
	v_add_f32_e32 v2, v22, v2
	v_and_b32_e32 v22, 0x7f800000, v2
	v_mov_b32_e32 v23, v33
	v_cmp_ne_u64_e32 vcc, s[76:77], v[22:23]
	v_and_b32_e32 v0, 0x7fffff, v2
	v_mov_b32_e32 v1, v33
                                        ; implicit-def: $vgpr52
	s_and_saveexec_b64 s[28:29], vcc
	s_xor_b64 s[30:31], exec, s[28:29]
	s_cbranch_execz .LBB6_9211
; %bb.9198:                             ;   in Loop: Header=BB6_5473 Depth=4
	v_and_b32_e32 v22, 0x7fffffff, v2
	v_mov_b32_e32 v23, v33
	v_cmp_gt_u64_e32 vcc, s[78:79], v[22:23]
	v_and_b32_sdwa v4, v2, s97 dst_sel:DWORD dst_unused:UNUSED_PAD src0_sel:BYTE_3 src1_sel:DWORD
                                        ; implicit-def: $vgpr52
	s_and_saveexec_b64 s[28:29], vcc
	s_xor_b64 s[34:35], exec, s[28:29]
	s_cbranch_execz .LBB6_9208
; %bb.9199:                             ;   in Loop: Header=BB6_5473 Depth=4
	v_mov_b32_e32 v52, 0
	v_cmp_ne_u32_e32 vcc, 0, v2
	s_and_saveexec_b64 s[36:37], vcc
	s_cbranch_execz .LBB6_9207
; %bb.9200:                             ;   in Loop: Header=BB6_5473 Depth=4
	v_bfe_u32 v22, v2, 23, 8
	v_cmp_gt_u32_e64 s[28:29], s47, v22
	v_sub_u32_e32 v2, 0x71, v22
	v_cmp_eq_u32_e32 vcc, 0, v22
	v_cndmask_b32_e64 v2, 0, v2, s[28:29]
	v_mov_b32_e32 v23, 0x70
	v_cndmask_b32_e32 v24, v2, v23, vcc
	v_add_u32_e32 v2, 21, v24
	v_or_b32_e32 v6, 0x800000, v0
	v_lshlrev_b64 v[35:36], v2, -1
	v_cndmask_b32_e32 v0, v6, v0, vcc
	v_add_u32_e32 v2, 20, v24
	v_bfi_b32 v35, v35, 0, v0
	v_lshlrev_b64 v[38:39], v2, 1
	v_lshrrev_b64 v[0:1], v24, v[0:1]
	v_bfi_b32 v36, v36, 0, 0
	v_cmp_eq_u64_e64 s[28:29], v[35:36], v[38:39]
	v_mov_b32_e32 v2, v1
	v_mov_b32_e32 v1, v0
	s_and_saveexec_b64 s[38:39], s[28:29]
; %bb.9201:                             ;   in Loop: Header=BB6_5473 Depth=4
	v_bfe_u32 v1, v0, 21, 1
	v_add_co_u32_e64 v1, s[28:29], v0, v1
	v_add_co_u32_e64 v1, s[28:29], -1, v1
; %bb.9202:                             ;   in Loop: Header=BB6_5473 Depth=4
	s_or_b64 exec, exec, s[38:39]
	v_add_u32_e32 v2, 0xffffff81, v22
	v_mov_b32_e32 v6, 0xffffff82
	v_cndmask_b32_e32 v2, v2, v6, vcc
	v_lshrrev_b32_e32 v6, 23, v0
	v_add3_u32 v22, v24, v2, v6
	v_add_u32_e32 v6, 14, v22
	v_and_b32_e32 v1, 0x1fffff, v1
	v_add_u32_e32 v0, v1, v0
	v_mov_b32_e32 v1, v33
	v_cmp_ne_u32_e32 vcc, 0, v6
                                        ; implicit-def: $vgpr2
	s_and_saveexec_b64 s[28:29], vcc
	s_xor_b64 s[28:29], exec, s[28:29]
; %bb.9203:                             ;   in Loop: Header=BB6_5473 Depth=4
	v_cmp_lt_u64_e32 vcc, s[88:89], v[0:1]
	v_add_u32_e32 v2, 15, v22
	v_cndmask_b32_e32 v2, v6, v2, vcc
	v_cndmask_b32_e64 v6, 0, 1, vcc
	v_lshrrev_b64 v[0:1], v6, v[0:1]
; %bb.9204:                             ;   in Loop: Header=BB6_5473 Depth=4
	s_andn2_saveexec_b64 s[28:29], s[28:29]
; %bb.9205:                             ;   in Loop: Header=BB6_5473 Depth=4
	v_bfe_u32 v2, v0, 23, 1
; %bb.9206:                             ;   in Loop: Header=BB6_5473 Depth=4
	s_or_b64 exec, exec, s[28:29]
	v_lshrrev_b64 v[0:1], 21, v[0:1]
	v_cmp_gt_i32_e32 vcc, 32, v2
	v_cndmask_b32_e32 v1, 0, v1, vcc
	v_cndmask_b32_e32 v0, 3, v0, vcc
	v_cmp_eq_u64_e64 s[28:29], 0, v[0:1]
	v_min_i32_e32 v1, 31, v2
	v_lshlrev_b32_e32 v1, 2, v1
	v_cmp_eq_u32_e32 vcc, 0, v2
	v_and_b32_e32 v1, 0xfc, v1
	v_and_or_b32 v0, v0, 3, v1
	s_and_b64 s[28:29], vcc, s[28:29]
	v_cndmask_b32_e64 v0, v0, 0, s[28:29]
	v_or_b32_e32 v52, v0, v4
.LBB6_9207:                             ;   in Loop: Header=BB6_5473 Depth=4
	s_or_b64 exec, exec, s[36:37]
                                        ; implicit-def: $vgpr4
.LBB6_9208:                             ;   in Loop: Header=BB6_5473 Depth=4
	s_andn2_saveexec_b64 s[28:29], s[34:35]
; %bb.9209:                             ;   in Loop: Header=BB6_5473 Depth=4
	v_or_b32_e32 v52, 0x7b, v4
; %bb.9210:                             ;   in Loop: Header=BB6_5473 Depth=4
	s_or_b64 exec, exec, s[28:29]
                                        ; implicit-def: $vgpr2
                                        ; implicit-def: $vgpr0_vgpr1
.LBB6_9211:                             ;   in Loop: Header=BB6_5473 Depth=4
	s_andn2_saveexec_b64 s[28:29], s[30:31]
	s_cbranch_execz .LBB6_9217
; %bb.9212:                             ;   in Loop: Header=BB6_5473 Depth=4
	v_cmp_ne_u64_e32 vcc, 0, v[0:1]
                                        ; implicit-def: $vgpr52
	s_and_saveexec_b64 s[62:63], vcc
	s_xor_b64 vcc, exec, s[62:63]
; %bb.9213:                             ;   in Loop: Header=BB6_5473 Depth=4
	v_or_b32_sdwa v52, v2, s44 dst_sel:DWORD dst_unused:UNUSED_PAD src0_sel:BYTE_3 src1_sel:DWORD
                                        ; implicit-def: $vgpr2
; %bb.9214:                             ;   in Loop: Header=BB6_5473 Depth=4
	s_andn2_saveexec_b64 s[30:31], vcc
; %bb.9215:                             ;   in Loop: Header=BB6_5473 Depth=4
	v_cmp_lt_i32_e32 vcc, -1, v2
	v_bfrev_b32_e32 v0, 0.5
	v_mov_b32_e32 v1, 0x7c
	v_cndmask_b32_e32 v52, v0, v1, vcc
; %bb.9216:                             ;   in Loop: Header=BB6_5473 Depth=4
	s_or_b64 exec, exec, s[30:31]
.LBB6_9217:                             ;   in Loop: Header=BB6_5473 Depth=4
	s_or_b64 exec, exec, s[28:29]
	v_and_b32_sdwa v4, v32, s96 dst_sel:DWORD dst_unused:UNUSED_PAD src0_sel:WORD_1 src1_sel:DWORD
	v_lshrrev_b32_e32 v0, 16, v32
	v_cmp_ne_u16_e32 vcc, 0, v4
	v_mov_b32_e32 v1, 0
	v_mov_b32_e32 v2, 0
	s_and_saveexec_b64 s[28:29], vcc
	s_cbranch_execz .LBB6_9225
; %bb.9218:                             ;   in Loop: Header=BB6_5473 Depth=4
	v_cmp_ne_u16_e32 vcc, s97, v4
	v_bfrev_b32_e32 v2, 1
	s_and_saveexec_b64 s[30:31], vcc
	s_cbranch_execz .LBB6_9224
; %bb.9219:                             ;   in Loop: Header=BB6_5473 Depth=4
	v_and_b32_e32 v2, 0x7c0000, v32
	v_bfe_u32 v4, v32, 16, 2
	v_cmp_ne_u32_e32 vcc, s45, v2
                                        ; implicit-def: $vgpr2
	s_and_saveexec_b64 s[62:63], vcc
	s_xor_b64 s[34:35], exec, s[62:63]
	s_cbranch_execz .LBB6_9221
; %bb.9220:                             ;   in Loop: Header=BB6_5473 Depth=4
	v_ffbh_u32_e32 v6, v4
	v_min_u32_e32 v6, 32, v6
	v_subrev_u32_e32 v22, 29, v6
	v_lshlrev_b64 v[22:23], v22, v[0:1]
	v_bfe_u32 v2, v32, 18, 5
	v_sub_u32_e32 v0, 30, v6
	v_and_b32_e32 v6, 3, v22
	v_cmp_eq_u32_e32 vcc, 0, v2
	v_cndmask_b32_e32 v0, v2, v0, vcc
	v_cndmask_b32_e32 v2, v4, v6, vcc
	v_lshlrev_b32_e32 v4, 8, v32
	v_and_b32_e32 v4, 0x80000000, v4
	v_lshl_add_u32 v0, v0, 23, v4
	v_lshl_or_b32 v0, v2, 21, v0
	v_add_u32_e32 v2, 0x38000000, v0
                                        ; implicit-def: $vgpr4
                                        ; implicit-def: $vgpr0
.LBB6_9221:                             ;   in Loop: Header=BB6_5473 Depth=4
	s_andn2_saveexec_b64 s[34:35], s[34:35]
; %bb.9222:                             ;   in Loop: Header=BB6_5473 Depth=4
	v_mov_b32_e32 v2, -1
	v_cmp_gt_i16_sdwa vcc, sext(v0), v2 src0_sel:BYTE_0 src1_sel:DWORD
	v_mov_b32_e32 v0, 0xff800000
	v_mov_b32_e32 v2, 0x7f800000
	v_cndmask_b32_e32 v0, v0, v2, vcc
	v_cmp_eq_u32_e32 vcc, 0, v4
	v_mov_b32_e32 v2, 0x7f800001
	v_cndmask_b32_e32 v2, v2, v0, vcc
; %bb.9223:                             ;   in Loop: Header=BB6_5473 Depth=4
	s_or_b64 exec, exec, s[34:35]
.LBB6_9224:                             ;   in Loop: Header=BB6_5473 Depth=4
	s_or_b64 exec, exec, s[30:31]
.LBB6_9225:                             ;   in Loop: Header=BB6_5473 Depth=4
	s_or_b64 exec, exec, s[28:29]
	v_lshrrev_b32_e32 v0, 16, v9
	v_cmp_ne_u16_sdwa s[62:63], v0, v33 src0_sel:BYTE_0 src1_sel:DWORD
	s_and_saveexec_b64 s[28:29], s[62:63]
	s_cbranch_execz .LBB6_9233
; %bb.9226:                             ;   in Loop: Header=BB6_5473 Depth=4
	v_cmp_ne_u16_sdwa s[62:63], v0, s97 src0_sel:BYTE_0 src1_sel:DWORD
	v_bfrev_b32_e32 v1, 1
	s_and_saveexec_b64 s[30:31], s[62:63]
	s_cbranch_execz .LBB6_9232
; %bb.9227:                             ;   in Loop: Header=BB6_5473 Depth=4
	v_and_b32_e32 v1, 0x7c0000, v9
	v_bfe_u32 v4, v9, 16, 2
	v_cmp_ne_u32_e32 vcc, s45, v1
                                        ; implicit-def: $vgpr1
	s_and_saveexec_b64 s[62:63], vcc
	s_xor_b64 s[34:35], exec, s[62:63]
	s_cbranch_execz .LBB6_9229
; %bb.9228:                             ;   in Loop: Header=BB6_5473 Depth=4
	v_ffbh_u32_e32 v1, v4
	v_min_u32_e32 v22, 32, v1
	v_subrev_u32_e32 v1, 29, v22
	v_lshlrev_b64 v[0:1], v1, v[0:1]
	v_bfe_u32 v6, v9, 18, 5
	v_and_b32_e32 v0, 3, v0
	v_cmp_eq_u32_e32 vcc, 0, v6
	v_sub_u32_e32 v1, 30, v22
	v_cndmask_b32_e32 v0, v4, v0, vcc
	v_lshlrev_b32_e32 v4, 8, v9
	v_cndmask_b32_e32 v1, v6, v1, vcc
	v_and_b32_e32 v4, 0x80000000, v4
	v_lshl_add_u32 v1, v1, 23, v4
	v_lshl_or_b32 v0, v0, 21, v1
	v_add_u32_e32 v1, 0x38000000, v0
                                        ; implicit-def: $vgpr4
                                        ; implicit-def: $vgpr0
.LBB6_9229:                             ;   in Loop: Header=BB6_5473 Depth=4
	s_andn2_saveexec_b64 s[34:35], s[34:35]
; %bb.9230:                             ;   in Loop: Header=BB6_5473 Depth=4
	v_mov_b32_e32 v1, -1
	v_cmp_gt_i16_sdwa vcc, sext(v0), v1 src0_sel:BYTE_0 src1_sel:DWORD
	v_mov_b32_e32 v0, 0xff800000
	v_mov_b32_e32 v1, 0x7f800000
	v_cndmask_b32_e32 v0, v0, v1, vcc
	v_cmp_eq_u32_e32 vcc, 0, v4
	v_mov_b32_e32 v1, 0x7f800001
	v_cndmask_b32_e32 v1, v1, v0, vcc
; %bb.9231:                             ;   in Loop: Header=BB6_5473 Depth=4
	s_or_b64 exec, exec, s[34:35]
.LBB6_9232:                             ;   in Loop: Header=BB6_5473 Depth=4
	s_or_b64 exec, exec, s[30:31]
.LBB6_9233:                             ;   in Loop: Header=BB6_5473 Depth=4
	s_or_b64 exec, exec, s[28:29]
	v_add_f32_e32 v2, v2, v1
	v_and_b32_e32 v22, 0x7f800000, v2
	v_mov_b32_e32 v23, v33
	v_cmp_ne_u64_e32 vcc, s[76:77], v[22:23]
	v_and_b32_e32 v0, 0x7fffff, v2
	v_mov_b32_e32 v1, v33
                                        ; implicit-def: $vgpr42
	s_and_saveexec_b64 s[28:29], vcc
	s_xor_b64 s[30:31], exec, s[28:29]
	s_cbranch_execz .LBB6_9247
; %bb.9234:                             ;   in Loop: Header=BB6_5473 Depth=4
	v_and_b32_e32 v22, 0x7fffffff, v2
	v_mov_b32_e32 v23, v33
	v_cmp_gt_u64_e32 vcc, s[78:79], v[22:23]
	v_and_b32_sdwa v4, v2, s97 dst_sel:DWORD dst_unused:UNUSED_PAD src0_sel:BYTE_3 src1_sel:DWORD
                                        ; implicit-def: $vgpr42
	s_and_saveexec_b64 s[28:29], vcc
	s_xor_b64 s[34:35], exec, s[28:29]
	s_cbranch_execz .LBB6_9244
; %bb.9235:                             ;   in Loop: Header=BB6_5473 Depth=4
	v_mov_b32_e32 v42, 0
	v_cmp_ne_u32_e32 vcc, 0, v2
	s_and_saveexec_b64 s[36:37], vcc
	s_cbranch_execz .LBB6_9243
; %bb.9236:                             ;   in Loop: Header=BB6_5473 Depth=4
	v_bfe_u32 v22, v2, 23, 8
	v_cmp_gt_u32_e64 s[28:29], s47, v22
	v_sub_u32_e32 v2, 0x71, v22
	v_cmp_eq_u32_e32 vcc, 0, v22
	v_cndmask_b32_e64 v2, 0, v2, s[28:29]
	v_mov_b32_e32 v23, 0x70
	v_cndmask_b32_e32 v24, v2, v23, vcc
	v_add_u32_e32 v2, 21, v24
	v_or_b32_e32 v6, 0x800000, v0
	v_lshlrev_b64 v[35:36], v2, -1
	v_cndmask_b32_e32 v0, v6, v0, vcc
	v_add_u32_e32 v2, 20, v24
	v_bfi_b32 v35, v35, 0, v0
	v_lshlrev_b64 v[38:39], v2, 1
	v_lshrrev_b64 v[0:1], v24, v[0:1]
	v_bfi_b32 v36, v36, 0, 0
	v_cmp_eq_u64_e64 s[28:29], v[35:36], v[38:39]
	v_mov_b32_e32 v2, v1
	v_mov_b32_e32 v1, v0
	s_and_saveexec_b64 s[38:39], s[28:29]
; %bb.9237:                             ;   in Loop: Header=BB6_5473 Depth=4
	v_bfe_u32 v1, v0, 21, 1
	v_add_co_u32_e64 v1, s[28:29], v0, v1
	v_add_co_u32_e64 v1, s[28:29], -1, v1
; %bb.9238:                             ;   in Loop: Header=BB6_5473 Depth=4
	s_or_b64 exec, exec, s[38:39]
	v_add_u32_e32 v2, 0xffffff81, v22
	v_mov_b32_e32 v6, 0xffffff82
	v_cndmask_b32_e32 v2, v2, v6, vcc
	v_lshrrev_b32_e32 v6, 23, v0
	v_add3_u32 v22, v24, v2, v6
	v_add_u32_e32 v6, 14, v22
	v_and_b32_e32 v1, 0x1fffff, v1
	v_add_u32_e32 v0, v1, v0
	v_mov_b32_e32 v1, v33
	v_cmp_ne_u32_e32 vcc, 0, v6
                                        ; implicit-def: $vgpr2
	s_and_saveexec_b64 s[28:29], vcc
	s_xor_b64 s[28:29], exec, s[28:29]
; %bb.9239:                             ;   in Loop: Header=BB6_5473 Depth=4
	v_cmp_lt_u64_e32 vcc, s[88:89], v[0:1]
	v_add_u32_e32 v2, 15, v22
	v_cndmask_b32_e32 v2, v6, v2, vcc
	v_cndmask_b32_e64 v6, 0, 1, vcc
	v_lshrrev_b64 v[0:1], v6, v[0:1]
; %bb.9240:                             ;   in Loop: Header=BB6_5473 Depth=4
	s_andn2_saveexec_b64 s[28:29], s[28:29]
; %bb.9241:                             ;   in Loop: Header=BB6_5473 Depth=4
	v_bfe_u32 v2, v0, 23, 1
; %bb.9242:                             ;   in Loop: Header=BB6_5473 Depth=4
	s_or_b64 exec, exec, s[28:29]
	v_lshrrev_b64 v[0:1], 21, v[0:1]
	v_cmp_gt_i32_e32 vcc, 32, v2
	v_cndmask_b32_e32 v1, 0, v1, vcc
	v_cndmask_b32_e32 v0, 3, v0, vcc
	v_cmp_eq_u64_e64 s[28:29], 0, v[0:1]
	v_min_i32_e32 v1, 31, v2
	v_lshlrev_b32_e32 v1, 2, v1
	v_cmp_eq_u32_e32 vcc, 0, v2
	v_and_b32_e32 v1, 0xfc, v1
	v_and_or_b32 v0, v0, 3, v1
	s_and_b64 s[28:29], vcc, s[28:29]
	v_cndmask_b32_e64 v0, v0, 0, s[28:29]
	v_or_b32_e32 v42, v0, v4
.LBB6_9243:                             ;   in Loop: Header=BB6_5473 Depth=4
	s_or_b64 exec, exec, s[36:37]
                                        ; implicit-def: $vgpr4
.LBB6_9244:                             ;   in Loop: Header=BB6_5473 Depth=4
	s_andn2_saveexec_b64 s[28:29], s[34:35]
; %bb.9245:                             ;   in Loop: Header=BB6_5473 Depth=4
	v_or_b32_e32 v42, 0x7b, v4
; %bb.9246:                             ;   in Loop: Header=BB6_5473 Depth=4
	s_or_b64 exec, exec, s[28:29]
                                        ; implicit-def: $vgpr2
                                        ; implicit-def: $vgpr0_vgpr1
.LBB6_9247:                             ;   in Loop: Header=BB6_5473 Depth=4
	s_andn2_saveexec_b64 s[28:29], s[30:31]
	s_cbranch_execz .LBB6_9253
; %bb.9248:                             ;   in Loop: Header=BB6_5473 Depth=4
	v_cmp_ne_u64_e32 vcc, 0, v[0:1]
                                        ; implicit-def: $vgpr42
	s_and_saveexec_b64 s[62:63], vcc
	s_xor_b64 vcc, exec, s[62:63]
; %bb.9249:                             ;   in Loop: Header=BB6_5473 Depth=4
	v_or_b32_sdwa v42, v2, s44 dst_sel:DWORD dst_unused:UNUSED_PAD src0_sel:BYTE_3 src1_sel:DWORD
                                        ; implicit-def: $vgpr2
; %bb.9250:                             ;   in Loop: Header=BB6_5473 Depth=4
	s_andn2_saveexec_b64 s[30:31], vcc
; %bb.9251:                             ;   in Loop: Header=BB6_5473 Depth=4
	v_cmp_lt_i32_e32 vcc, -1, v2
	v_bfrev_b32_e32 v0, 0.5
	v_mov_b32_e32 v1, 0x7c
	v_cndmask_b32_e32 v42, v0, v1, vcc
; %bb.9252:                             ;   in Loop: Header=BB6_5473 Depth=4
	s_or_b64 exec, exec, s[30:31]
.LBB6_9253:                             ;   in Loop: Header=BB6_5473 Depth=4
	s_or_b64 exec, exec, s[28:29]
	v_cmp_lt_u32_e32 vcc, s57, v32
	v_mov_b32_e32 v1, 0
	v_mov_b32_e32 v2, 0
	s_and_saveexec_b64 s[28:29], vcc
	s_cbranch_execz .LBB6_9261
; %bb.9254:                             ;   in Loop: Header=BB6_5473 Depth=4
	v_lshrrev_b32_e32 v0, 24, v32
	v_cmp_ne_u32_e32 vcc, s97, v0
	v_bfrev_b32_e32 v2, 1
	s_and_saveexec_b64 s[30:31], vcc
	s_cbranch_execz .LBB6_9260
; %bb.9255:                             ;   in Loop: Header=BB6_5473 Depth=4
	v_and_b32_e32 v2, 0x7c000000, v32
	v_bfe_u32 v4, v32, 24, 2
	v_cmp_ne_u32_e32 vcc, s68, v2
                                        ; implicit-def: $vgpr2
	s_and_saveexec_b64 s[62:63], vcc
	s_xor_b64 s[34:35], exec, s[62:63]
	s_cbranch_execz .LBB6_9257
; %bb.9256:                             ;   in Loop: Header=BB6_5473 Depth=4
	v_ffbh_u32_e32 v6, v4
	v_min_u32_e32 v6, 32, v6
	v_subrev_u32_e32 v22, 29, v6
	v_lshlrev_b64 v[22:23], v22, v[0:1]
	v_bfe_u32 v2, v32, 26, 5
	v_sub_u32_e32 v0, 30, v6
	v_and_b32_e32 v6, 3, v22
	v_cmp_eq_u32_e32 vcc, 0, v2
	v_cndmask_b32_e32 v0, v2, v0, vcc
	v_cndmask_b32_e32 v2, v4, v6, vcc
	v_and_b32_e32 v4, 0x80000000, v32
	v_lshl_add_u32 v0, v0, 23, v4
	v_lshl_or_b32 v0, v2, 21, v0
	v_add_u32_e32 v2, 0x38000000, v0
                                        ; implicit-def: $vgpr4
.LBB6_9257:                             ;   in Loop: Header=BB6_5473 Depth=4
	s_andn2_saveexec_b64 s[34:35], s[34:35]
; %bb.9258:                             ;   in Loop: Header=BB6_5473 Depth=4
	v_cmp_lt_i32_e32 vcc, -1, v32
	v_mov_b32_e32 v0, 0xff800000
	v_mov_b32_e32 v2, 0x7f800000
	v_cndmask_b32_e32 v0, v0, v2, vcc
	v_cmp_eq_u32_e32 vcc, 0, v4
	v_mov_b32_e32 v2, 0x7f800001
	v_cndmask_b32_e32 v2, v2, v0, vcc
; %bb.9259:                             ;   in Loop: Header=BB6_5473 Depth=4
	s_or_b64 exec, exec, s[34:35]
.LBB6_9260:                             ;   in Loop: Header=BB6_5473 Depth=4
	s_or_b64 exec, exec, s[30:31]
.LBB6_9261:                             ;   in Loop: Header=BB6_5473 Depth=4
	s_or_b64 exec, exec, s[28:29]
	v_cmp_lt_u64_e32 vcc, s[56:57], v[8:9]
	s_and_saveexec_b64 s[28:29], vcc
	s_cbranch_execz .LBB6_9269
; %bb.9262:                             ;   in Loop: Header=BB6_5473 Depth=4
	v_lshrrev_b32_e32 v0, 24, v9
	v_cmp_ne_u32_e32 vcc, s97, v0
	v_bfrev_b32_e32 v1, 1
	s_and_saveexec_b64 s[30:31], vcc
	s_cbranch_execz .LBB6_9268
; %bb.9263:                             ;   in Loop: Header=BB6_5473 Depth=4
	v_and_b32_e32 v1, 0x7c000000, v9
	v_bfe_u32 v4, v9, 24, 2
	v_cmp_ne_u32_e32 vcc, s68, v1
                                        ; implicit-def: $vgpr1
	s_and_saveexec_b64 s[62:63], vcc
	s_xor_b64 s[34:35], exec, s[62:63]
	s_cbranch_execz .LBB6_9265
; %bb.9264:                             ;   in Loop: Header=BB6_5473 Depth=4
	v_ffbh_u32_e32 v1, v4
	v_min_u32_e32 v22, 32, v1
	v_subrev_u32_e32 v1, 29, v22
	v_lshlrev_b64 v[0:1], v1, v[0:1]
	v_bfe_u32 v6, v9, 26, 5
	v_sub_u32_e32 v1, 30, v22
	v_and_b32_e32 v0, 3, v0
	v_cmp_eq_u32_e32 vcc, 0, v6
	v_cndmask_b32_e32 v1, v6, v1, vcc
	v_cndmask_b32_e32 v0, v4, v0, vcc
	v_and_b32_e32 v4, 0x80000000, v9
	v_lshl_add_u32 v1, v1, 23, v4
	v_lshl_or_b32 v0, v0, 21, v1
	v_add_u32_e32 v1, 0x38000000, v0
                                        ; implicit-def: $vgpr4
.LBB6_9265:                             ;   in Loop: Header=BB6_5473 Depth=4
	s_andn2_saveexec_b64 s[34:35], s[34:35]
; %bb.9266:                             ;   in Loop: Header=BB6_5473 Depth=4
	v_cmp_lt_i64_e32 vcc, -1, v[8:9]
	v_mov_b32_e32 v0, 0xff800000
	v_mov_b32_e32 v1, 0x7f800000
	v_cndmask_b32_e32 v0, v0, v1, vcc
	v_cmp_eq_u32_e32 vcc, 0, v4
	v_mov_b32_e32 v1, 0x7f800001
	v_cndmask_b32_e32 v1, v1, v0, vcc
; %bb.9267:                             ;   in Loop: Header=BB6_5473 Depth=4
	s_or_b64 exec, exec, s[34:35]
.LBB6_9268:                             ;   in Loop: Header=BB6_5473 Depth=4
	s_or_b64 exec, exec, s[30:31]
.LBB6_9269:                             ;   in Loop: Header=BB6_5473 Depth=4
	s_or_b64 exec, exec, s[28:29]
	v_add_f32_e32 v0, v2, v1
	v_and_b32_e32 v1, 0x7f800000, v0
	v_mov_b32_e32 v2, v33
	v_cmp_ne_u64_e32 vcc, s[76:77], v[1:2]
	v_and_b32_e32 v32, 0x7fffff, v0
                                        ; implicit-def: $vgpr8
	s_and_saveexec_b64 s[28:29], vcc
	s_xor_b64 s[30:31], exec, s[28:29]
	s_cbranch_execz .LBB6_9283
; %bb.9270:                             ;   in Loop: Header=BB6_5473 Depth=4
	v_and_b32_e32 v1, 0x7fffffff, v0
	v_mov_b32_e32 v2, v33
	v_cmp_gt_u64_e32 vcc, s[78:79], v[1:2]
	v_and_b32_sdwa v4, v0, s97 dst_sel:DWORD dst_unused:UNUSED_PAD src0_sel:BYTE_3 src1_sel:DWORD
                                        ; implicit-def: $vgpr8
	s_and_saveexec_b64 s[28:29], vcc
	s_xor_b64 s[34:35], exec, s[28:29]
	s_cbranch_execz .LBB6_9280
; %bb.9271:                             ;   in Loop: Header=BB6_5473 Depth=4
	v_mov_b32_e32 v8, 0
	v_cmp_ne_u32_e32 vcc, 0, v0
	s_and_saveexec_b64 s[36:37], vcc
	s_cbranch_execz .LBB6_9279
; %bb.9272:                             ;   in Loop: Header=BB6_5473 Depth=4
	v_bfe_u32 v8, v0, 23, 8
	v_cmp_gt_u32_e64 s[28:29], s47, v8
	v_sub_u32_e32 v0, 0x71, v8
	v_cmp_eq_u32_e32 vcc, 0, v8
	v_cndmask_b32_e64 v0, 0, v0, s[28:29]
	v_mov_b32_e32 v2, 0x70
	v_cndmask_b32_e32 v9, v0, v2, vcc
	v_add_u32_e32 v2, 21, v9
	v_or_b32_e32 v1, 0x800000, v32
	v_lshlrev_b64 v[22:23], v2, -1
	v_cndmask_b32_e32 v0, v1, v32, vcc
	v_mov_b32_e32 v1, v33
	v_add_u32_e32 v2, 20, v9
	v_bfi_b32 v22, v22, 0, v0
	v_lshlrev_b64 v[35:36], v2, 1
	v_lshrrev_b64 v[0:1], v9, v[0:1]
	v_bfi_b32 v23, v23, 0, 0
	v_cmp_eq_u64_e64 s[28:29], v[22:23], v[35:36]
	v_mov_b32_e32 v2, v1
	v_mov_b32_e32 v1, v0
	s_and_saveexec_b64 s[38:39], s[28:29]
; %bb.9273:                             ;   in Loop: Header=BB6_5473 Depth=4
	v_bfe_u32 v1, v0, 21, 1
	v_add_co_u32_e64 v1, s[28:29], v0, v1
	v_add_co_u32_e64 v1, s[28:29], -1, v1
; %bb.9274:                             ;   in Loop: Header=BB6_5473 Depth=4
	s_or_b64 exec, exec, s[38:39]
	v_add_u32_e32 v2, 0xffffff81, v8
	v_mov_b32_e32 v6, 0xffffff82
	v_cndmask_b32_e32 v2, v2, v6, vcc
	v_lshrrev_b32_e32 v6, 23, v0
	v_add3_u32 v8, v9, v2, v6
	v_add_u32_e32 v6, 14, v8
	v_and_b32_e32 v1, 0x1fffff, v1
	v_add_u32_e32 v32, v1, v0
	v_cmp_ne_u32_e32 vcc, 0, v6
                                        ; implicit-def: $vgpr0_vgpr1
                                        ; implicit-def: $vgpr2
	s_and_saveexec_b64 s[28:29], vcc
	s_xor_b64 s[28:29], exec, s[28:29]
; %bb.9275:                             ;   in Loop: Header=BB6_5473 Depth=4
	v_cmp_lt_u64_e32 vcc, s[88:89], v[32:33]
	v_add_u32_e32 v0, 15, v8
	v_cndmask_b32_e32 v2, v6, v0, vcc
	v_cndmask_b32_e64 v0, 0, 1, vcc
	v_lshrrev_b64 v[0:1], v0, v[32:33]
; %bb.9276:                             ;   in Loop: Header=BB6_5473 Depth=4
	s_andn2_saveexec_b64 s[28:29], s[28:29]
; %bb.9277:                             ;   in Loop: Header=BB6_5473 Depth=4
	v_mov_b32_e32 v0, v32
	v_mov_b32_e32 v1, v33
	v_bfe_u32 v2, v32, 23, 1
; %bb.9278:                             ;   in Loop: Header=BB6_5473 Depth=4
	s_or_b64 exec, exec, s[28:29]
	v_lshrrev_b64 v[0:1], 21, v[0:1]
	v_cmp_gt_i32_e32 vcc, 32, v2
	v_cndmask_b32_e32 v1, 0, v1, vcc
	v_cndmask_b32_e32 v0, 3, v0, vcc
	v_cmp_eq_u64_e64 s[28:29], 0, v[0:1]
	v_min_i32_e32 v1, 31, v2
	v_lshlrev_b32_e32 v1, 2, v1
	v_cmp_eq_u32_e32 vcc, 0, v2
	v_and_b32_e32 v1, 0xfc, v1
	v_and_or_b32 v0, v0, 3, v1
	s_and_b64 s[28:29], vcc, s[28:29]
	v_cndmask_b32_e64 v0, v0, 0, s[28:29]
	v_or_b32_e32 v8, v0, v4
.LBB6_9279:                             ;   in Loop: Header=BB6_5473 Depth=4
	s_or_b64 exec, exec, s[36:37]
                                        ; implicit-def: $vgpr4
.LBB6_9280:                             ;   in Loop: Header=BB6_5473 Depth=4
	s_andn2_saveexec_b64 s[28:29], s[34:35]
; %bb.9281:                             ;   in Loop: Header=BB6_5473 Depth=4
	v_or_b32_e32 v8, 0x7b, v4
; %bb.9282:                             ;   in Loop: Header=BB6_5473 Depth=4
	s_or_b64 exec, exec, s[28:29]
                                        ; implicit-def: $vgpr0
.LBB6_9283:                             ;   in Loop: Header=BB6_5473 Depth=4
	s_andn2_saveexec_b64 s[28:29], s[30:31]
	s_cbranch_execz .LBB6_9289
; %bb.9284:                             ;   in Loop: Header=BB6_5473 Depth=4
	v_cmp_ne_u64_e32 vcc, 0, v[32:33]
                                        ; implicit-def: $vgpr8
	s_and_saveexec_b64 s[62:63], vcc
	s_xor_b64 vcc, exec, s[62:63]
; %bb.9285:                             ;   in Loop: Header=BB6_5473 Depth=4
	v_or_b32_sdwa v8, v0, s44 dst_sel:DWORD dst_unused:UNUSED_PAD src0_sel:BYTE_3 src1_sel:DWORD
                                        ; implicit-def: $vgpr0
; %bb.9286:                             ;   in Loop: Header=BB6_5473 Depth=4
	s_andn2_saveexec_b64 s[30:31], vcc
; %bb.9287:                             ;   in Loop: Header=BB6_5473 Depth=4
	v_cmp_lt_i32_e32 vcc, -1, v0
	v_bfrev_b32_e32 v0, 0.5
	v_mov_b32_e32 v1, 0x7c
	v_cndmask_b32_e32 v8, v0, v1, vcc
; %bb.9288:                             ;   in Loop: Header=BB6_5473 Depth=4
	s_or_b64 exec, exec, s[30:31]
.LBB6_9289:                             ;   in Loop: Header=BB6_5473 Depth=4
	s_or_b64 exec, exec, s[28:29]
	buffer_load_dword v0, off, s[0:3], s33 offset:124 ; 4-byte Folded Reload
	buffer_load_dword v1, off, s[0:3], s33 offset:164 ; 4-byte Folded Reload
	v_cmp_ne_u32_e32 vcc, 0, v25
	s_waitcnt vmcnt(1)
	v_lshl_or_b32 v4, v0, 8, v25
	buffer_load_dword v0, off, s[0:3], s33 offset:140 ; 4-byte Folded Reload
	s_waitcnt vmcnt(1)
	v_lshlrev_b32_e32 v1, 24, v1
	s_waitcnt vmcnt(0)
	v_lshlrev_b32_e32 v0, 16, v0
	v_or3_b32 v32, v0, v1, v4
	v_mov_b32_e32 v0, 0
	v_mov_b32_e32 v1, 0
	s_and_saveexec_b64 s[30:31], vcc
	s_cbranch_execz .LBB6_9297
; %bb.9290:                             ;   in Loop: Header=BB6_5473 Depth=4
	v_cmp_ne_u32_e32 vcc, s97, v25
	v_bfrev_b32_e32 v1, 1
	s_and_saveexec_b64 s[34:35], vcc
	s_cbranch_execz .LBB6_9296
; %bb.9291:                             ;   in Loop: Header=BB6_5473 Depth=4
	v_and_b32_e32 v1, 0x7c, v25
	v_and_b32_e32 v2, 3, v25
	v_cmp_ne_u32_e32 vcc, s86, v1
                                        ; implicit-def: $vgpr1
	s_and_saveexec_b64 s[28:29], vcc
	s_xor_b64 s[28:29], exec, s[28:29]
	s_cbranch_execz .LBB6_9293
; %bb.9292:                             ;   in Loop: Header=BB6_5473 Depth=4
	v_ffbh_u32_e32 v6, v2
	v_min_u32_e32 v6, 32, v6
	v_bfe_u32 v1, v25, 2, 5
	v_subrev_u32_e32 v9, 29, v6
	v_lshlrev_b64 v[22:23], v9, v[32:33]
	v_sub_u32_e32 v6, 30, v6
	v_cmp_eq_u32_e32 vcc, 0, v1
	v_cndmask_b32_e32 v1, v1, v6, vcc
	v_lshlrev_b32_e32 v6, 24, v25
	v_and_b32_e32 v9, 3, v22
	v_and_b32_e32 v6, 0x80000000, v6
	v_cndmask_b32_e32 v2, v2, v9, vcc
	v_lshl_add_u32 v1, v1, 23, v6
	v_lshl_or_b32 v1, v2, 21, v1
	v_add_u32_e32 v1, 0x38000000, v1
                                        ; implicit-def: $vgpr2
                                        ; implicit-def: $vgpr25
.LBB6_9293:                             ;   in Loop: Header=BB6_5473 Depth=4
	s_andn2_saveexec_b64 s[36:37], s[28:29]
; %bb.9294:                             ;   in Loop: Header=BB6_5473 Depth=4
	v_and_b32_e32 v1, 0x80, v25
	v_cmp_eq_u32_e32 vcc, 0, v2
	v_cmp_eq_u32_e64 s[28:29], 0, v1
	v_mov_b32_e32 v1, 0xff800000
	v_mov_b32_e32 v2, 0x7f800000
	v_cndmask_b32_e64 v1, v1, v2, s[28:29]
	v_mov_b32_e32 v2, 0x7f800001
	v_cndmask_b32_e32 v1, v2, v1, vcc
; %bb.9295:                             ;   in Loop: Header=BB6_5473 Depth=4
	s_or_b64 exec, exec, s[36:37]
.LBB6_9296:                             ;   in Loop: Header=BB6_5473 Depth=4
	s_or_b64 exec, exec, s[34:35]
.LBB6_9297:                             ;   in Loop: Header=BB6_5473 Depth=4
	s_or_b64 exec, exec, s[30:31]
	v_cmp_ne_u16_sdwa s[62:63], v10, v33 src0_sel:BYTE_0 src1_sel:DWORD
	s_and_saveexec_b64 s[28:29], s[62:63]
	s_cbranch_execz .LBB6_9305
; %bb.9298:                             ;   in Loop: Header=BB6_5473 Depth=4
	v_cmp_ne_u16_sdwa s[62:63], sext(v10), s46 src0_sel:BYTE_0 src1_sel:DWORD
	v_bfrev_b32_e32 v0, 1
	s_and_saveexec_b64 s[30:31], s[62:63]
	s_cbranch_execz .LBB6_9304
; %bb.9299:                             ;   in Loop: Header=BB6_5473 Depth=4
	v_and_b32_e32 v0, 0x7c, v10
	v_and_b32_e32 v2, 3, v10
	v_cmp_ne_u32_e32 vcc, s86, v0
                                        ; implicit-def: $vgpr0
	s_and_saveexec_b64 s[62:63], vcc
	s_xor_b64 s[34:35], exec, s[62:63]
	s_cbranch_execz .LBB6_9301
; %bb.9300:                             ;   in Loop: Header=BB6_5473 Depth=4
	v_ffbh_u32_e32 v6, v2
	v_min_u32_e32 v6, 32, v6
	v_bfe_u32 v0, v10, 2, 5
	v_subrev_u32_e32 v9, 29, v6
	v_lshlrev_b64 v[22:23], v9, v[10:11]
	v_sub_u32_e32 v6, 30, v6
	v_cmp_eq_u32_e32 vcc, 0, v0
	v_cndmask_b32_e32 v0, v0, v6, vcc
	v_lshlrev_b32_e32 v6, 24, v10
	v_and_b32_e32 v9, 3, v22
	v_and_b32_e32 v6, 0x80000000, v6
	v_cndmask_b32_e32 v2, v2, v9, vcc
	v_lshl_add_u32 v0, v0, 23, v6
	v_lshl_or_b32 v0, v2, 21, v0
	v_add_u32_e32 v0, 0x38000000, v0
                                        ; implicit-def: $vgpr2
.LBB6_9301:                             ;   in Loop: Header=BB6_5473 Depth=4
	s_andn2_saveexec_b64 s[34:35], s[34:35]
; %bb.9302:                             ;   in Loop: Header=BB6_5473 Depth=4
	v_mov_b32_e32 v0, -1
	v_cmp_gt_i16_sdwa vcc, sext(v10), v0 src0_sel:BYTE_0 src1_sel:DWORD
	v_mov_b32_e32 v0, 0xff800000
	v_mov_b32_e32 v6, 0x7f800000
	v_cndmask_b32_e32 v0, v0, v6, vcc
	v_cmp_eq_u32_e32 vcc, 0, v2
	v_mov_b32_e32 v2, 0x7f800001
	v_cndmask_b32_e32 v0, v2, v0, vcc
; %bb.9303:                             ;   in Loop: Header=BB6_5473 Depth=4
	s_or_b64 exec, exec, s[34:35]
.LBB6_9304:                             ;   in Loop: Header=BB6_5473 Depth=4
	s_or_b64 exec, exec, s[30:31]
.LBB6_9305:                             ;   in Loop: Header=BB6_5473 Depth=4
	s_or_b64 exec, exec, s[28:29]
	v_add_f32_e32 v2, v1, v0
	v_and_b32_e32 v22, 0x7f800000, v2
	v_mov_b32_e32 v23, v33
	v_cmp_ne_u64_e32 vcc, s[76:77], v[22:23]
	v_and_b32_e32 v0, 0x7fffff, v2
	v_mov_b32_e32 v1, v33
                                        ; implicit-def: $vgpr9
	s_and_saveexec_b64 s[28:29], vcc
	s_xor_b64 s[30:31], exec, s[28:29]
	s_cbranch_execz .LBB6_9319
; %bb.9306:                             ;   in Loop: Header=BB6_5473 Depth=4
	v_and_b32_e32 v22, 0x7fffffff, v2
	v_mov_b32_e32 v23, v33
	v_cmp_gt_u64_e32 vcc, s[78:79], v[22:23]
	v_and_b32_sdwa v24, v2, s97 dst_sel:DWORD dst_unused:UNUSED_PAD src0_sel:BYTE_3 src1_sel:DWORD
                                        ; implicit-def: $vgpr9
	s_and_saveexec_b64 s[28:29], vcc
	s_xor_b64 s[34:35], exec, s[28:29]
	s_cbranch_execz .LBB6_9316
; %bb.9307:                             ;   in Loop: Header=BB6_5473 Depth=4
	v_mov_b32_e32 v9, 0
	v_cmp_ne_u32_e32 vcc, 0, v2
	s_and_saveexec_b64 s[36:37], vcc
	s_cbranch_execz .LBB6_9315
; %bb.9308:                             ;   in Loop: Header=BB6_5473 Depth=4
	v_bfe_u32 v9, v2, 23, 8
	v_cmp_gt_u32_e64 s[28:29], s47, v9
	v_sub_u32_e32 v2, 0x71, v9
	v_cmp_eq_u32_e32 vcc, 0, v9
	v_cndmask_b32_e64 v2, 0, v2, s[28:29]
	v_mov_b32_e32 v22, 0x70
	v_cndmask_b32_e32 v22, v2, v22, vcc
	v_add_u32_e32 v2, 21, v22
	v_or_b32_e32 v6, 0x800000, v0
	v_lshlrev_b64 v[35:36], v2, -1
	v_cndmask_b32_e32 v0, v6, v0, vcc
	v_add_u32_e32 v2, 20, v22
	v_bfi_b32 v35, v35, 0, v0
	v_lshlrev_b64 v[38:39], v2, 1
	v_lshrrev_b64 v[0:1], v22, v[0:1]
	v_bfi_b32 v36, v36, 0, 0
	v_cmp_eq_u64_e64 s[28:29], v[35:36], v[38:39]
	v_mov_b32_e32 v2, v1
	v_mov_b32_e32 v1, v0
	s_and_saveexec_b64 s[38:39], s[28:29]
; %bb.9309:                             ;   in Loop: Header=BB6_5473 Depth=4
	v_bfe_u32 v1, v0, 21, 1
	v_add_co_u32_e64 v1, s[28:29], v0, v1
	v_add_co_u32_e64 v1, s[28:29], -1, v1
; %bb.9310:                             ;   in Loop: Header=BB6_5473 Depth=4
	s_or_b64 exec, exec, s[38:39]
	v_add_u32_e32 v2, 0xffffff81, v9
	v_mov_b32_e32 v6, 0xffffff82
	v_cndmask_b32_e32 v2, v2, v6, vcc
	v_lshrrev_b32_e32 v6, 23, v0
	v_add3_u32 v9, v22, v2, v6
	v_add_u32_e32 v6, 14, v9
	v_and_b32_e32 v1, 0x1fffff, v1
	v_add_u32_e32 v0, v1, v0
	v_mov_b32_e32 v1, v33
	v_cmp_ne_u32_e32 vcc, 0, v6
                                        ; implicit-def: $vgpr2
	s_and_saveexec_b64 s[28:29], vcc
	s_xor_b64 s[28:29], exec, s[28:29]
; %bb.9311:                             ;   in Loop: Header=BB6_5473 Depth=4
	v_cmp_lt_u64_e32 vcc, s[88:89], v[0:1]
	v_add_u32_e32 v2, 15, v9
	v_cndmask_b32_e32 v2, v6, v2, vcc
	v_cndmask_b32_e64 v6, 0, 1, vcc
	v_lshrrev_b64 v[0:1], v6, v[0:1]
; %bb.9312:                             ;   in Loop: Header=BB6_5473 Depth=4
	s_andn2_saveexec_b64 s[28:29], s[28:29]
; %bb.9313:                             ;   in Loop: Header=BB6_5473 Depth=4
	v_bfe_u32 v2, v0, 23, 1
; %bb.9314:                             ;   in Loop: Header=BB6_5473 Depth=4
	s_or_b64 exec, exec, s[28:29]
	v_lshrrev_b64 v[0:1], 21, v[0:1]
	v_cmp_gt_i32_e32 vcc, 32, v2
	v_cndmask_b32_e32 v1, 0, v1, vcc
	v_cndmask_b32_e32 v0, 3, v0, vcc
	v_cmp_eq_u64_e64 s[28:29], 0, v[0:1]
	v_min_i32_e32 v1, 31, v2
	v_lshlrev_b32_e32 v1, 2, v1
	v_cmp_eq_u32_e32 vcc, 0, v2
	v_and_b32_e32 v1, 0xfc, v1
	v_and_or_b32 v0, v0, 3, v1
	s_and_b64 s[28:29], vcc, s[28:29]
	v_cndmask_b32_e64 v0, v0, 0, s[28:29]
	v_or_b32_e32 v9, v0, v24
.LBB6_9315:                             ;   in Loop: Header=BB6_5473 Depth=4
	s_or_b64 exec, exec, s[36:37]
                                        ; implicit-def: $vgpr24
.LBB6_9316:                             ;   in Loop: Header=BB6_5473 Depth=4
	s_andn2_saveexec_b64 s[28:29], s[34:35]
; %bb.9317:                             ;   in Loop: Header=BB6_5473 Depth=4
	v_or_b32_e32 v9, 0x7b, v24
; %bb.9318:                             ;   in Loop: Header=BB6_5473 Depth=4
	s_or_b64 exec, exec, s[28:29]
                                        ; implicit-def: $vgpr2
                                        ; implicit-def: $vgpr0_vgpr1
.LBB6_9319:                             ;   in Loop: Header=BB6_5473 Depth=4
	s_andn2_saveexec_b64 s[28:29], s[30:31]
	s_cbranch_execz .LBB6_9325
; %bb.9320:                             ;   in Loop: Header=BB6_5473 Depth=4
	v_cmp_ne_u64_e32 vcc, 0, v[0:1]
                                        ; implicit-def: $vgpr9
	s_and_saveexec_b64 s[62:63], vcc
	s_xor_b64 vcc, exec, s[62:63]
; %bb.9321:                             ;   in Loop: Header=BB6_5473 Depth=4
	v_or_b32_sdwa v9, v2, s44 dst_sel:DWORD dst_unused:UNUSED_PAD src0_sel:BYTE_3 src1_sel:DWORD
                                        ; implicit-def: $vgpr2
; %bb.9322:                             ;   in Loop: Header=BB6_5473 Depth=4
	s_andn2_saveexec_b64 s[30:31], vcc
; %bb.9323:                             ;   in Loop: Header=BB6_5473 Depth=4
	v_cmp_lt_i32_e32 vcc, -1, v2
	v_bfrev_b32_e32 v0, 0.5
	v_mov_b32_e32 v1, 0x7c
	v_cndmask_b32_e32 v9, v0, v1, vcc
; %bb.9324:                             ;   in Loop: Header=BB6_5473 Depth=4
	s_or_b64 exec, exec, s[30:31]
.LBB6_9325:                             ;   in Loop: Header=BB6_5473 Depth=4
	s_or_b64 exec, exec, s[28:29]
	v_lshrrev_b16_e32 v0, 8, v4
	v_cmp_ne_u16_e32 vcc, 0, v0
	v_mov_b32_e32 v2, 0
	v_mov_b32_e32 v22, 0
	s_and_saveexec_b64 s[28:29], vcc
	s_cbranch_execz .LBB6_9333
; %bb.9326:                             ;   in Loop: Header=BB6_5473 Depth=4
	v_cmp_ne_u16_e32 vcc, s97, v0
	v_bfrev_b32_e32 v22, 1
	s_and_saveexec_b64 s[30:31], vcc
	s_cbranch_execz .LBB6_9332
; %bb.9327:                             ;   in Loop: Header=BB6_5473 Depth=4
	v_and_b32_e32 v1, 0x7c, v0
	v_and_b32_e32 v6, 3, v0
	v_cmp_ne_u32_e32 vcc, s86, v1
                                        ; implicit-def: $vgpr22
	s_and_saveexec_b64 s[62:63], vcc
	s_xor_b64 s[34:35], exec, s[62:63]
	s_cbranch_execz .LBB6_9329
; %bb.9328:                             ;   in Loop: Header=BB6_5473 Depth=4
	v_ffbh_u32_e32 v23, v6
	v_min_u32_e32 v23, 32, v23
	v_mov_b32_e32 v1, v33
	v_subrev_u32_e32 v24, 29, v23
	v_bfe_u32 v22, v0, 2, 5
	v_lshlrev_b64 v[0:1], v24, v[0:1]
	v_sub_u32_e32 v1, 30, v23
	v_cmp_eq_u32_e32 vcc, 0, v22
	v_lshlrev_b32_e32 v4, 16, v4
	v_and_b32_e32 v0, 3, v0
	v_cndmask_b32_e32 v1, v22, v1, vcc
	v_and_b32_e32 v4, 0x80000000, v4
	v_cndmask_b32_e32 v0, v6, v0, vcc
	v_lshl_add_u32 v1, v1, 23, v4
	v_lshl_or_b32 v0, v0, 21, v1
	v_add_u32_e32 v22, 0x38000000, v0
                                        ; implicit-def: $vgpr6
                                        ; implicit-def: $vgpr4
.LBB6_9329:                             ;   in Loop: Header=BB6_5473 Depth=4
	s_andn2_saveexec_b64 s[34:35], s[34:35]
; %bb.9330:                             ;   in Loop: Header=BB6_5473 Depth=4
	v_cmp_lt_i16_e32 vcc, -1, v4
	v_mov_b32_e32 v0, 0xff800000
	v_mov_b32_e32 v1, 0x7f800000
	v_cndmask_b32_e32 v0, v0, v1, vcc
	v_cmp_eq_u32_e32 vcc, 0, v6
	v_mov_b32_e32 v1, 0x7f800001
	v_cndmask_b32_e32 v22, v1, v0, vcc
; %bb.9331:                             ;   in Loop: Header=BB6_5473 Depth=4
	s_or_b64 exec, exec, s[34:35]
.LBB6_9332:                             ;   in Loop: Header=BB6_5473 Depth=4
	s_or_b64 exec, exec, s[30:31]
.LBB6_9333:                             ;   in Loop: Header=BB6_5473 Depth=4
	s_or_b64 exec, exec, s[28:29]
	v_lshrrev_b16_e32 v0, 8, v10
	v_cmp_ne_u16_e32 vcc, 0, v0
	s_and_saveexec_b64 s[28:29], vcc
	s_cbranch_execz .LBB6_9341
; %bb.9334:                             ;   in Loop: Header=BB6_5473 Depth=4
	v_cmp_ne_u16_e32 vcc, s97, v0
	v_bfrev_b32_e32 v2, 1
	s_and_saveexec_b64 s[30:31], vcc
	s_cbranch_execz .LBB6_9340
; %bb.9335:                             ;   in Loop: Header=BB6_5473 Depth=4
	v_and_b32_e32 v1, 0x7c, v0
	v_and_b32_e32 v4, 3, v0
	v_cmp_ne_u32_e32 vcc, s86, v1
                                        ; implicit-def: $vgpr2
	s_and_saveexec_b64 s[62:63], vcc
	s_xor_b64 s[34:35], exec, s[62:63]
	s_cbranch_execz .LBB6_9337
; %bb.9336:                             ;   in Loop: Header=BB6_5473 Depth=4
	v_ffbh_u32_e32 v6, v4
	v_min_u32_e32 v6, 32, v6
	v_mov_b32_e32 v1, v33
	v_subrev_u32_e32 v23, 29, v6
	v_bfe_u32 v2, v0, 2, 5
	v_lshlrev_b64 v[0:1], v23, v[0:1]
	v_sub_u32_e32 v1, 30, v6
	v_cmp_eq_u32_e32 vcc, 0, v2
	v_cndmask_b32_e32 v1, v2, v1, vcc
	v_lshlrev_b32_e32 v2, 16, v10
	v_and_b32_e32 v0, 3, v0
	v_and_b32_e32 v2, 0x80000000, v2
	v_cndmask_b32_e32 v0, v4, v0, vcc
	v_lshl_add_u32 v1, v1, 23, v2
	v_lshl_or_b32 v0, v0, 21, v1
	v_add_u32_e32 v2, 0x38000000, v0
                                        ; implicit-def: $vgpr4
.LBB6_9337:                             ;   in Loop: Header=BB6_5473 Depth=4
	s_andn2_saveexec_b64 s[34:35], s[34:35]
; %bb.9338:                             ;   in Loop: Header=BB6_5473 Depth=4
	v_cmp_lt_i16_e32 vcc, -1, v10
	v_mov_b32_e32 v0, 0xff800000
	v_mov_b32_e32 v1, 0x7f800000
	v_cndmask_b32_e32 v0, v0, v1, vcc
	v_cmp_eq_u32_e32 vcc, 0, v4
	v_mov_b32_e32 v1, 0x7f800001
	v_cndmask_b32_e32 v2, v1, v0, vcc
; %bb.9339:                             ;   in Loop: Header=BB6_5473 Depth=4
	s_or_b64 exec, exec, s[34:35]
.LBB6_9340:                             ;   in Loop: Header=BB6_5473 Depth=4
	s_or_b64 exec, exec, s[30:31]
.LBB6_9341:                             ;   in Loop: Header=BB6_5473 Depth=4
	s_or_b64 exec, exec, s[28:29]
	v_add_f32_e32 v2, v22, v2
	v_and_b32_e32 v22, 0x7f800000, v2
	v_mov_b32_e32 v23, v33
	v_cmp_ne_u64_e32 vcc, s[76:77], v[22:23]
	v_and_b32_e32 v0, 0x7fffff, v2
	v_mov_b32_e32 v1, v33
                                        ; implicit-def: $vgpr25
	s_and_saveexec_b64 s[28:29], vcc
	s_xor_b64 s[30:31], exec, s[28:29]
	s_cbranch_execz .LBB6_9355
; %bb.9342:                             ;   in Loop: Header=BB6_5473 Depth=4
	v_and_b32_e32 v22, 0x7fffffff, v2
	v_mov_b32_e32 v23, v33
	v_cmp_gt_u64_e32 vcc, s[78:79], v[22:23]
	v_and_b32_sdwa v4, v2, s97 dst_sel:DWORD dst_unused:UNUSED_PAD src0_sel:BYTE_3 src1_sel:DWORD
                                        ; implicit-def: $vgpr25
	s_and_saveexec_b64 s[28:29], vcc
	s_xor_b64 s[34:35], exec, s[28:29]
	s_cbranch_execz .LBB6_9352
; %bb.9343:                             ;   in Loop: Header=BB6_5473 Depth=4
	v_mov_b32_e32 v25, 0
	v_cmp_ne_u32_e32 vcc, 0, v2
	s_and_saveexec_b64 s[36:37], vcc
	s_cbranch_execz .LBB6_9351
; %bb.9344:                             ;   in Loop: Header=BB6_5473 Depth=4
	v_bfe_u32 v22, v2, 23, 8
	v_cmp_gt_u32_e64 s[28:29], s47, v22
	v_sub_u32_e32 v2, 0x71, v22
	v_cmp_eq_u32_e32 vcc, 0, v22
	v_cndmask_b32_e64 v2, 0, v2, s[28:29]
	v_mov_b32_e32 v23, 0x70
	v_cndmask_b32_e32 v24, v2, v23, vcc
	v_add_u32_e32 v2, 21, v24
	v_or_b32_e32 v6, 0x800000, v0
	v_lshlrev_b64 v[35:36], v2, -1
	v_cndmask_b32_e32 v0, v6, v0, vcc
	v_add_u32_e32 v2, 20, v24
	v_bfi_b32 v35, v35, 0, v0
	v_lshlrev_b64 v[38:39], v2, 1
	v_lshrrev_b64 v[0:1], v24, v[0:1]
	v_bfi_b32 v36, v36, 0, 0
	v_cmp_eq_u64_e64 s[28:29], v[35:36], v[38:39]
	v_mov_b32_e32 v2, v1
	v_mov_b32_e32 v1, v0
	s_and_saveexec_b64 s[38:39], s[28:29]
; %bb.9345:                             ;   in Loop: Header=BB6_5473 Depth=4
	v_bfe_u32 v1, v0, 21, 1
	v_add_co_u32_e64 v1, s[28:29], v0, v1
	v_add_co_u32_e64 v1, s[28:29], -1, v1
; %bb.9346:                             ;   in Loop: Header=BB6_5473 Depth=4
	s_or_b64 exec, exec, s[38:39]
	v_add_u32_e32 v2, 0xffffff81, v22
	v_mov_b32_e32 v6, 0xffffff82
	v_cndmask_b32_e32 v2, v2, v6, vcc
	v_lshrrev_b32_e32 v6, 23, v0
	v_add3_u32 v22, v24, v2, v6
	v_add_u32_e32 v6, 14, v22
	v_and_b32_e32 v1, 0x1fffff, v1
	v_add_u32_e32 v0, v1, v0
	v_mov_b32_e32 v1, v33
	v_cmp_ne_u32_e32 vcc, 0, v6
                                        ; implicit-def: $vgpr2
	s_and_saveexec_b64 s[28:29], vcc
	s_xor_b64 s[28:29], exec, s[28:29]
; %bb.9347:                             ;   in Loop: Header=BB6_5473 Depth=4
	v_cmp_lt_u64_e32 vcc, s[88:89], v[0:1]
	v_add_u32_e32 v2, 15, v22
	v_cndmask_b32_e32 v2, v6, v2, vcc
	v_cndmask_b32_e64 v6, 0, 1, vcc
	v_lshrrev_b64 v[0:1], v6, v[0:1]
; %bb.9348:                             ;   in Loop: Header=BB6_5473 Depth=4
	s_andn2_saveexec_b64 s[28:29], s[28:29]
; %bb.9349:                             ;   in Loop: Header=BB6_5473 Depth=4
	v_bfe_u32 v2, v0, 23, 1
; %bb.9350:                             ;   in Loop: Header=BB6_5473 Depth=4
	s_or_b64 exec, exec, s[28:29]
	v_lshrrev_b64 v[0:1], 21, v[0:1]
	v_cmp_gt_i32_e32 vcc, 32, v2
	v_cndmask_b32_e32 v1, 0, v1, vcc
	v_cndmask_b32_e32 v0, 3, v0, vcc
	v_cmp_eq_u64_e64 s[28:29], 0, v[0:1]
	v_min_i32_e32 v1, 31, v2
	v_lshlrev_b32_e32 v1, 2, v1
	v_cmp_eq_u32_e32 vcc, 0, v2
	v_and_b32_e32 v1, 0xfc, v1
	v_and_or_b32 v0, v0, 3, v1
	s_and_b64 s[28:29], vcc, s[28:29]
	v_cndmask_b32_e64 v0, v0, 0, s[28:29]
	v_or_b32_e32 v25, v0, v4
.LBB6_9351:                             ;   in Loop: Header=BB6_5473 Depth=4
	s_or_b64 exec, exec, s[36:37]
                                        ; implicit-def: $vgpr4
.LBB6_9352:                             ;   in Loop: Header=BB6_5473 Depth=4
	s_andn2_saveexec_b64 s[28:29], s[34:35]
; %bb.9353:                             ;   in Loop: Header=BB6_5473 Depth=4
	v_or_b32_e32 v25, 0x7b, v4
; %bb.9354:                             ;   in Loop: Header=BB6_5473 Depth=4
	s_or_b64 exec, exec, s[28:29]
                                        ; implicit-def: $vgpr2
                                        ; implicit-def: $vgpr0_vgpr1
.LBB6_9355:                             ;   in Loop: Header=BB6_5473 Depth=4
	s_andn2_saveexec_b64 s[28:29], s[30:31]
	s_cbranch_execz .LBB6_9361
; %bb.9356:                             ;   in Loop: Header=BB6_5473 Depth=4
	v_cmp_ne_u64_e32 vcc, 0, v[0:1]
                                        ; implicit-def: $vgpr25
	s_and_saveexec_b64 s[62:63], vcc
	s_xor_b64 vcc, exec, s[62:63]
; %bb.9357:                             ;   in Loop: Header=BB6_5473 Depth=4
	v_or_b32_sdwa v25, v2, s44 dst_sel:DWORD dst_unused:UNUSED_PAD src0_sel:BYTE_3 src1_sel:DWORD
                                        ; implicit-def: $vgpr2
; %bb.9358:                             ;   in Loop: Header=BB6_5473 Depth=4
	s_andn2_saveexec_b64 s[30:31], vcc
; %bb.9359:                             ;   in Loop: Header=BB6_5473 Depth=4
	v_cmp_lt_i32_e32 vcc, -1, v2
	v_bfrev_b32_e32 v0, 0.5
	v_mov_b32_e32 v1, 0x7c
	v_cndmask_b32_e32 v25, v0, v1, vcc
; %bb.9360:                             ;   in Loop: Header=BB6_5473 Depth=4
	s_or_b64 exec, exec, s[30:31]
.LBB6_9361:                             ;   in Loop: Header=BB6_5473 Depth=4
	s_or_b64 exec, exec, s[28:29]
	v_and_b32_sdwa v4, v32, s96 dst_sel:DWORD dst_unused:UNUSED_PAD src0_sel:WORD_1 src1_sel:DWORD
	v_lshrrev_b32_e32 v0, 16, v32
	v_cmp_ne_u16_e32 vcc, 0, v4
	v_mov_b32_e32 v1, 0
	v_mov_b32_e32 v2, 0
	s_and_saveexec_b64 s[28:29], vcc
	s_cbranch_execz .LBB6_9369
; %bb.9362:                             ;   in Loop: Header=BB6_5473 Depth=4
	v_cmp_ne_u16_e32 vcc, s97, v4
	v_bfrev_b32_e32 v2, 1
	s_and_saveexec_b64 s[30:31], vcc
	s_cbranch_execz .LBB6_9368
; %bb.9363:                             ;   in Loop: Header=BB6_5473 Depth=4
	v_and_b32_e32 v2, 0x7c0000, v32
	v_bfe_u32 v4, v32, 16, 2
	v_cmp_ne_u32_e32 vcc, s45, v2
                                        ; implicit-def: $vgpr2
	s_and_saveexec_b64 s[62:63], vcc
	s_xor_b64 s[34:35], exec, s[62:63]
	s_cbranch_execz .LBB6_9365
; %bb.9364:                             ;   in Loop: Header=BB6_5473 Depth=4
	v_ffbh_u32_e32 v6, v4
	v_min_u32_e32 v6, 32, v6
	v_subrev_u32_e32 v22, 29, v6
	v_lshlrev_b64 v[22:23], v22, v[0:1]
	v_bfe_u32 v2, v32, 18, 5
	v_sub_u32_e32 v0, 30, v6
	v_and_b32_e32 v6, 3, v22
	v_cmp_eq_u32_e32 vcc, 0, v2
	v_cndmask_b32_e32 v0, v2, v0, vcc
	v_cndmask_b32_e32 v2, v4, v6, vcc
	v_lshlrev_b32_e32 v4, 8, v32
	v_and_b32_e32 v4, 0x80000000, v4
	v_lshl_add_u32 v0, v0, 23, v4
	v_lshl_or_b32 v0, v2, 21, v0
	v_add_u32_e32 v2, 0x38000000, v0
                                        ; implicit-def: $vgpr4
                                        ; implicit-def: $vgpr0
.LBB6_9365:                             ;   in Loop: Header=BB6_5473 Depth=4
	s_andn2_saveexec_b64 s[34:35], s[34:35]
; %bb.9366:                             ;   in Loop: Header=BB6_5473 Depth=4
	v_mov_b32_e32 v2, -1
	v_cmp_gt_i16_sdwa vcc, sext(v0), v2 src0_sel:BYTE_0 src1_sel:DWORD
	v_mov_b32_e32 v0, 0xff800000
	v_mov_b32_e32 v2, 0x7f800000
	v_cndmask_b32_e32 v0, v0, v2, vcc
	v_cmp_eq_u32_e32 vcc, 0, v4
	v_mov_b32_e32 v2, 0x7f800001
	v_cndmask_b32_e32 v2, v2, v0, vcc
; %bb.9367:                             ;   in Loop: Header=BB6_5473 Depth=4
	s_or_b64 exec, exec, s[34:35]
.LBB6_9368:                             ;   in Loop: Header=BB6_5473 Depth=4
	s_or_b64 exec, exec, s[30:31]
.LBB6_9369:                             ;   in Loop: Header=BB6_5473 Depth=4
	s_or_b64 exec, exec, s[28:29]
	v_lshrrev_b32_e32 v0, 16, v10
	v_cmp_ne_u16_sdwa s[62:63], v0, v33 src0_sel:BYTE_0 src1_sel:DWORD
	s_and_saveexec_b64 s[28:29], s[62:63]
	s_cbranch_execz .LBB6_9377
; %bb.9370:                             ;   in Loop: Header=BB6_5473 Depth=4
	v_cmp_ne_u16_sdwa s[62:63], v0, s97 src0_sel:BYTE_0 src1_sel:DWORD
	v_bfrev_b32_e32 v1, 1
	s_and_saveexec_b64 s[30:31], s[62:63]
	s_cbranch_execz .LBB6_9376
; %bb.9371:                             ;   in Loop: Header=BB6_5473 Depth=4
	v_and_b32_e32 v1, 0x7c0000, v10
	v_bfe_u32 v4, v10, 16, 2
	v_cmp_ne_u32_e32 vcc, s45, v1
                                        ; implicit-def: $vgpr1
	s_and_saveexec_b64 s[62:63], vcc
	s_xor_b64 s[34:35], exec, s[62:63]
	s_cbranch_execz .LBB6_9373
; %bb.9372:                             ;   in Loop: Header=BB6_5473 Depth=4
	v_ffbh_u32_e32 v1, v4
	v_min_u32_e32 v22, 32, v1
	v_subrev_u32_e32 v1, 29, v22
	v_lshlrev_b64 v[0:1], v1, v[0:1]
	v_bfe_u32 v6, v10, 18, 5
	v_and_b32_e32 v0, 3, v0
	v_cmp_eq_u32_e32 vcc, 0, v6
	v_sub_u32_e32 v1, 30, v22
	v_cndmask_b32_e32 v0, v4, v0, vcc
	v_lshlrev_b32_e32 v4, 8, v10
	v_cndmask_b32_e32 v1, v6, v1, vcc
	v_and_b32_e32 v4, 0x80000000, v4
	v_lshl_add_u32 v1, v1, 23, v4
	v_lshl_or_b32 v0, v0, 21, v1
	v_add_u32_e32 v1, 0x38000000, v0
                                        ; implicit-def: $vgpr4
                                        ; implicit-def: $vgpr0
.LBB6_9373:                             ;   in Loop: Header=BB6_5473 Depth=4
	s_andn2_saveexec_b64 s[34:35], s[34:35]
; %bb.9374:                             ;   in Loop: Header=BB6_5473 Depth=4
	v_mov_b32_e32 v1, -1
	v_cmp_gt_i16_sdwa vcc, sext(v0), v1 src0_sel:BYTE_0 src1_sel:DWORD
	v_mov_b32_e32 v0, 0xff800000
	v_mov_b32_e32 v1, 0x7f800000
	v_cndmask_b32_e32 v0, v0, v1, vcc
	v_cmp_eq_u32_e32 vcc, 0, v4
	v_mov_b32_e32 v1, 0x7f800001
	v_cndmask_b32_e32 v1, v1, v0, vcc
; %bb.9375:                             ;   in Loop: Header=BB6_5473 Depth=4
	s_or_b64 exec, exec, s[34:35]
.LBB6_9376:                             ;   in Loop: Header=BB6_5473 Depth=4
	s_or_b64 exec, exec, s[30:31]
.LBB6_9377:                             ;   in Loop: Header=BB6_5473 Depth=4
	s_or_b64 exec, exec, s[28:29]
	v_add_f32_e32 v2, v2, v1
	v_and_b32_e32 v22, 0x7f800000, v2
	v_mov_b32_e32 v23, v33
	v_cmp_ne_u64_e32 vcc, s[76:77], v[22:23]
	v_and_b32_e32 v0, 0x7fffff, v2
	v_mov_b32_e32 v1, v33
                                        ; implicit-def: $vgpr4
	s_and_saveexec_b64 s[28:29], vcc
	s_xor_b64 s[30:31], exec, s[28:29]
	s_cbranch_execz .LBB6_9391
; %bb.9378:                             ;   in Loop: Header=BB6_5473 Depth=4
	v_and_b32_e32 v22, 0x7fffffff, v2
	v_mov_b32_e32 v23, v33
	v_cmp_gt_u64_e32 vcc, s[78:79], v[22:23]
	v_and_b32_sdwa v24, v2, s97 dst_sel:DWORD dst_unused:UNUSED_PAD src0_sel:BYTE_3 src1_sel:DWORD
                                        ; implicit-def: $vgpr4
	s_and_saveexec_b64 s[28:29], vcc
	s_xor_b64 s[34:35], exec, s[28:29]
	s_cbranch_execz .LBB6_9388
; %bb.9379:                             ;   in Loop: Header=BB6_5473 Depth=4
	v_mov_b32_e32 v4, 0
	v_cmp_ne_u32_e32 vcc, 0, v2
	s_and_saveexec_b64 s[36:37], vcc
	s_cbranch_execz .LBB6_9387
; %bb.9380:                             ;   in Loop: Header=BB6_5473 Depth=4
	v_bfe_u32 v4, v2, 23, 8
	v_cmp_gt_u32_e64 s[28:29], s47, v4
	v_sub_u32_e32 v2, 0x71, v4
	v_cmp_eq_u32_e32 vcc, 0, v4
	v_cndmask_b32_e64 v2, 0, v2, s[28:29]
	v_mov_b32_e32 v22, 0x70
	v_cndmask_b32_e32 v22, v2, v22, vcc
	v_add_u32_e32 v2, 21, v22
	v_or_b32_e32 v6, 0x800000, v0
	v_lshlrev_b64 v[35:36], v2, -1
	v_cndmask_b32_e32 v0, v6, v0, vcc
	v_add_u32_e32 v2, 20, v22
	v_bfi_b32 v35, v35, 0, v0
	v_lshlrev_b64 v[38:39], v2, 1
	v_lshrrev_b64 v[0:1], v22, v[0:1]
	v_bfi_b32 v36, v36, 0, 0
	v_cmp_eq_u64_e64 s[28:29], v[35:36], v[38:39]
	v_mov_b32_e32 v2, v1
	v_mov_b32_e32 v1, v0
	s_and_saveexec_b64 s[38:39], s[28:29]
; %bb.9381:                             ;   in Loop: Header=BB6_5473 Depth=4
	v_bfe_u32 v1, v0, 21, 1
	v_add_co_u32_e64 v1, s[28:29], v0, v1
	v_add_co_u32_e64 v1, s[28:29], -1, v1
; %bb.9382:                             ;   in Loop: Header=BB6_5473 Depth=4
	s_or_b64 exec, exec, s[38:39]
	v_add_u32_e32 v2, 0xffffff81, v4
	v_mov_b32_e32 v4, 0xffffff82
	v_cndmask_b32_e32 v2, v2, v4, vcc
	v_lshrrev_b32_e32 v4, 23, v0
	v_add3_u32 v6, v22, v2, v4
	v_add_u32_e32 v4, 14, v6
	v_and_b32_e32 v1, 0x1fffff, v1
	v_add_u32_e32 v0, v1, v0
	v_mov_b32_e32 v1, v33
	v_cmp_ne_u32_e32 vcc, 0, v4
                                        ; implicit-def: $vgpr2
	s_and_saveexec_b64 s[28:29], vcc
	s_xor_b64 s[28:29], exec, s[28:29]
; %bb.9383:                             ;   in Loop: Header=BB6_5473 Depth=4
	v_cmp_lt_u64_e32 vcc, s[88:89], v[0:1]
	v_add_u32_e32 v2, 15, v6
	v_cndmask_b32_e32 v2, v4, v2, vcc
	v_cndmask_b32_e64 v4, 0, 1, vcc
	v_lshrrev_b64 v[0:1], v4, v[0:1]
; %bb.9384:                             ;   in Loop: Header=BB6_5473 Depth=4
	s_andn2_saveexec_b64 s[28:29], s[28:29]
; %bb.9385:                             ;   in Loop: Header=BB6_5473 Depth=4
	v_bfe_u32 v2, v0, 23, 1
; %bb.9386:                             ;   in Loop: Header=BB6_5473 Depth=4
	s_or_b64 exec, exec, s[28:29]
	v_lshrrev_b64 v[0:1], 21, v[0:1]
	v_cmp_gt_i32_e32 vcc, 32, v2
	v_cndmask_b32_e32 v1, 0, v1, vcc
	v_cndmask_b32_e32 v0, 3, v0, vcc
	v_cmp_eq_u64_e64 s[28:29], 0, v[0:1]
	v_min_i32_e32 v1, 31, v2
	v_lshlrev_b32_e32 v1, 2, v1
	v_cmp_eq_u32_e32 vcc, 0, v2
	v_and_b32_e32 v1, 0xfc, v1
	v_and_or_b32 v0, v0, 3, v1
	s_and_b64 s[28:29], vcc, s[28:29]
	v_cndmask_b32_e64 v0, v0, 0, s[28:29]
	v_or_b32_e32 v4, v0, v24
.LBB6_9387:                             ;   in Loop: Header=BB6_5473 Depth=4
	s_or_b64 exec, exec, s[36:37]
                                        ; implicit-def: $vgpr24
.LBB6_9388:                             ;   in Loop: Header=BB6_5473 Depth=4
	s_andn2_saveexec_b64 s[28:29], s[34:35]
; %bb.9389:                             ;   in Loop: Header=BB6_5473 Depth=4
	v_or_b32_e32 v4, 0x7b, v24
; %bb.9390:                             ;   in Loop: Header=BB6_5473 Depth=4
	s_or_b64 exec, exec, s[28:29]
                                        ; implicit-def: $vgpr2
                                        ; implicit-def: $vgpr0_vgpr1
.LBB6_9391:                             ;   in Loop: Header=BB6_5473 Depth=4
	s_andn2_saveexec_b64 s[28:29], s[30:31]
	s_cbranch_execz .LBB6_9397
; %bb.9392:                             ;   in Loop: Header=BB6_5473 Depth=4
	v_cmp_ne_u64_e32 vcc, 0, v[0:1]
                                        ; implicit-def: $vgpr4
	s_and_saveexec_b64 s[62:63], vcc
	s_xor_b64 vcc, exec, s[62:63]
; %bb.9393:                             ;   in Loop: Header=BB6_5473 Depth=4
	v_or_b32_sdwa v4, v2, s44 dst_sel:DWORD dst_unused:UNUSED_PAD src0_sel:BYTE_3 src1_sel:DWORD
                                        ; implicit-def: $vgpr2
; %bb.9394:                             ;   in Loop: Header=BB6_5473 Depth=4
	s_andn2_saveexec_b64 s[30:31], vcc
; %bb.9395:                             ;   in Loop: Header=BB6_5473 Depth=4
	v_cmp_lt_i32_e32 vcc, -1, v2
	v_bfrev_b32_e32 v0, 0.5
	v_mov_b32_e32 v1, 0x7c
	v_cndmask_b32_e32 v4, v0, v1, vcc
; %bb.9396:                             ;   in Loop: Header=BB6_5473 Depth=4
	s_or_b64 exec, exec, s[30:31]
.LBB6_9397:                             ;   in Loop: Header=BB6_5473 Depth=4
	s_or_b64 exec, exec, s[28:29]
	v_cmp_lt_u32_e32 vcc, s57, v32
	v_mov_b32_e32 v1, 0
	v_mov_b32_e32 v2, 0
	s_and_saveexec_b64 s[28:29], vcc
	s_cbranch_execz .LBB6_9405
; %bb.9398:                             ;   in Loop: Header=BB6_5473 Depth=4
	v_lshrrev_b32_e32 v0, 24, v32
	v_cmp_ne_u32_e32 vcc, s97, v0
	v_bfrev_b32_e32 v2, 1
	s_and_saveexec_b64 s[30:31], vcc
	s_cbranch_execz .LBB6_9404
; %bb.9399:                             ;   in Loop: Header=BB6_5473 Depth=4
	v_and_b32_e32 v2, 0x7c000000, v32
	v_bfe_u32 v6, v32, 24, 2
	v_cmp_ne_u32_e32 vcc, s68, v2
                                        ; implicit-def: $vgpr2
	s_and_saveexec_b64 s[62:63], vcc
	s_xor_b64 s[34:35], exec, s[62:63]
	s_cbranch_execz .LBB6_9401
; %bb.9400:                             ;   in Loop: Header=BB6_5473 Depth=4
	v_ffbh_u32_e32 v22, v6
	v_min_u32_e32 v24, 32, v22
	v_subrev_u32_e32 v22, 29, v24
	v_lshlrev_b64 v[22:23], v22, v[0:1]
	v_bfe_u32 v2, v32, 26, 5
	v_sub_u32_e32 v0, 30, v24
	v_and_b32_e32 v22, 3, v22
	v_cmp_eq_u32_e32 vcc, 0, v2
	v_cndmask_b32_e32 v0, v2, v0, vcc
	v_cndmask_b32_e32 v2, v6, v22, vcc
	v_and_b32_e32 v6, 0x80000000, v32
	v_lshl_add_u32 v0, v0, 23, v6
	v_lshl_or_b32 v0, v2, 21, v0
	v_add_u32_e32 v2, 0x38000000, v0
                                        ; implicit-def: $vgpr6
.LBB6_9401:                             ;   in Loop: Header=BB6_5473 Depth=4
	s_andn2_saveexec_b64 s[34:35], s[34:35]
; %bb.9402:                             ;   in Loop: Header=BB6_5473 Depth=4
	v_cmp_lt_i32_e32 vcc, -1, v32
	v_mov_b32_e32 v0, 0xff800000
	v_mov_b32_e32 v2, 0x7f800000
	v_cndmask_b32_e32 v0, v0, v2, vcc
	v_cmp_eq_u32_e32 vcc, 0, v6
	v_mov_b32_e32 v2, 0x7f800001
	v_cndmask_b32_e32 v2, v2, v0, vcc
; %bb.9403:                             ;   in Loop: Header=BB6_5473 Depth=4
	s_or_b64 exec, exec, s[34:35]
.LBB6_9404:                             ;   in Loop: Header=BB6_5473 Depth=4
	s_or_b64 exec, exec, s[30:31]
.LBB6_9405:                             ;   in Loop: Header=BB6_5473 Depth=4
	s_or_b64 exec, exec, s[28:29]
	v_cmp_lt_u32_e32 vcc, s57, v10
	s_and_saveexec_b64 s[28:29], vcc
	s_cbranch_execz .LBB6_9413
; %bb.9406:                             ;   in Loop: Header=BB6_5473 Depth=4
	v_lshrrev_b32_e32 v0, 24, v10
	v_cmp_ne_u32_e32 vcc, s97, v0
	v_bfrev_b32_e32 v1, 1
	s_and_saveexec_b64 s[30:31], vcc
	s_cbranch_execz .LBB6_9412
; %bb.9407:                             ;   in Loop: Header=BB6_5473 Depth=4
	v_and_b32_e32 v1, 0x7c000000, v10
	v_bfe_u32 v6, v10, 24, 2
	v_cmp_ne_u32_e32 vcc, s68, v1
                                        ; implicit-def: $vgpr1
	s_and_saveexec_b64 s[62:63], vcc
	s_xor_b64 s[34:35], exec, s[62:63]
	s_cbranch_execz .LBB6_9409
; %bb.9408:                             ;   in Loop: Header=BB6_5473 Depth=4
	v_ffbh_u32_e32 v1, v6
	v_min_u32_e32 v23, 32, v1
	v_subrev_u32_e32 v1, 29, v23
	v_lshlrev_b64 v[0:1], v1, v[0:1]
	v_bfe_u32 v22, v10, 26, 5
	v_sub_u32_e32 v1, 30, v23
	v_and_b32_e32 v0, 3, v0
	v_cmp_eq_u32_e32 vcc, 0, v22
	v_cndmask_b32_e32 v1, v22, v1, vcc
	v_cndmask_b32_e32 v0, v6, v0, vcc
	v_and_b32_e32 v6, 0x80000000, v10
	v_lshl_add_u32 v1, v1, 23, v6
	v_lshl_or_b32 v0, v0, 21, v1
	v_add_u32_e32 v1, 0x38000000, v0
                                        ; implicit-def: $vgpr6
.LBB6_9409:                             ;   in Loop: Header=BB6_5473 Depth=4
	s_andn2_saveexec_b64 s[34:35], s[34:35]
; %bb.9410:                             ;   in Loop: Header=BB6_5473 Depth=4
	v_cmp_lt_i32_e32 vcc, -1, v10
	v_mov_b32_e32 v0, 0xff800000
	v_mov_b32_e32 v1, 0x7f800000
	v_cndmask_b32_e32 v0, v0, v1, vcc
	v_cmp_eq_u32_e32 vcc, 0, v6
	v_mov_b32_e32 v1, 0x7f800001
	v_cndmask_b32_e32 v1, v1, v0, vcc
; %bb.9411:                             ;   in Loop: Header=BB6_5473 Depth=4
	s_or_b64 exec, exec, s[34:35]
.LBB6_9412:                             ;   in Loop: Header=BB6_5473 Depth=4
	s_or_b64 exec, exec, s[30:31]
.LBB6_9413:                             ;   in Loop: Header=BB6_5473 Depth=4
	s_or_b64 exec, exec, s[28:29]
	v_add_f32_e32 v0, v2, v1
	v_and_b32_e32 v1, 0x7f800000, v0
	v_mov_b32_e32 v2, v33
	v_cmp_ne_u64_e32 vcc, s[76:77], v[1:2]
	v_and_b32_e32 v32, 0x7fffff, v0
                                        ; implicit-def: $vgpr24
	s_and_saveexec_b64 s[28:29], vcc
	s_xor_b64 s[30:31], exec, s[28:29]
	s_cbranch_execz .LBB6_9427
; %bb.9414:                             ;   in Loop: Header=BB6_5473 Depth=4
	v_and_b32_e32 v1, 0x7fffffff, v0
	v_mov_b32_e32 v2, v33
	v_cmp_gt_u64_e32 vcc, s[78:79], v[1:2]
	v_and_b32_sdwa v30, v0, s97 dst_sel:DWORD dst_unused:UNUSED_PAD src0_sel:BYTE_3 src1_sel:DWORD
                                        ; implicit-def: $vgpr24
	s_and_saveexec_b64 s[28:29], vcc
	s_xor_b64 s[34:35], exec, s[28:29]
	s_cbranch_execz .LBB6_9424
; %bb.9415:                             ;   in Loop: Header=BB6_5473 Depth=4
	v_mov_b32_e32 v24, 0
	v_cmp_ne_u32_e32 vcc, 0, v0
	s_and_saveexec_b64 s[36:37], vcc
	s_cbranch_execz .LBB6_9423
; %bb.9416:                             ;   in Loop: Header=BB6_5473 Depth=4
	v_bfe_u32 v22, v0, 23, 8
	v_cmp_gt_u32_e64 s[28:29], s47, v22
	v_sub_u32_e32 v0, 0x71, v22
	v_cmp_eq_u32_e32 vcc, 0, v22
	v_cndmask_b32_e64 v0, 0, v0, s[28:29]
	v_mov_b32_e32 v2, 0x70
	v_cndmask_b32_e32 v24, v0, v2, vcc
	v_add_u32_e32 v2, 21, v24
	v_or_b32_e32 v1, 0x800000, v32
	v_lshlrev_b64 v[35:36], v2, -1
	v_cndmask_b32_e32 v0, v1, v32, vcc
	v_mov_b32_e32 v1, v33
	v_add_u32_e32 v2, 20, v24
	v_bfi_b32 v35, v35, 0, v0
	v_lshlrev_b64 v[38:39], v2, 1
	v_lshrrev_b64 v[0:1], v24, v[0:1]
	v_bfi_b32 v36, v36, 0, 0
	v_cmp_eq_u64_e64 s[28:29], v[35:36], v[38:39]
	v_mov_b32_e32 v2, v1
	v_mov_b32_e32 v1, v0
	s_and_saveexec_b64 s[38:39], s[28:29]
; %bb.9417:                             ;   in Loop: Header=BB6_5473 Depth=4
	v_bfe_u32 v1, v0, 21, 1
	v_add_co_u32_e64 v1, s[28:29], v0, v1
	v_add_co_u32_e64 v1, s[28:29], -1, v1
; %bb.9418:                             ;   in Loop: Header=BB6_5473 Depth=4
	s_or_b64 exec, exec, s[38:39]
	v_add_u32_e32 v2, 0xffffff81, v22
	v_mov_b32_e32 v6, 0xffffff82
	v_cndmask_b32_e32 v2, v2, v6, vcc
	v_lshrrev_b32_e32 v6, 23, v0
	v_add3_u32 v22, v24, v2, v6
	v_add_u32_e32 v6, 14, v22
	v_and_b32_e32 v1, 0x1fffff, v1
	v_add_u32_e32 v32, v1, v0
	v_cmp_ne_u32_e32 vcc, 0, v6
                                        ; implicit-def: $vgpr0_vgpr1
                                        ; implicit-def: $vgpr2
	s_and_saveexec_b64 s[28:29], vcc
	s_xor_b64 s[28:29], exec, s[28:29]
; %bb.9419:                             ;   in Loop: Header=BB6_5473 Depth=4
	v_cmp_lt_u64_e32 vcc, s[88:89], v[32:33]
	v_add_u32_e32 v0, 15, v22
	v_cndmask_b32_e32 v2, v6, v0, vcc
	v_cndmask_b32_e64 v0, 0, 1, vcc
	v_lshrrev_b64 v[0:1], v0, v[32:33]
; %bb.9420:                             ;   in Loop: Header=BB6_5473 Depth=4
	s_andn2_saveexec_b64 s[28:29], s[28:29]
; %bb.9421:                             ;   in Loop: Header=BB6_5473 Depth=4
	v_mov_b32_e32 v0, v32
	v_mov_b32_e32 v1, v33
	v_bfe_u32 v2, v32, 23, 1
; %bb.9422:                             ;   in Loop: Header=BB6_5473 Depth=4
	s_or_b64 exec, exec, s[28:29]
	v_lshrrev_b64 v[0:1], 21, v[0:1]
	v_cmp_gt_i32_e32 vcc, 32, v2
	v_cndmask_b32_e32 v1, 0, v1, vcc
	v_cndmask_b32_e32 v0, 3, v0, vcc
	v_cmp_eq_u64_e64 s[28:29], 0, v[0:1]
	v_min_i32_e32 v1, 31, v2
	v_lshlrev_b32_e32 v1, 2, v1
	v_cmp_eq_u32_e32 vcc, 0, v2
	v_and_b32_e32 v1, 0xfc, v1
	v_and_or_b32 v0, v0, 3, v1
	s_and_b64 s[28:29], vcc, s[28:29]
	v_cndmask_b32_e64 v0, v0, 0, s[28:29]
	v_or_b32_e32 v24, v0, v30
.LBB6_9423:                             ;   in Loop: Header=BB6_5473 Depth=4
	s_or_b64 exec, exec, s[36:37]
                                        ; implicit-def: $vgpr30
.LBB6_9424:                             ;   in Loop: Header=BB6_5473 Depth=4
	s_andn2_saveexec_b64 s[28:29], s[34:35]
; %bb.9425:                             ;   in Loop: Header=BB6_5473 Depth=4
	v_or_b32_e32 v24, 0x7b, v30
; %bb.9426:                             ;   in Loop: Header=BB6_5473 Depth=4
	s_or_b64 exec, exec, s[28:29]
                                        ; implicit-def: $vgpr0
.LBB6_9427:                             ;   in Loop: Header=BB6_5473 Depth=4
	s_andn2_saveexec_b64 s[28:29], s[30:31]
	s_cbranch_execz .LBB6_9433
; %bb.9428:                             ;   in Loop: Header=BB6_5473 Depth=4
	v_cmp_ne_u64_e32 vcc, 0, v[32:33]
                                        ; implicit-def: $vgpr24
	s_and_saveexec_b64 s[62:63], vcc
	s_xor_b64 vcc, exec, s[62:63]
; %bb.9429:                             ;   in Loop: Header=BB6_5473 Depth=4
	v_or_b32_sdwa v24, v0, s44 dst_sel:DWORD dst_unused:UNUSED_PAD src0_sel:BYTE_3 src1_sel:DWORD
                                        ; implicit-def: $vgpr0
; %bb.9430:                             ;   in Loop: Header=BB6_5473 Depth=4
	s_andn2_saveexec_b64 s[30:31], vcc
; %bb.9431:                             ;   in Loop: Header=BB6_5473 Depth=4
	v_cmp_lt_i32_e32 vcc, -1, v0
	v_bfrev_b32_e32 v0, 0.5
	v_mov_b32_e32 v1, 0x7c
	v_cndmask_b32_e32 v24, v0, v1, vcc
; %bb.9432:                             ;   in Loop: Header=BB6_5473 Depth=4
	s_or_b64 exec, exec, s[30:31]
.LBB6_9433:                             ;   in Loop: Header=BB6_5473 Depth=4
	s_or_b64 exec, exec, s[28:29]
	buffer_load_dword v0, off, s[0:3], s33 offset:148 ; 4-byte Folded Reload
	buffer_load_dword v1, off, s[0:3], s33 offset:116 ; 4-byte Folded Reload
	;; [unrolled: 1-line block ×3, first 2 shown]
	v_cmp_ne_u32_e32 vcc, 0, v7
	s_waitcnt vmcnt(2)
	v_lshlrev_b32_e32 v0, 24, v0
	s_waitcnt vmcnt(1)
	v_lshlrev_b32_e32 v1, 16, v1
	s_waitcnt vmcnt(0)
	v_lshl_or_b32 v30, v2, 8, v7
	v_or3_b32 v32, v1, v0, v30
	v_mov_b32_e32 v0, 0
	v_mov_b32_e32 v1, 0
	s_and_saveexec_b64 s[30:31], vcc
	s_cbranch_execz .LBB6_9441
; %bb.9434:                             ;   in Loop: Header=BB6_5473 Depth=4
	v_cmp_ne_u32_e32 vcc, s97, v7
	v_bfrev_b32_e32 v1, 1
	s_and_saveexec_b64 s[34:35], vcc
	s_cbranch_execz .LBB6_9440
; %bb.9435:                             ;   in Loop: Header=BB6_5473 Depth=4
	v_and_b32_e32 v1, 0x7c, v7
	v_and_b32_e32 v2, 3, v7
	v_cmp_ne_u32_e32 vcc, s86, v1
                                        ; implicit-def: $vgpr1
	s_and_saveexec_b64 s[28:29], vcc
	s_xor_b64 s[28:29], exec, s[28:29]
	s_cbranch_execz .LBB6_9437
; %bb.9436:                             ;   in Loop: Header=BB6_5473 Depth=4
	v_ffbh_u32_e32 v6, v2
	v_min_u32_e32 v6, 32, v6
	v_bfe_u32 v1, v7, 2, 5
	v_subrev_u32_e32 v22, 29, v6
	v_lshlrev_b64 v[22:23], v22, v[32:33]
	v_sub_u32_e32 v6, 30, v6
	v_cmp_eq_u32_e32 vcc, 0, v1
	v_cndmask_b32_e32 v1, v1, v6, vcc
	v_lshlrev_b32_e32 v6, 24, v7
	v_and_b32_e32 v22, 3, v22
	v_and_b32_e32 v6, 0x80000000, v6
	v_cndmask_b32_e32 v2, v2, v22, vcc
	v_lshl_add_u32 v1, v1, 23, v6
	v_lshl_or_b32 v1, v2, 21, v1
	v_add_u32_e32 v1, 0x38000000, v1
                                        ; implicit-def: $vgpr2
                                        ; implicit-def: $vgpr7
.LBB6_9437:                             ;   in Loop: Header=BB6_5473 Depth=4
	s_andn2_saveexec_b64 s[36:37], s[28:29]
; %bb.9438:                             ;   in Loop: Header=BB6_5473 Depth=4
	v_and_b32_e32 v1, 0x80, v7
	v_cmp_eq_u32_e32 vcc, 0, v2
	v_cmp_eq_u32_e64 s[28:29], 0, v1
	v_mov_b32_e32 v1, 0xff800000
	v_mov_b32_e32 v2, 0x7f800000
	v_cndmask_b32_e64 v1, v1, v2, s[28:29]
	v_mov_b32_e32 v2, 0x7f800001
	v_cndmask_b32_e32 v1, v2, v1, vcc
; %bb.9439:                             ;   in Loop: Header=BB6_5473 Depth=4
	s_or_b64 exec, exec, s[36:37]
.LBB6_9440:                             ;   in Loop: Header=BB6_5473 Depth=4
	s_or_b64 exec, exec, s[34:35]
.LBB6_9441:                             ;   in Loop: Header=BB6_5473 Depth=4
	s_or_b64 exec, exec, s[30:31]
	v_cmp_ne_u16_sdwa s[62:63], v11, v33 src0_sel:BYTE_0 src1_sel:DWORD
	s_and_saveexec_b64 s[28:29], s[62:63]
	s_cbranch_execz .LBB6_9449
; %bb.9442:                             ;   in Loop: Header=BB6_5473 Depth=4
	v_cmp_ne_u16_sdwa s[62:63], v11, s97 src0_sel:BYTE_0 src1_sel:DWORD
	v_bfrev_b32_e32 v0, 1
	s_and_saveexec_b64 s[30:31], s[62:63]
	s_cbranch_execz .LBB6_9448
; %bb.9443:                             ;   in Loop: Header=BB6_5473 Depth=4
	v_and_b32_e32 v0, 0x7c, v11
	v_and_b32_e32 v2, 3, v11
	v_cmp_ne_u32_e32 vcc, s86, v0
                                        ; implicit-def: $vgpr0
	s_and_saveexec_b64 s[62:63], vcc
	s_xor_b64 s[34:35], exec, s[62:63]
	s_cbranch_execz .LBB6_9445
; %bb.9444:                             ;   in Loop: Header=BB6_5473 Depth=4
	v_ffbh_u32_e32 v22, v2
	v_min_u32_e32 v22, 32, v22
	v_mov_b32_e32 v6, v11
	v_mov_b32_e32 v7, v33
	v_subrev_u32_e32 v23, 29, v22
	v_lshlrev_b64 v[6:7], v23, v[6:7]
	v_bfe_u32 v0, v11, 2, 5
	v_and_b32_e32 v6, 3, v6
	v_cmp_eq_u32_e32 vcc, 0, v0
	v_sub_u32_e32 v7, 30, v22
	v_cndmask_b32_e32 v2, v2, v6, vcc
	v_lshlrev_b32_e32 v6, 24, v11
	v_cndmask_b32_e32 v0, v0, v7, vcc
	v_and_b32_e32 v6, 0x80000000, v6
	v_lshl_add_u32 v0, v0, 23, v6
	v_lshl_or_b32 v0, v2, 21, v0
	v_add_u32_e32 v0, 0x38000000, v0
                                        ; implicit-def: $vgpr2
.LBB6_9445:                             ;   in Loop: Header=BB6_5473 Depth=4
	s_andn2_saveexec_b64 s[34:35], s[34:35]
; %bb.9446:                             ;   in Loop: Header=BB6_5473 Depth=4
	v_mov_b32_e32 v0, -1
	v_cmp_gt_i16_sdwa vcc, sext(v11), v0 src0_sel:BYTE_0 src1_sel:DWORD
	v_mov_b32_e32 v0, 0xff800000
	v_mov_b32_e32 v6, 0x7f800000
	v_cndmask_b32_e32 v0, v0, v6, vcc
	v_cmp_eq_u32_e32 vcc, 0, v2
	v_mov_b32_e32 v2, 0x7f800001
	v_cndmask_b32_e32 v0, v2, v0, vcc
; %bb.9447:                             ;   in Loop: Header=BB6_5473 Depth=4
	s_or_b64 exec, exec, s[34:35]
.LBB6_9448:                             ;   in Loop: Header=BB6_5473 Depth=4
	s_or_b64 exec, exec, s[30:31]
.LBB6_9449:                             ;   in Loop: Header=BB6_5473 Depth=4
	s_or_b64 exec, exec, s[28:29]
	v_add_f32_e32 v2, v1, v0
	v_and_b32_e32 v6, 0x7f800000, v2
	v_mov_b32_e32 v7, v33
	v_cmp_ne_u64_e32 vcc, s[76:77], v[6:7]
	v_and_b32_e32 v0, 0x7fffff, v2
	v_mov_b32_e32 v1, v33
                                        ; implicit-def: $vgpr7
	s_and_saveexec_b64 s[28:29], vcc
	s_xor_b64 s[30:31], exec, s[28:29]
	s_cbranch_execz .LBB6_9463
; %bb.9450:                             ;   in Loop: Header=BB6_5473 Depth=4
	v_and_b32_e32 v6, 0x7fffffff, v2
	v_mov_b32_e32 v7, v33
	v_cmp_gt_u64_e32 vcc, s[78:79], v[6:7]
	v_and_b32_sdwa v35, v2, s97 dst_sel:DWORD dst_unused:UNUSED_PAD src0_sel:BYTE_3 src1_sel:DWORD
                                        ; implicit-def: $vgpr7
	s_and_saveexec_b64 s[28:29], vcc
	s_xor_b64 s[34:35], exec, s[28:29]
	s_cbranch_execz .LBB6_9460
; %bb.9451:                             ;   in Loop: Header=BB6_5473 Depth=4
	v_mov_b32_e32 v7, 0
	v_cmp_ne_u32_e32 vcc, 0, v2
	s_and_saveexec_b64 s[36:37], vcc
	s_cbranch_execz .LBB6_9459
; %bb.9452:                             ;   in Loop: Header=BB6_5473 Depth=4
	v_bfe_u32 v7, v2, 23, 8
	v_cmp_gt_u32_e64 s[28:29], s47, v7
	v_sub_u32_e32 v2, 0x71, v7
	v_cmp_eq_u32_e32 vcc, 0, v7
	v_cndmask_b32_e64 v2, 0, v2, s[28:29]
	v_mov_b32_e32 v22, 0x70
	v_cndmask_b32_e32 v22, v2, v22, vcc
	v_add_u32_e32 v2, 21, v22
	v_or_b32_e32 v6, 0x800000, v0
	v_lshlrev_b64 v[38:39], v2, -1
	v_cndmask_b32_e32 v0, v6, v0, vcc
	v_add_u32_e32 v2, 20, v22
	v_mov_b32_e32 v36, v49
	v_mov_b32_e32 v23, v48
	v_bfi_b32 v38, v38, 0, v0
	v_lshlrev_b64 v[48:49], v2, 1
	v_lshrrev_b64 v[0:1], v22, v[0:1]
	v_bfi_b32 v39, v39, 0, 0
	v_cmp_eq_u64_e64 s[28:29], v[38:39], v[48:49]
	v_mov_b32_e32 v2, v1
	v_mov_b32_e32 v1, v0
	s_and_saveexec_b64 s[38:39], s[28:29]
; %bb.9453:                             ;   in Loop: Header=BB6_5473 Depth=4
	v_bfe_u32 v1, v0, 21, 1
	v_add_co_u32_e64 v1, s[28:29], v0, v1
	v_add_co_u32_e64 v1, s[28:29], -1, v1
; %bb.9454:                             ;   in Loop: Header=BB6_5473 Depth=4
	s_or_b64 exec, exec, s[38:39]
	v_add_u32_e32 v2, 0xffffff81, v7
	v_mov_b32_e32 v6, 0xffffff82
	v_cndmask_b32_e32 v2, v2, v6, vcc
	v_lshrrev_b32_e32 v6, 23, v0
	v_add3_u32 v7, v22, v2, v6
	v_add_u32_e32 v6, 14, v7
	v_and_b32_e32 v1, 0x1fffff, v1
	v_add_u32_e32 v0, v1, v0
	v_mov_b32_e32 v1, v33
	v_cmp_ne_u32_e32 vcc, 0, v6
                                        ; implicit-def: $vgpr2
	s_and_saveexec_b64 s[28:29], vcc
	s_xor_b64 s[28:29], exec, s[28:29]
; %bb.9455:                             ;   in Loop: Header=BB6_5473 Depth=4
	v_cmp_lt_u64_e32 vcc, s[88:89], v[0:1]
	v_add_u32_e32 v2, 15, v7
	v_cndmask_b32_e32 v2, v6, v2, vcc
	v_cndmask_b32_e64 v6, 0, 1, vcc
	v_lshrrev_b64 v[0:1], v6, v[0:1]
; %bb.9456:                             ;   in Loop: Header=BB6_5473 Depth=4
	s_or_saveexec_b64 s[28:29], s[28:29]
	v_mov_b32_e32 v48, v23
	v_mov_b32_e32 v49, v36
	s_xor_b64 exec, exec, s[28:29]
; %bb.9457:                             ;   in Loop: Header=BB6_5473 Depth=4
	v_bfe_u32 v2, v0, 23, 1
; %bb.9458:                             ;   in Loop: Header=BB6_5473 Depth=4
	s_or_b64 exec, exec, s[28:29]
	v_lshrrev_b64 v[0:1], 21, v[0:1]
	v_cmp_gt_i32_e32 vcc, 32, v2
	v_cndmask_b32_e32 v1, 0, v1, vcc
	v_cndmask_b32_e32 v0, 3, v0, vcc
	v_cmp_eq_u64_e64 s[28:29], 0, v[0:1]
	v_min_i32_e32 v1, 31, v2
	v_lshlrev_b32_e32 v1, 2, v1
	v_cmp_eq_u32_e32 vcc, 0, v2
	v_and_b32_e32 v1, 0xfc, v1
	v_and_or_b32 v0, v0, 3, v1
	s_and_b64 s[28:29], vcc, s[28:29]
	v_cndmask_b32_e64 v0, v0, 0, s[28:29]
	v_or_b32_e32 v7, v0, v35
.LBB6_9459:                             ;   in Loop: Header=BB6_5473 Depth=4
	s_or_b64 exec, exec, s[36:37]
                                        ; implicit-def: $vgpr35
.LBB6_9460:                             ;   in Loop: Header=BB6_5473 Depth=4
	s_andn2_saveexec_b64 s[28:29], s[34:35]
; %bb.9461:                             ;   in Loop: Header=BB6_5473 Depth=4
	v_or_b32_e32 v7, 0x7b, v35
; %bb.9462:                             ;   in Loop: Header=BB6_5473 Depth=4
	s_or_b64 exec, exec, s[28:29]
                                        ; implicit-def: $vgpr2
                                        ; implicit-def: $vgpr0_vgpr1
.LBB6_9463:                             ;   in Loop: Header=BB6_5473 Depth=4
	s_andn2_saveexec_b64 s[28:29], s[30:31]
	s_cbranch_execz .LBB6_9469
; %bb.9464:                             ;   in Loop: Header=BB6_5473 Depth=4
	v_cmp_ne_u64_e32 vcc, 0, v[0:1]
                                        ; implicit-def: $vgpr7
	s_and_saveexec_b64 s[62:63], vcc
	s_xor_b64 vcc, exec, s[62:63]
; %bb.9465:                             ;   in Loop: Header=BB6_5473 Depth=4
	v_or_b32_sdwa v7, v2, s44 dst_sel:DWORD dst_unused:UNUSED_PAD src0_sel:BYTE_3 src1_sel:DWORD
                                        ; implicit-def: $vgpr2
; %bb.9466:                             ;   in Loop: Header=BB6_5473 Depth=4
	s_andn2_saveexec_b64 s[30:31], vcc
; %bb.9467:                             ;   in Loop: Header=BB6_5473 Depth=4
	v_cmp_lt_i32_e32 vcc, -1, v2
	v_bfrev_b32_e32 v0, 0.5
	v_mov_b32_e32 v1, 0x7c
	v_cndmask_b32_e32 v7, v0, v1, vcc
; %bb.9468:                             ;   in Loop: Header=BB6_5473 Depth=4
	s_or_b64 exec, exec, s[30:31]
.LBB6_9469:                             ;   in Loop: Header=BB6_5473 Depth=4
	s_or_b64 exec, exec, s[28:29]
	v_lshrrev_b16_e32 v0, 8, v30
	v_cmp_ne_u16_e32 vcc, 0, v0
	v_mov_b32_e32 v2, 0
	v_mov_b32_e32 v22, 0
	s_and_saveexec_b64 s[28:29], vcc
	s_cbranch_execz .LBB6_9477
; %bb.9470:                             ;   in Loop: Header=BB6_5473 Depth=4
	v_cmp_ne_u16_e32 vcc, s97, v0
	v_bfrev_b32_e32 v22, 1
	s_and_saveexec_b64 s[30:31], vcc
	s_cbranch_execz .LBB6_9476
; %bb.9471:                             ;   in Loop: Header=BB6_5473 Depth=4
	v_and_b32_e32 v1, 0x7c, v0
	v_and_b32_e32 v6, 3, v0
	v_cmp_ne_u32_e32 vcc, s86, v1
                                        ; implicit-def: $vgpr22
	s_and_saveexec_b64 s[62:63], vcc
	s_xor_b64 s[34:35], exec, s[62:63]
	s_cbranch_execz .LBB6_9473
; %bb.9472:                             ;   in Loop: Header=BB6_5473 Depth=4
	v_ffbh_u32_e32 v23, v6
	v_min_u32_e32 v23, 32, v23
	v_mov_b32_e32 v1, v33
	v_subrev_u32_e32 v35, 29, v23
	v_bfe_u32 v22, v0, 2, 5
	v_lshlrev_b64 v[0:1], v35, v[0:1]
	v_cmp_eq_u32_e32 vcc, 0, v22
	v_and_b32_e32 v0, 3, v0
	v_sub_u32_e32 v1, 30, v23
	v_cndmask_b32_e32 v0, v6, v0, vcc
	v_lshlrev_b32_e32 v6, 16, v30
	v_cndmask_b32_e32 v1, v22, v1, vcc
	v_and_b32_e32 v6, 0x80000000, v6
	v_lshl_add_u32 v1, v1, 23, v6
	v_lshl_or_b32 v0, v0, 21, v1
	v_add_u32_e32 v22, 0x38000000, v0
                                        ; implicit-def: $vgpr6
                                        ; implicit-def: $vgpr30
.LBB6_9473:                             ;   in Loop: Header=BB6_5473 Depth=4
	s_andn2_saveexec_b64 s[34:35], s[34:35]
; %bb.9474:                             ;   in Loop: Header=BB6_5473 Depth=4
	v_cmp_lt_i16_e32 vcc, -1, v30
	v_mov_b32_e32 v0, 0xff800000
	v_mov_b32_e32 v1, 0x7f800000
	v_cndmask_b32_e32 v0, v0, v1, vcc
	v_cmp_eq_u32_e32 vcc, 0, v6
	v_mov_b32_e32 v1, 0x7f800001
	v_cndmask_b32_e32 v22, v1, v0, vcc
; %bb.9475:                             ;   in Loop: Header=BB6_5473 Depth=4
	s_or_b64 exec, exec, s[34:35]
.LBB6_9476:                             ;   in Loop: Header=BB6_5473 Depth=4
	s_or_b64 exec, exec, s[30:31]
.LBB6_9477:                             ;   in Loop: Header=BB6_5473 Depth=4
	s_or_b64 exec, exec, s[28:29]
	v_lshrrev_b16_e32 v0, 8, v11
	v_cmp_ne_u16_e32 vcc, 0, v0
	s_and_saveexec_b64 s[28:29], vcc
	s_cbranch_execz .LBB6_9485
; %bb.9478:                             ;   in Loop: Header=BB6_5473 Depth=4
	v_cmp_ne_u16_e32 vcc, s97, v0
	v_bfrev_b32_e32 v2, 1
	s_and_saveexec_b64 s[30:31], vcc
	s_cbranch_execz .LBB6_9484
; %bb.9479:                             ;   in Loop: Header=BB6_5473 Depth=4
	v_and_b32_e32 v1, 0x7c, v0
	v_and_b32_e32 v6, 3, v0
	v_cmp_ne_u32_e32 vcc, s86, v1
                                        ; implicit-def: $vgpr2
	s_and_saveexec_b64 s[62:63], vcc
	s_xor_b64 s[34:35], exec, s[62:63]
	s_cbranch_execz .LBB6_9481
; %bb.9480:                             ;   in Loop: Header=BB6_5473 Depth=4
	v_ffbh_u32_e32 v23, v6
	v_min_u32_e32 v23, 32, v23
	v_mov_b32_e32 v1, v33
	v_subrev_u32_e32 v30, 29, v23
	v_bfe_u32 v2, v0, 2, 5
	v_lshlrev_b64 v[0:1], v30, v[0:1]
	v_sub_u32_e32 v1, 30, v23
	v_cmp_eq_u32_e32 vcc, 0, v2
	v_cndmask_b32_e32 v1, v2, v1, vcc
	v_lshlrev_b32_e32 v2, 16, v11
	v_and_b32_e32 v0, 3, v0
	v_and_b32_e32 v2, 0x80000000, v2
	v_cndmask_b32_e32 v0, v6, v0, vcc
	v_lshl_add_u32 v1, v1, 23, v2
	v_lshl_or_b32 v0, v0, 21, v1
	v_add_u32_e32 v2, 0x38000000, v0
                                        ; implicit-def: $vgpr6
.LBB6_9481:                             ;   in Loop: Header=BB6_5473 Depth=4
	s_andn2_saveexec_b64 s[34:35], s[34:35]
; %bb.9482:                             ;   in Loop: Header=BB6_5473 Depth=4
	v_cmp_lt_i16_e32 vcc, -1, v11
	v_mov_b32_e32 v0, 0xff800000
	v_mov_b32_e32 v1, 0x7f800000
	v_cndmask_b32_e32 v0, v0, v1, vcc
	v_cmp_eq_u32_e32 vcc, 0, v6
	v_mov_b32_e32 v1, 0x7f800001
	v_cndmask_b32_e32 v2, v1, v0, vcc
; %bb.9483:                             ;   in Loop: Header=BB6_5473 Depth=4
	s_or_b64 exec, exec, s[34:35]
.LBB6_9484:                             ;   in Loop: Header=BB6_5473 Depth=4
	s_or_b64 exec, exec, s[30:31]
.LBB6_9485:                             ;   in Loop: Header=BB6_5473 Depth=4
	s_or_b64 exec, exec, s[28:29]
	v_add_f32_e32 v2, v22, v2
	v_and_b32_e32 v22, 0x7f800000, v2
	v_mov_b32_e32 v23, v33
	v_cmp_ne_u64_e32 vcc, s[76:77], v[22:23]
	v_and_b32_e32 v0, 0x7fffff, v2
	v_mov_b32_e32 v1, v33
                                        ; implicit-def: $vgpr30
	s_and_saveexec_b64 s[28:29], vcc
	s_xor_b64 s[30:31], exec, s[28:29]
	s_cbranch_execz .LBB6_9499
; %bb.9486:                             ;   in Loop: Header=BB6_5473 Depth=4
	v_and_b32_e32 v22, 0x7fffffff, v2
	v_mov_b32_e32 v23, v33
	v_cmp_gt_u64_e32 vcc, s[78:79], v[22:23]
	v_and_b32_sdwa v35, v2, s97 dst_sel:DWORD dst_unused:UNUSED_PAD src0_sel:BYTE_3 src1_sel:DWORD
                                        ; implicit-def: $vgpr30
	s_and_saveexec_b64 s[28:29], vcc
	s_xor_b64 s[34:35], exec, s[28:29]
	s_cbranch_execz .LBB6_9496
; %bb.9487:                             ;   in Loop: Header=BB6_5473 Depth=4
	v_mov_b32_e32 v30, 0
	v_cmp_ne_u32_e32 vcc, 0, v2
	s_and_saveexec_b64 s[36:37], vcc
	s_cbranch_execz .LBB6_9495
; %bb.9488:                             ;   in Loop: Header=BB6_5473 Depth=4
	v_bfe_u32 v22, v2, 23, 8
	v_cmp_gt_u32_e64 s[28:29], s47, v22
	v_sub_u32_e32 v2, 0x71, v22
	v_cmp_eq_u32_e32 vcc, 0, v22
	v_cndmask_b32_e64 v2, 0, v2, s[28:29]
	v_mov_b32_e32 v23, 0x70
	v_cndmask_b32_e32 v30, v2, v23, vcc
	v_add_u32_e32 v2, 21, v30
	v_or_b32_e32 v6, 0x800000, v0
	v_lshlrev_b64 v[38:39], v2, -1
	v_cndmask_b32_e32 v0, v6, v0, vcc
	v_add_u32_e32 v2, 20, v30
	v_mov_b32_e32 v16, v49
	v_mov_b32_e32 v36, v48
	v_bfi_b32 v38, v38, 0, v0
	v_lshlrev_b64 v[48:49], v2, 1
	v_lshrrev_b64 v[0:1], v30, v[0:1]
	v_bfi_b32 v39, v39, 0, 0
	v_cmp_eq_u64_e64 s[28:29], v[38:39], v[48:49]
	v_mov_b32_e32 v2, v1
	v_mov_b32_e32 v1, v0
	s_and_saveexec_b64 s[38:39], s[28:29]
; %bb.9489:                             ;   in Loop: Header=BB6_5473 Depth=4
	v_bfe_u32 v1, v0, 21, 1
	v_add_co_u32_e64 v1, s[28:29], v0, v1
	v_add_co_u32_e64 v1, s[28:29], -1, v1
; %bb.9490:                             ;   in Loop: Header=BB6_5473 Depth=4
	s_or_b64 exec, exec, s[38:39]
	v_add_u32_e32 v2, 0xffffff81, v22
	v_mov_b32_e32 v6, 0xffffff82
	v_cndmask_b32_e32 v2, v2, v6, vcc
	v_lshrrev_b32_e32 v6, 23, v0
	v_add3_u32 v22, v30, v2, v6
	v_add_u32_e32 v6, 14, v22
	v_and_b32_e32 v1, 0x1fffff, v1
	v_add_u32_e32 v0, v1, v0
	v_mov_b32_e32 v1, v33
	v_cmp_ne_u32_e32 vcc, 0, v6
                                        ; implicit-def: $vgpr2
	s_and_saveexec_b64 s[28:29], vcc
	s_xor_b64 s[28:29], exec, s[28:29]
; %bb.9491:                             ;   in Loop: Header=BB6_5473 Depth=4
	v_cmp_lt_u64_e32 vcc, s[88:89], v[0:1]
	v_add_u32_e32 v2, 15, v22
	v_cndmask_b32_e32 v2, v6, v2, vcc
	v_cndmask_b32_e64 v6, 0, 1, vcc
	v_lshrrev_b64 v[0:1], v6, v[0:1]
; %bb.9492:                             ;   in Loop: Header=BB6_5473 Depth=4
	s_or_saveexec_b64 s[28:29], s[28:29]
	v_mov_b32_e32 v48, v36
	v_mov_b32_e32 v49, v16
	s_xor_b64 exec, exec, s[28:29]
; %bb.9493:                             ;   in Loop: Header=BB6_5473 Depth=4
	v_bfe_u32 v2, v0, 23, 1
; %bb.9494:                             ;   in Loop: Header=BB6_5473 Depth=4
	s_or_b64 exec, exec, s[28:29]
	v_lshrrev_b64 v[0:1], 21, v[0:1]
	v_cmp_gt_i32_e32 vcc, 32, v2
	v_cndmask_b32_e32 v1, 0, v1, vcc
	v_cndmask_b32_e32 v0, 3, v0, vcc
	v_cmp_eq_u64_e64 s[28:29], 0, v[0:1]
	v_min_i32_e32 v1, 31, v2
	v_lshlrev_b32_e32 v1, 2, v1
	v_cmp_eq_u32_e32 vcc, 0, v2
	v_and_b32_e32 v1, 0xfc, v1
	v_and_or_b32 v0, v0, 3, v1
	s_and_b64 s[28:29], vcc, s[28:29]
	v_cndmask_b32_e64 v0, v0, 0, s[28:29]
	v_or_b32_e32 v30, v0, v35
.LBB6_9495:                             ;   in Loop: Header=BB6_5473 Depth=4
	s_or_b64 exec, exec, s[36:37]
                                        ; implicit-def: $vgpr35
.LBB6_9496:                             ;   in Loop: Header=BB6_5473 Depth=4
	s_andn2_saveexec_b64 s[28:29], s[34:35]
; %bb.9497:                             ;   in Loop: Header=BB6_5473 Depth=4
	v_or_b32_e32 v30, 0x7b, v35
; %bb.9498:                             ;   in Loop: Header=BB6_5473 Depth=4
	s_or_b64 exec, exec, s[28:29]
                                        ; implicit-def: $vgpr2
                                        ; implicit-def: $vgpr0_vgpr1
.LBB6_9499:                             ;   in Loop: Header=BB6_5473 Depth=4
	s_andn2_saveexec_b64 s[28:29], s[30:31]
	s_cbranch_execz .LBB6_9505
; %bb.9500:                             ;   in Loop: Header=BB6_5473 Depth=4
	v_cmp_ne_u64_e32 vcc, 0, v[0:1]
                                        ; implicit-def: $vgpr30
	s_and_saveexec_b64 s[62:63], vcc
	s_xor_b64 vcc, exec, s[62:63]
; %bb.9501:                             ;   in Loop: Header=BB6_5473 Depth=4
	v_or_b32_sdwa v30, v2, s44 dst_sel:DWORD dst_unused:UNUSED_PAD src0_sel:BYTE_3 src1_sel:DWORD
                                        ; implicit-def: $vgpr2
; %bb.9502:                             ;   in Loop: Header=BB6_5473 Depth=4
	s_andn2_saveexec_b64 s[30:31], vcc
; %bb.9503:                             ;   in Loop: Header=BB6_5473 Depth=4
	v_cmp_lt_i32_e32 vcc, -1, v2
	v_bfrev_b32_e32 v0, 0.5
	v_mov_b32_e32 v1, 0x7c
	v_cndmask_b32_e32 v30, v0, v1, vcc
; %bb.9504:                             ;   in Loop: Header=BB6_5473 Depth=4
	s_or_b64 exec, exec, s[30:31]
.LBB6_9505:                             ;   in Loop: Header=BB6_5473 Depth=4
	s_or_b64 exec, exec, s[28:29]
	v_and_b32_sdwa v6, v32, s96 dst_sel:DWORD dst_unused:UNUSED_PAD src0_sel:WORD_1 src1_sel:DWORD
	v_lshrrev_b32_e32 v0, 16, v32
	v_cmp_ne_u16_e32 vcc, 0, v6
	v_mov_b32_e32 v1, 0
	v_mov_b32_e32 v2, 0
	s_and_saveexec_b64 s[28:29], vcc
	s_cbranch_execz .LBB6_9513
; %bb.9506:                             ;   in Loop: Header=BB6_5473 Depth=4
	v_cmp_ne_u16_e32 vcc, s97, v6
	v_bfrev_b32_e32 v2, 1
	s_and_saveexec_b64 s[30:31], vcc
	s_cbranch_execz .LBB6_9512
; %bb.9507:                             ;   in Loop: Header=BB6_5473 Depth=4
	v_and_b32_e32 v2, 0x7c0000, v32
	v_bfe_u32 v6, v32, 16, 2
	v_cmp_ne_u32_e32 vcc, s45, v2
                                        ; implicit-def: $vgpr2
	s_and_saveexec_b64 s[62:63], vcc
	s_xor_b64 s[34:35], exec, s[62:63]
	s_cbranch_execz .LBB6_9509
; %bb.9508:                             ;   in Loop: Header=BB6_5473 Depth=4
	v_ffbh_u32_e32 v22, v6
	v_min_u32_e32 v35, 32, v22
	v_subrev_u32_e32 v22, 29, v35
	v_lshlrev_b64 v[22:23], v22, v[0:1]
	v_bfe_u32 v2, v32, 18, 5
	v_sub_u32_e32 v0, 30, v35
	v_and_b32_e32 v22, 3, v22
	v_cmp_eq_u32_e32 vcc, 0, v2
	v_cndmask_b32_e32 v0, v2, v0, vcc
	v_cndmask_b32_e32 v2, v6, v22, vcc
	v_lshlrev_b32_e32 v6, 8, v32
	v_and_b32_e32 v6, 0x80000000, v6
	v_lshl_add_u32 v0, v0, 23, v6
	v_lshl_or_b32 v0, v2, 21, v0
	v_add_u32_e32 v2, 0x38000000, v0
                                        ; implicit-def: $vgpr6
                                        ; implicit-def: $vgpr0
.LBB6_9509:                             ;   in Loop: Header=BB6_5473 Depth=4
	s_andn2_saveexec_b64 s[34:35], s[34:35]
; %bb.9510:                             ;   in Loop: Header=BB6_5473 Depth=4
	v_mov_b32_e32 v2, -1
	v_cmp_gt_i16_sdwa vcc, sext(v0), v2 src0_sel:BYTE_0 src1_sel:DWORD
	v_mov_b32_e32 v0, 0xff800000
	v_mov_b32_e32 v2, 0x7f800000
	v_cndmask_b32_e32 v0, v0, v2, vcc
	v_cmp_eq_u32_e32 vcc, 0, v6
	v_mov_b32_e32 v2, 0x7f800001
	v_cndmask_b32_e32 v2, v2, v0, vcc
; %bb.9511:                             ;   in Loop: Header=BB6_5473 Depth=4
	s_or_b64 exec, exec, s[34:35]
.LBB6_9512:                             ;   in Loop: Header=BB6_5473 Depth=4
	s_or_b64 exec, exec, s[30:31]
.LBB6_9513:                             ;   in Loop: Header=BB6_5473 Depth=4
	s_or_b64 exec, exec, s[28:29]
	v_lshrrev_b32_e32 v0, 16, v11
	v_cmp_ne_u16_sdwa s[62:63], v0, v33 src0_sel:BYTE_0 src1_sel:DWORD
	s_and_saveexec_b64 s[28:29], s[62:63]
	s_cbranch_execz .LBB6_9521
; %bb.9514:                             ;   in Loop: Header=BB6_5473 Depth=4
	v_cmp_ne_u16_sdwa s[62:63], v0, s97 src0_sel:BYTE_0 src1_sel:DWORD
	v_bfrev_b32_e32 v1, 1
	s_and_saveexec_b64 s[30:31], s[62:63]
	s_cbranch_execz .LBB6_9520
; %bb.9515:                             ;   in Loop: Header=BB6_5473 Depth=4
	v_and_b32_e32 v1, 0x7c0000, v11
	v_bfe_u32 v6, v11, 16, 2
	v_cmp_ne_u32_e32 vcc, s45, v1
                                        ; implicit-def: $vgpr1
	s_and_saveexec_b64 s[62:63], vcc
	s_xor_b64 s[34:35], exec, s[62:63]
	s_cbranch_execz .LBB6_9517
; %bb.9516:                             ;   in Loop: Header=BB6_5473 Depth=4
	v_ffbh_u32_e32 v1, v6
	v_min_u32_e32 v23, 32, v1
	v_subrev_u32_e32 v1, 29, v23
	v_lshlrev_b64 v[0:1], v1, v[0:1]
	v_bfe_u32 v22, v11, 18, 5
	v_and_b32_e32 v0, 3, v0
	v_cmp_eq_u32_e32 vcc, 0, v22
	v_sub_u32_e32 v1, 30, v23
	v_cndmask_b32_e32 v0, v6, v0, vcc
	v_lshlrev_b32_e32 v6, 8, v11
	v_cndmask_b32_e32 v1, v22, v1, vcc
	v_and_b32_e32 v6, 0x80000000, v6
	v_lshl_add_u32 v1, v1, 23, v6
	v_lshl_or_b32 v0, v0, 21, v1
	v_add_u32_e32 v1, 0x38000000, v0
                                        ; implicit-def: $vgpr6
                                        ; implicit-def: $vgpr0
.LBB6_9517:                             ;   in Loop: Header=BB6_5473 Depth=4
	s_andn2_saveexec_b64 s[34:35], s[34:35]
; %bb.9518:                             ;   in Loop: Header=BB6_5473 Depth=4
	v_mov_b32_e32 v1, -1
	v_cmp_gt_i16_sdwa vcc, sext(v0), v1 src0_sel:BYTE_0 src1_sel:DWORD
	v_mov_b32_e32 v0, 0xff800000
	v_mov_b32_e32 v1, 0x7f800000
	v_cndmask_b32_e32 v0, v0, v1, vcc
	v_cmp_eq_u32_e32 vcc, 0, v6
	v_mov_b32_e32 v1, 0x7f800001
	v_cndmask_b32_e32 v1, v1, v0, vcc
; %bb.9519:                             ;   in Loop: Header=BB6_5473 Depth=4
	s_or_b64 exec, exec, s[34:35]
.LBB6_9520:                             ;   in Loop: Header=BB6_5473 Depth=4
	s_or_b64 exec, exec, s[30:31]
.LBB6_9521:                             ;   in Loop: Header=BB6_5473 Depth=4
	s_or_b64 exec, exec, s[28:29]
	v_add_f32_e32 v2, v2, v1
	v_and_b32_e32 v22, 0x7f800000, v2
	v_mov_b32_e32 v23, v33
	v_cmp_ne_u64_e32 vcc, s[76:77], v[22:23]
	v_and_b32_e32 v0, 0x7fffff, v2
	v_mov_b32_e32 v1, v33
                                        ; implicit-def: $vgpr35
	s_and_saveexec_b64 s[28:29], vcc
	s_xor_b64 s[30:31], exec, s[28:29]
	s_cbranch_execz .LBB6_9535
; %bb.9522:                             ;   in Loop: Header=BB6_5473 Depth=4
	v_and_b32_e32 v22, 0x7fffffff, v2
	v_mov_b32_e32 v23, v33
	v_cmp_gt_u64_e32 vcc, s[78:79], v[22:23]
	v_and_b32_sdwa v22, v2, s97 dst_sel:DWORD dst_unused:UNUSED_PAD src0_sel:BYTE_3 src1_sel:DWORD
                                        ; implicit-def: $vgpr35
	s_and_saveexec_b64 s[28:29], vcc
	s_xor_b64 s[34:35], exec, s[28:29]
	s_cbranch_execz .LBB6_9532
; %bb.9523:                             ;   in Loop: Header=BB6_5473 Depth=4
	v_mov_b32_e32 v35, 0
	v_cmp_ne_u32_e32 vcc, 0, v2
	s_and_saveexec_b64 s[36:37], vcc
	s_cbranch_execz .LBB6_9531
; %bb.9524:                             ;   in Loop: Header=BB6_5473 Depth=4
	v_bfe_u32 v35, v2, 23, 8
	v_cmp_gt_u32_e64 s[28:29], s47, v35
	v_sub_u32_e32 v2, 0x71, v35
	v_cmp_eq_u32_e32 vcc, 0, v35
	v_cndmask_b32_e64 v2, 0, v2, s[28:29]
	v_mov_b32_e32 v6, 0x70
	v_cndmask_b32_e32 v6, v2, v6, vcc
	v_add_u32_e32 v2, 21, v6
	v_or_b32_e32 v23, 0x800000, v0
	v_lshlrev_b64 v[38:39], v2, -1
	v_cndmask_b32_e32 v0, v23, v0, vcc
	v_add_u32_e32 v2, 20, v6
	v_mov_b32_e32 v16, v49
	v_mov_b32_e32 v36, v48
	v_bfi_b32 v38, v38, 0, v0
	v_lshlrev_b64 v[48:49], v2, 1
	v_lshrrev_b64 v[0:1], v6, v[0:1]
	v_bfi_b32 v39, v39, 0, 0
	v_cmp_eq_u64_e64 s[28:29], v[38:39], v[48:49]
	v_mov_b32_e32 v2, v1
	v_mov_b32_e32 v1, v0
	s_and_saveexec_b64 s[38:39], s[28:29]
; %bb.9525:                             ;   in Loop: Header=BB6_5473 Depth=4
	v_bfe_u32 v1, v0, 21, 1
	v_add_co_u32_e64 v1, s[28:29], v0, v1
	v_add_co_u32_e64 v1, s[28:29], -1, v1
; %bb.9526:                             ;   in Loop: Header=BB6_5473 Depth=4
	s_or_b64 exec, exec, s[38:39]
	v_add_u32_e32 v2, 0xffffff81, v35
	v_mov_b32_e32 v23, 0xffffff82
	v_cndmask_b32_e32 v2, v2, v23, vcc
	v_lshrrev_b32_e32 v23, 23, v0
	v_add3_u32 v35, v6, v2, v23
	v_add_u32_e32 v6, 14, v35
	v_and_b32_e32 v1, 0x1fffff, v1
	v_add_u32_e32 v0, v1, v0
	v_mov_b32_e32 v1, v33
	v_cmp_ne_u32_e32 vcc, 0, v6
                                        ; implicit-def: $vgpr2
	s_and_saveexec_b64 s[28:29], vcc
	s_xor_b64 s[28:29], exec, s[28:29]
; %bb.9527:                             ;   in Loop: Header=BB6_5473 Depth=4
	v_cmp_lt_u64_e32 vcc, s[88:89], v[0:1]
	v_add_u32_e32 v2, 15, v35
	v_cndmask_b32_e32 v2, v6, v2, vcc
	v_cndmask_b32_e64 v6, 0, 1, vcc
	v_lshrrev_b64 v[0:1], v6, v[0:1]
; %bb.9528:                             ;   in Loop: Header=BB6_5473 Depth=4
	s_or_saveexec_b64 s[28:29], s[28:29]
	v_mov_b32_e32 v48, v36
	v_mov_b32_e32 v49, v16
	s_xor_b64 exec, exec, s[28:29]
; %bb.9529:                             ;   in Loop: Header=BB6_5473 Depth=4
	v_bfe_u32 v2, v0, 23, 1
; %bb.9530:                             ;   in Loop: Header=BB6_5473 Depth=4
	s_or_b64 exec, exec, s[28:29]
	v_lshrrev_b64 v[0:1], 21, v[0:1]
	v_cmp_gt_i32_e32 vcc, 32, v2
	v_cndmask_b32_e32 v1, 0, v1, vcc
	v_cndmask_b32_e32 v0, 3, v0, vcc
	v_cmp_eq_u64_e64 s[28:29], 0, v[0:1]
	v_min_i32_e32 v1, 31, v2
	v_lshlrev_b32_e32 v1, 2, v1
	v_cmp_eq_u32_e32 vcc, 0, v2
	v_and_b32_e32 v1, 0xfc, v1
	v_and_or_b32 v0, v0, 3, v1
	s_and_b64 s[28:29], vcc, s[28:29]
	v_cndmask_b32_e64 v0, v0, 0, s[28:29]
	v_or_b32_e32 v35, v0, v22
.LBB6_9531:                             ;   in Loop: Header=BB6_5473 Depth=4
	s_or_b64 exec, exec, s[36:37]
                                        ; implicit-def: $vgpr22
.LBB6_9532:                             ;   in Loop: Header=BB6_5473 Depth=4
	s_andn2_saveexec_b64 s[28:29], s[34:35]
; %bb.9533:                             ;   in Loop: Header=BB6_5473 Depth=4
	v_or_b32_e32 v35, 0x7b, v22
; %bb.9534:                             ;   in Loop: Header=BB6_5473 Depth=4
	s_or_b64 exec, exec, s[28:29]
                                        ; implicit-def: $vgpr2
                                        ; implicit-def: $vgpr0_vgpr1
.LBB6_9535:                             ;   in Loop: Header=BB6_5473 Depth=4
	s_andn2_saveexec_b64 s[28:29], s[30:31]
	s_cbranch_execz .LBB6_9541
; %bb.9536:                             ;   in Loop: Header=BB6_5473 Depth=4
	v_cmp_ne_u64_e32 vcc, 0, v[0:1]
                                        ; implicit-def: $vgpr35
	s_and_saveexec_b64 s[62:63], vcc
	s_xor_b64 vcc, exec, s[62:63]
; %bb.9537:                             ;   in Loop: Header=BB6_5473 Depth=4
	v_or_b32_sdwa v35, v2, s44 dst_sel:DWORD dst_unused:UNUSED_PAD src0_sel:BYTE_3 src1_sel:DWORD
                                        ; implicit-def: $vgpr2
; %bb.9538:                             ;   in Loop: Header=BB6_5473 Depth=4
	s_andn2_saveexec_b64 s[30:31], vcc
; %bb.9539:                             ;   in Loop: Header=BB6_5473 Depth=4
	v_cmp_lt_i32_e32 vcc, -1, v2
	v_bfrev_b32_e32 v0, 0.5
	v_mov_b32_e32 v1, 0x7c
	v_cndmask_b32_e32 v35, v0, v1, vcc
; %bb.9540:                             ;   in Loop: Header=BB6_5473 Depth=4
	s_or_b64 exec, exec, s[30:31]
.LBB6_9541:                             ;   in Loop: Header=BB6_5473 Depth=4
	s_or_b64 exec, exec, s[28:29]
	v_cmp_lt_u32_e32 vcc, s57, v32
	v_mov_b32_e32 v1, 0
	v_mov_b32_e32 v2, 0
	s_and_saveexec_b64 s[28:29], vcc
	s_cbranch_execz .LBB6_9549
; %bb.9542:                             ;   in Loop: Header=BB6_5473 Depth=4
	v_lshrrev_b32_e32 v0, 24, v32
	v_cmp_ne_u32_e32 vcc, s97, v0
	v_bfrev_b32_e32 v2, 1
	s_and_saveexec_b64 s[30:31], vcc
	s_cbranch_execz .LBB6_9548
; %bb.9543:                             ;   in Loop: Header=BB6_5473 Depth=4
	v_and_b32_e32 v2, 0x7c000000, v32
	v_bfe_u32 v6, v32, 24, 2
	v_cmp_ne_u32_e32 vcc, s68, v2
                                        ; implicit-def: $vgpr2
	s_and_saveexec_b64 s[62:63], vcc
	s_xor_b64 s[34:35], exec, s[62:63]
	s_cbranch_execz .LBB6_9545
; %bb.9544:                             ;   in Loop: Header=BB6_5473 Depth=4
	v_ffbh_u32_e32 v22, v6
	v_min_u32_e32 v36, 32, v22
	v_subrev_u32_e32 v22, 29, v36
	v_lshlrev_b64 v[22:23], v22, v[0:1]
	v_bfe_u32 v2, v32, 26, 5
	v_sub_u32_e32 v0, 30, v36
	v_and_b32_e32 v22, 3, v22
	v_cmp_eq_u32_e32 vcc, 0, v2
	v_cndmask_b32_e32 v0, v2, v0, vcc
	v_cndmask_b32_e32 v2, v6, v22, vcc
	v_and_b32_e32 v6, 0x80000000, v32
	v_lshl_add_u32 v0, v0, 23, v6
	v_lshl_or_b32 v0, v2, 21, v0
	v_add_u32_e32 v2, 0x38000000, v0
                                        ; implicit-def: $vgpr6
.LBB6_9545:                             ;   in Loop: Header=BB6_5473 Depth=4
	s_andn2_saveexec_b64 s[34:35], s[34:35]
; %bb.9546:                             ;   in Loop: Header=BB6_5473 Depth=4
	v_cmp_lt_i32_e32 vcc, -1, v32
	v_mov_b32_e32 v0, 0xff800000
	v_mov_b32_e32 v2, 0x7f800000
	v_cndmask_b32_e32 v0, v0, v2, vcc
	v_cmp_eq_u32_e32 vcc, 0, v6
	v_mov_b32_e32 v2, 0x7f800001
	v_cndmask_b32_e32 v2, v2, v0, vcc
; %bb.9547:                             ;   in Loop: Header=BB6_5473 Depth=4
	s_or_b64 exec, exec, s[34:35]
.LBB6_9548:                             ;   in Loop: Header=BB6_5473 Depth=4
	s_or_b64 exec, exec, s[30:31]
.LBB6_9549:                             ;   in Loop: Header=BB6_5473 Depth=4
	s_or_b64 exec, exec, s[28:29]
	v_cmp_lt_u64_e32 vcc, s[56:57], v[10:11]
	s_and_saveexec_b64 s[28:29], vcc
	s_cbranch_execz .LBB6_9557
; %bb.9550:                             ;   in Loop: Header=BB6_5473 Depth=4
	v_lshrrev_b32_e32 v0, 24, v11
	v_cmp_ne_u32_e32 vcc, s97, v0
	v_bfrev_b32_e32 v1, 1
	s_and_saveexec_b64 s[30:31], vcc
	s_cbranch_execz .LBB6_9556
; %bb.9551:                             ;   in Loop: Header=BB6_5473 Depth=4
	v_and_b32_e32 v1, 0x7c000000, v11
	v_bfe_u32 v6, v11, 24, 2
	v_cmp_ne_u32_e32 vcc, s68, v1
                                        ; implicit-def: $vgpr1
	s_and_saveexec_b64 s[62:63], vcc
	s_xor_b64 s[34:35], exec, s[62:63]
	s_cbranch_execz .LBB6_9553
; %bb.9552:                             ;   in Loop: Header=BB6_5473 Depth=4
	v_ffbh_u32_e32 v1, v6
	v_min_u32_e32 v22, 32, v1
	v_subrev_u32_e32 v1, 29, v22
	v_lshlrev_b64 v[0:1], v1, v[0:1]
	v_bfe_u32 v10, v11, 26, 5
	v_sub_u32_e32 v1, 30, v22
	v_and_b32_e32 v0, 3, v0
	v_cmp_eq_u32_e32 vcc, 0, v10
	v_cndmask_b32_e32 v1, v10, v1, vcc
	v_cndmask_b32_e32 v0, v6, v0, vcc
	v_and_b32_e32 v6, 0x80000000, v11
	v_lshl_add_u32 v1, v1, 23, v6
	v_lshl_or_b32 v0, v0, 21, v1
	v_add_u32_e32 v1, 0x38000000, v0
                                        ; implicit-def: $vgpr6
                                        ; implicit-def: $vgpr10_vgpr11
.LBB6_9553:                             ;   in Loop: Header=BB6_5473 Depth=4
	s_andn2_saveexec_b64 s[34:35], s[34:35]
; %bb.9554:                             ;   in Loop: Header=BB6_5473 Depth=4
	v_cmp_lt_i64_e32 vcc, -1, v[10:11]
	v_mov_b32_e32 v0, 0xff800000
	v_mov_b32_e32 v1, 0x7f800000
	v_cndmask_b32_e32 v0, v0, v1, vcc
	v_cmp_eq_u32_e32 vcc, 0, v6
	v_mov_b32_e32 v1, 0x7f800001
	v_cndmask_b32_e32 v1, v1, v0, vcc
; %bb.9555:                             ;   in Loop: Header=BB6_5473 Depth=4
	s_or_b64 exec, exec, s[34:35]
.LBB6_9556:                             ;   in Loop: Header=BB6_5473 Depth=4
	s_or_b64 exec, exec, s[30:31]
.LBB6_9557:                             ;   in Loop: Header=BB6_5473 Depth=4
	s_or_b64 exec, exec, s[28:29]
	v_add_f32_e32 v1, v2, v1
	v_and_b32_e32 v10, 0x7f800000, v1
	v_mov_b32_e32 v11, v33
	v_cmp_ne_u64_e32 vcc, s[76:77], v[10:11]
	v_and_b32_e32 v32, 0x7fffff, v1
                                        ; implicit-def: $vgpr0
	s_and_saveexec_b64 s[28:29], vcc
	s_xor_b64 s[30:31], exec, s[28:29]
	s_cbranch_execz .LBB6_9571
; %bb.9558:                             ;   in Loop: Header=BB6_5473 Depth=4
	v_and_b32_e32 v10, 0x7fffffff, v1
	v_mov_b32_e32 v11, v33
	v_cmp_gt_u64_e32 vcc, s[78:79], v[10:11]
	v_and_b32_sdwa v10, v1, s97 dst_sel:DWORD dst_unused:UNUSED_PAD src0_sel:BYTE_3 src1_sel:DWORD
                                        ; implicit-def: $vgpr0
	s_and_saveexec_b64 s[28:29], vcc
	s_xor_b64 s[34:35], exec, s[28:29]
	s_cbranch_execz .LBB6_9568
; %bb.9559:                             ;   in Loop: Header=BB6_5473 Depth=4
	v_mov_b32_e32 v0, 0
	v_cmp_ne_u32_e32 vcc, 0, v1
	s_and_saveexec_b64 s[36:37], vcc
	s_cbranch_execz .LBB6_9567
; %bb.9560:                             ;   in Loop: Header=BB6_5473 Depth=4
	v_bfe_u32 v11, v1, 23, 8
	v_cmp_gt_u32_e64 s[28:29], s47, v11
	v_sub_u32_e32 v0, 0x71, v11
	v_cmp_eq_u32_e32 vcc, 0, v11
	v_cndmask_b32_e64 v0, 0, v0, s[28:29]
	v_mov_b32_e32 v2, 0x70
	v_cndmask_b32_e32 v6, v0, v2, vcc
	v_add_u32_e32 v2, 21, v6
	v_or_b32_e32 v1, 0x800000, v32
	v_lshlrev_b64 v[22:23], v2, -1
	v_cndmask_b32_e32 v0, v1, v32, vcc
	v_mov_b32_e32 v1, v33
	v_add_u32_e32 v2, 20, v6
	v_bfi_b32 v22, v22, 0, v0
	v_lshlrev_b64 v[38:39], v2, 1
	v_lshrrev_b64 v[0:1], v6, v[0:1]
	v_bfi_b32 v23, v23, 0, 0
	v_cmp_eq_u64_e64 s[28:29], v[22:23], v[38:39]
	v_mov_b32_e32 v2, v1
	v_mov_b32_e32 v1, v0
	s_and_saveexec_b64 s[38:39], s[28:29]
; %bb.9561:                             ;   in Loop: Header=BB6_5473 Depth=4
	v_bfe_u32 v1, v0, 21, 1
	v_add_co_u32_e64 v1, s[28:29], v0, v1
	v_add_co_u32_e64 v1, s[28:29], -1, v1
; %bb.9562:                             ;   in Loop: Header=BB6_5473 Depth=4
	s_or_b64 exec, exec, s[38:39]
	v_add_u32_e32 v2, 0xffffff81, v11
	v_mov_b32_e32 v11, 0xffffff82
	v_cndmask_b32_e32 v2, v2, v11, vcc
	v_lshrrev_b32_e32 v11, 23, v0
	v_add3_u32 v11, v6, v2, v11
	v_add_u32_e32 v6, 14, v11
	v_and_b32_e32 v1, 0x1fffff, v1
	v_add_u32_e32 v32, v1, v0
	v_cmp_ne_u32_e32 vcc, 0, v6
                                        ; implicit-def: $vgpr0_vgpr1
                                        ; implicit-def: $vgpr2
	s_and_saveexec_b64 s[28:29], vcc
	s_xor_b64 s[28:29], exec, s[28:29]
; %bb.9563:                             ;   in Loop: Header=BB6_5473 Depth=4
	v_cmp_lt_u64_e32 vcc, s[88:89], v[32:33]
	v_add_u32_e32 v0, 15, v11
	v_cndmask_b32_e32 v2, v6, v0, vcc
	v_cndmask_b32_e64 v0, 0, 1, vcc
	v_lshrrev_b64 v[0:1], v0, v[32:33]
; %bb.9564:                             ;   in Loop: Header=BB6_5473 Depth=4
	s_andn2_saveexec_b64 s[28:29], s[28:29]
; %bb.9565:                             ;   in Loop: Header=BB6_5473 Depth=4
	v_mov_b32_e32 v0, v32
	v_mov_b32_e32 v1, v33
	v_bfe_u32 v2, v32, 23, 1
; %bb.9566:                             ;   in Loop: Header=BB6_5473 Depth=4
	s_or_b64 exec, exec, s[28:29]
	v_lshrrev_b64 v[0:1], 21, v[0:1]
	v_cmp_gt_i32_e32 vcc, 32, v2
	v_cndmask_b32_e32 v1, 0, v1, vcc
	v_cndmask_b32_e32 v0, 3, v0, vcc
	v_cmp_eq_u64_e64 s[28:29], 0, v[0:1]
	v_min_i32_e32 v1, 31, v2
	v_lshlrev_b32_e32 v1, 2, v1
	v_cmp_eq_u32_e32 vcc, 0, v2
	v_and_b32_e32 v1, 0xfc, v1
	v_and_or_b32 v0, v0, 3, v1
	s_and_b64 s[28:29], vcc, s[28:29]
	v_cndmask_b32_e64 v0, v0, 0, s[28:29]
	v_or_b32_e32 v0, v0, v10
.LBB6_9567:                             ;   in Loop: Header=BB6_5473 Depth=4
	s_or_b64 exec, exec, s[36:37]
                                        ; implicit-def: $vgpr10
.LBB6_9568:                             ;   in Loop: Header=BB6_5473 Depth=4
	s_andn2_saveexec_b64 s[28:29], s[34:35]
; %bb.9569:                             ;   in Loop: Header=BB6_5473 Depth=4
	v_or_b32_e32 v0, 0x7b, v10
; %bb.9570:                             ;   in Loop: Header=BB6_5473 Depth=4
	s_or_b64 exec, exec, s[28:29]
                                        ; implicit-def: $vgpr1
.LBB6_9571:                             ;   in Loop: Header=BB6_5473 Depth=4
	s_andn2_saveexec_b64 s[28:29], s[30:31]
	s_cbranch_execz .LBB6_5472
; %bb.9572:                             ;   in Loop: Header=BB6_5473 Depth=4
	v_cmp_ne_u64_e32 vcc, 0, v[32:33]
                                        ; implicit-def: $vgpr0
	s_and_saveexec_b64 s[62:63], vcc
	s_xor_b64 vcc, exec, s[62:63]
; %bb.9573:                             ;   in Loop: Header=BB6_5473 Depth=4
	v_or_b32_sdwa v0, v1, s44 dst_sel:DWORD dst_unused:UNUSED_PAD src0_sel:BYTE_3 src1_sel:DWORD
                                        ; implicit-def: $vgpr1
; %bb.9574:                             ;   in Loop: Header=BB6_5473 Depth=4
	s_andn2_saveexec_b64 s[30:31], vcc
	s_cbranch_execz .LBB6_5471
; %bb.9575:                             ;   in Loop: Header=BB6_5473 Depth=4
	v_cmp_lt_i32_e32 vcc, -1, v1
	v_bfrev_b32_e32 v0, 0.5
	v_mov_b32_e32 v1, 0x7c
	v_cndmask_b32_e32 v0, v0, v1, vcc
	s_branch .LBB6_5471
.LBB6_9576:                             ;   in Loop: Header=BB6_5390 Depth=3
	s_or_b64 exec, exec, s[40:41]
	buffer_load_dword v61, off, s[0:3], s33 offset:516 ; 4-byte Folded Reload
	buffer_load_dword v51, off, s[0:3], s33 offset:532 ; 4-byte Folded Reload
	;; [unrolled: 1-line block ×6, first 2 shown]
.LBB6_9577:                             ;   in Loop: Header=BB6_5390 Depth=3
	s_or_b64 exec, exec, s[42:43]
	buffer_load_dword v0, off, s[0:3], s33 offset:452 ; 4-byte Folded Reload
	s_waitcnt vmcnt(1)
	v_lshlrev_b32_e32 v16, 12, v1
	s_mov_b64 s[28:29], 0
	v_mov_b32_e32 v4, 0
                                        ; implicit-def: $vgpr5
                                        ; implicit-def: $vgpr2
	s_waitcnt vmcnt(0)
	v_cmp_ne_u32_e32 vcc, v0, v16
	s_and_saveexec_b64 s[30:31], vcc
	s_cbranch_execz .LBB6_10583
; %bb.9578:                             ;   in Loop: Header=BB6_5390 Depth=3
	buffer_load_dword v0, off, s[0:3], s33 offset:452 ; 4-byte Folded Reload
	buffer_load_dword v2, off, s[0:3], s33 offset:688 ; 4-byte Folded Reload
	s_waitcnt vmcnt(1)
	v_sub_u32_e32 v1, v0, v16
	v_lshlrev_b32_e32 v0, 6, v3
	s_waitcnt vmcnt(0)
	v_sub_u32_e32 v0, v2, v0
	v_ashrrev_i32_e32 v2, 31, v0
	v_lshrrev_b32_e32 v2, 26, v2
	v_add_u32_e32 v2, v0, v2
	v_ashrrev_i32_e32 v3, 6, v2
	v_and_b32_e32 v2, 0xffffffc0, v2
	v_sub_u32_e32 v17, v0, v2
	v_ashrrev_i32_e32 v2, 31, v1
	v_lshrrev_b32_e32 v2, 22, v2
	v_add_u32_e32 v2, v1, v2
	v_and_b32_e32 v18, 0xfffffc00, v2
	v_lshlrev_b32_e32 v0, 4, v17
	v_sub_u32_e32 v19, v1, v18
	v_lshl_add_u32 v0, v3, 10, v0
	v_ashrrev_i32_e32 v4, 10, v2
	v_cmp_lt_i32_e64 s[28:29], 15, v19
	v_sub_u32_e32 v21, v1, v0
	v_addc_co_u32_e64 v1, vcc, 0, v4, s[28:29]
	v_sub_u32_e32 v20, v1, v3
	v_cmp_lt_i32_e32 vcc, 15, v21
	s_and_saveexec_b64 s[34:35], vcc
	s_cbranch_execz .LBB6_10582
; %bb.9579:                             ;   in Loop: Header=BB6_5390 Depth=3
	v_add_u32_e32 v6, v0, v16
	s_trap 2
	ds_read_b64 v[0:1], v0
	v_ashrrev_i32_e32 v7, 31, v6
	v_add_co_u32_e32 v2, vcc, v6, v53
	v_addc_co_u32_e32 v3, vcc, v7, v54, vcc
	s_waitcnt lgkmcnt(0)
	v_add_co_u32_e32 v4, vcc, v0, v6
	v_addc_co_u32_e32 v5, vcc, v1, v7, vcc
	v_readfirstlane_b32 s42, v0
	v_add_co_u32_e32 v12, vcc, v6, v51
	s_bfe_i32 s62, s42, 0x80000
	s_and_b32 s43, s42, 3
	s_bfe_u32 s40, s42, 0x50002
	s_and_b32 s41, s42, 0x7c
	v_addc_co_u32_e32 v13, vcc, v7, v52, vcc
	s_cmpk_eq_i32 s41, 0x7c
	s_flbit_i32_b32 s41, s43
	s_cselect_b64 vcc, -1, 0
	s_min_u32 s41, s41, 32
	s_sub_i32 s63, s41, 29
	v_lshlrev_b64 v[0:1], s63, v[0:1]
	s_sub_i32 s41, 30, s41
	s_cmp_eq_u32 s40, 0
	v_and_b32_e32 v0, 3, v0
	s_cselect_b32 s63, s41, s40
	v_mov_b32_e32 v1, s43
	s_cselect_b64 s[40:41], -1, 0
	v_cndmask_b32_e64 v0, v1, v0, s[40:41]
	s_lshl_b32 s40, s42, 24
	s_and_b32 s40, s40, 0x80000000
	s_lshl_b32 s41, s63, 23
	s_add_i32 s41, s41, s40
	v_lshlrev_b32_e32 v0, 21, v0
	s_cmp_eq_u32 s43, 0
	s_sext_i32_i8 s42, s42
	v_or_b32_e32 v0, s41, v0
	s_cselect_b64 s[40:41], -1, 0
	s_cmp_gt_i32 s42, -1
	s_cselect_b64 s[42:43], -1, 0
	v_mov_b32_e32 v1, 0xff800000
	v_mov_b32_e32 v6, 0x7f800000
	v_cndmask_b32_e64 v1, v1, v6, s[42:43]
	v_mov_b32_e32 v6, 0x7f800001
	v_add_u32_e32 v0, 0x38000000, v0
	v_cndmask_b32_e64 v1, v6, v1, s[40:41]
	v_cndmask_b32_e32 v22, v0, v1, vcc
	s_mov_b64 s[36:37], 0
	s_and_b32 s52, s62, 0xff
	s_branch .LBB6_9582
.LBB6_9580:                             ;   in Loop: Header=BB6_9582 Depth=4
	s_or_b64 exec, exec, s[42:43]
.LBB6_9581:                             ;   in Loop: Header=BB6_9582 Depth=4
	s_or_b64 exec, exec, s[40:41]
	v_lshl_or_b32 v1, v15, 8, v14
	v_lshlrev_b32_e32 v6, 16, v36
	v_lshlrev_b32_e32 v7, 24, v9
	v_or3_b32 v29, v1, v6, v7
	v_lshl_or_b32 v1, v25, 8, v23
	v_lshlrev_b32_e32 v6, 16, v28
	v_lshlrev_b32_e32 v7, 24, v34
	v_or3_b32 v28, v1, v6, v7
	;; [unrolled: 4-line block ×3, first 2 shown]
	v_lshlrev_b32_e32 v0, 24, v0
	v_lshlrev_b32_e32 v1, 16, v27
	v_lshl_or_b32 v6, v24, 8, v8
	v_or3_b32 v31, v6, v1, v0
	buffer_load_dword v0, off, s[0:3], s33 offset:444 ; 4-byte Folded Reload
	s_waitcnt vmcnt(0)
	v_add_co_u32_e32 v2, vcc, v2, v0
	v_addc_co_u32_e32 v3, vcc, 0, v3, vcc
	v_add_co_u32_e32 v4, vcc, v4, v0
	v_addc_co_u32_e32 v5, vcc, 0, v5, vcc
	global_store_dwordx4 v[12:13], v[28:31], off glc slc
	v_add_co_u32_e32 v12, vcc, v12, v0
	v_sub_u32_e32 v21, v21, v0
	buffer_load_dword v0, off, s[0:3], s33 offset:284 ; 4-byte Folded Reload
	v_addc_co_u32_e32 v13, vcc, 0, v13, vcc
	v_cmp_gt_i32_e32 vcc, 16, v21
	s_or_b64 s[36:37], vcc, s[36:37]
	s_waitcnt vmcnt(0)
	v_sub_u32_e32 v20, v20, v0
	s_andn2_b64 exec, exec, s[36:37]
	s_cbranch_execz .LBB6_10581
.LBB6_9582:                             ;   Parent Loop BB6_47 Depth=1
                                        ;     Parent Loop BB6_5387 Depth=2
                                        ;       Parent Loop BB6_5390 Depth=3
                                        ; =>      This Inner Loop Header: Depth=4
	s_cmpk_lt_i32 s52, 0x80
	s_cbranch_scc1 .LBB6_9586
; %bb.9583:                             ;   in Loop: Header=BB6_9582 Depth=4
	s_and_b32 s42, 0xffff, s52
	s_mov_b64 s[40:41], -1
	s_cmpk_eq_i32 s42, 0x80
	s_cbranch_scc0 .LBB6_9585
; %bb.9584:                             ;   in Loop: Header=BB6_9582 Depth=4
	s_mov_b64 s[40:41], 0
.LBB6_9585:                             ;   in Loop: Header=BB6_9582 Depth=4
	s_brev_b32 s62, 1
	s_branch .LBB6_9588
.LBB6_9586:                             ;   in Loop: Header=BB6_9582 Depth=4
	s_mov_b64 s[40:41], 0
	s_brev_b32 s62, 1
	s_cbranch_execz .LBB6_9588
; %bb.9587:                             ;   in Loop: Header=BB6_9582 Depth=4
	s_and_b32 s40, 0xffff, s52
	s_cmp_lg_u32 s40, 0
	s_mov_b32 s62, 0
	s_cselect_b64 s[40:41], -1, 0
.LBB6_9588:                             ;   in Loop: Header=BB6_9582 Depth=4
	s_andn2_b64 vcc, exec, s[40:41]
	v_mov_b32_e32 v23, s62
	s_cbranch_vccnz .LBB6_9590
; %bb.9589:                             ;   in Loop: Header=BB6_9582 Depth=4
	v_mov_b32_e32 v23, v22
.LBB6_9590:                             ;   in Loop: Header=BB6_9582 Depth=4
	global_load_dwordx4 v[8:11], v[2:3], off glc slc
	v_mov_b32_e32 v0, 0
	s_waitcnt vmcnt(0)
	v_cmp_ne_u16_sdwa s[42:43], v8, v33 src0_sel:BYTE_0 src1_sel:DWORD
	s_and_saveexec_b64 s[40:41], s[42:43]
	s_cbranch_execz .LBB6_9598
; %bb.9591:                             ;   in Loop: Header=BB6_9582 Depth=4
	v_cmp_ne_u16_sdwa s[62:63], sext(v8), s46 src0_sel:BYTE_0 src1_sel:DWORD
	v_bfrev_b32_e32 v0, 1
	s_and_saveexec_b64 s[42:43], s[62:63]
	s_cbranch_execz .LBB6_9597
; %bb.9592:                             ;   in Loop: Header=BB6_9582 Depth=4
	v_and_b32_e32 v0, 0x7c, v8
	v_and_b32_e32 v1, 3, v8
	v_cmp_ne_u32_e32 vcc, s86, v0
                                        ; implicit-def: $vgpr0
	s_and_saveexec_b64 s[62:63], vcc
	s_xor_b64 s[38:39], exec, s[62:63]
	s_cbranch_execz .LBB6_9594
; %bb.9593:                             ;   in Loop: Header=BB6_9582 Depth=4
	v_ffbh_u32_e32 v6, v1
	v_min_u32_e32 v14, 32, v6
	v_subrev_u32_e32 v6, 29, v14
	v_lshlrev_b64 v[6:7], v6, v[8:9]
	v_bfe_u32 v0, v8, 2, 5
	v_and_b32_e32 v6, 3, v6
	v_cmp_eq_u32_e32 vcc, 0, v0
	v_sub_u32_e32 v7, 30, v14
	v_cndmask_b32_e32 v1, v1, v6, vcc
	v_lshlrev_b32_e32 v6, 24, v8
	v_cndmask_b32_e32 v0, v0, v7, vcc
	v_and_b32_e32 v6, 0x80000000, v6
	v_lshl_add_u32 v0, v0, 23, v6
	v_lshl_or_b32 v0, v1, 21, v0
	v_add_u32_e32 v0, 0x38000000, v0
                                        ; implicit-def: $vgpr1
.LBB6_9594:                             ;   in Loop: Header=BB6_9582 Depth=4
	s_andn2_saveexec_b64 s[38:39], s[38:39]
; %bb.9595:                             ;   in Loop: Header=BB6_9582 Depth=4
	v_mov_b32_e32 v0, -1
	v_cmp_gt_i16_sdwa vcc, sext(v8), v0 src0_sel:BYTE_0 src1_sel:DWORD
	v_mov_b32_e32 v0, 0xff800000
	v_mov_b32_e32 v6, 0x7f800000
	v_cndmask_b32_e32 v0, v0, v6, vcc
	v_cmp_eq_u32_e32 vcc, 0, v1
	v_mov_b32_e32 v1, 0x7f800001
	v_cndmask_b32_e32 v0, v1, v0, vcc
; %bb.9596:                             ;   in Loop: Header=BB6_9582 Depth=4
	s_or_b64 exec, exec, s[38:39]
.LBB6_9597:                             ;   in Loop: Header=BB6_9582 Depth=4
	s_or_b64 exec, exec, s[42:43]
.LBB6_9598:                             ;   in Loop: Header=BB6_9582 Depth=4
	s_or_b64 exec, exec, s[40:41]
	v_mul_f32_e32 v0, v23, v0
	v_and_b32_e32 v6, 0x7f800000, v0
	v_mov_b32_e32 v7, v33
	v_cmp_ne_u64_e32 vcc, s[76:77], v[6:7]
	v_and_b32_e32 v32, 0x7fffff, v0
                                        ; implicit-def: $vgpr15
	s_and_saveexec_b64 s[40:41], vcc
	s_xor_b64 s[42:43], exec, s[40:41]
	s_cbranch_execz .LBB6_9612
; %bb.9599:                             ;   in Loop: Header=BB6_9582 Depth=4
	v_and_b32_e32 v6, 0x7fffffff, v0
	v_mov_b32_e32 v7, v33
	v_cmp_gt_u64_e32 vcc, s[78:79], v[6:7]
	v_and_b32_sdwa v14, v0, s97 dst_sel:DWORD dst_unused:UNUSED_PAD src0_sel:BYTE_3 src1_sel:DWORD
                                        ; implicit-def: $vgpr15
	s_and_saveexec_b64 s[40:41], vcc
	s_xor_b64 s[38:39], exec, s[40:41]
	s_cbranch_execz .LBB6_9609
; %bb.9600:                             ;   in Loop: Header=BB6_9582 Depth=4
	v_mov_b32_e32 v15, 0
	v_cmp_ne_u32_e32 vcc, 0, v0
	s_and_saveexec_b64 s[48:49], vcc
	s_cbranch_execz .LBB6_9608
; %bb.9601:                             ;   in Loop: Header=BB6_9582 Depth=4
	v_bfe_u32 v15, v0, 23, 8
	v_cmp_gt_u32_e64 s[40:41], s47, v15
	v_sub_u32_e32 v0, 0x71, v15
	v_cmp_eq_u32_e32 vcc, 0, v15
	v_cndmask_b32_e64 v0, 0, v0, s[40:41]
	v_mov_b32_e32 v6, 0x70
	v_cndmask_b32_e32 v24, v0, v6, vcc
	v_add_u32_e32 v6, 21, v24
	v_or_b32_e32 v1, 0x800000, v32
	v_lshlrev_b64 v[6:7], v6, -1
	v_cndmask_b32_e32 v0, v1, v32, vcc
	v_mov_b32_e32 v1, v33
	v_add_u32_e32 v25, 20, v24
	v_bfi_b32 v6, v6, 0, v0
	v_lshlrev_b64 v[25:26], v25, 1
	v_lshrrev_b64 v[0:1], v24, v[0:1]
	v_bfi_b32 v7, v7, 0, 0
	v_cmp_eq_u64_e64 s[40:41], v[6:7], v[25:26]
	v_mov_b32_e32 v7, v1
	v_mov_b32_e32 v6, v0
	s_and_saveexec_b64 s[50:51], s[40:41]
; %bb.9602:                             ;   in Loop: Header=BB6_9582 Depth=4
	v_bfe_u32 v1, v0, 21, 1
	v_add_co_u32_e64 v1, s[40:41], v0, v1
	v_add_co_u32_e64 v6, s[40:41], -1, v1
; %bb.9603:                             ;   in Loop: Header=BB6_9582 Depth=4
	s_or_b64 exec, exec, s[50:51]
	v_add_u32_e32 v1, 0xffffff81, v15
	v_mov_b32_e32 v7, 0xffffff82
	v_cndmask_b32_e32 v1, v1, v7, vcc
	v_lshrrev_b32_e32 v7, 23, v0
	v_add3_u32 v15, v24, v1, v7
	v_add_u32_e32 v7, 14, v15
	v_and_b32_e32 v1, 0x1fffff, v6
	v_add_u32_e32 v32, v1, v0
	v_cmp_ne_u32_e32 vcc, 0, v7
                                        ; implicit-def: $vgpr0_vgpr1
                                        ; implicit-def: $vgpr6
	s_and_saveexec_b64 s[40:41], vcc
	s_xor_b64 s[40:41], exec, s[40:41]
; %bb.9604:                             ;   in Loop: Header=BB6_9582 Depth=4
	v_cmp_lt_u64_e32 vcc, s[88:89], v[32:33]
	v_add_u32_e32 v0, 15, v15
	v_cndmask_b32_e32 v6, v7, v0, vcc
	v_cndmask_b32_e64 v0, 0, 1, vcc
	v_lshrrev_b64 v[0:1], v0, v[32:33]
; %bb.9605:                             ;   in Loop: Header=BB6_9582 Depth=4
	s_andn2_saveexec_b64 s[40:41], s[40:41]
; %bb.9606:                             ;   in Loop: Header=BB6_9582 Depth=4
	v_mov_b32_e32 v0, v32
	v_mov_b32_e32 v1, v33
	v_bfe_u32 v6, v32, 23, 1
; %bb.9607:                             ;   in Loop: Header=BB6_9582 Depth=4
	s_or_b64 exec, exec, s[40:41]
	v_lshrrev_b64 v[0:1], 21, v[0:1]
	v_cmp_gt_i32_e32 vcc, 32, v6
	v_cndmask_b32_e32 v1, 0, v1, vcc
	v_cndmask_b32_e32 v0, 3, v0, vcc
	v_cmp_eq_u64_e64 s[40:41], 0, v[0:1]
	v_min_i32_e32 v1, 31, v6
	v_lshlrev_b32_e32 v1, 2, v1
	v_cmp_eq_u32_e32 vcc, 0, v6
	v_and_b32_e32 v1, 0xfc, v1
	v_and_or_b32 v0, v0, 3, v1
	s_and_b64 s[40:41], vcc, s[40:41]
	v_cndmask_b32_e64 v0, v0, 0, s[40:41]
	v_or_b32_e32 v15, v0, v14
.LBB6_9608:                             ;   in Loop: Header=BB6_9582 Depth=4
	s_or_b64 exec, exec, s[48:49]
                                        ; implicit-def: $vgpr14
.LBB6_9609:                             ;   in Loop: Header=BB6_9582 Depth=4
	s_andn2_saveexec_b64 s[40:41], s[38:39]
; %bb.9610:                             ;   in Loop: Header=BB6_9582 Depth=4
	v_or_b32_e32 v15, 0x7b, v14
; %bb.9611:                             ;   in Loop: Header=BB6_9582 Depth=4
	s_or_b64 exec, exec, s[40:41]
                                        ; implicit-def: $vgpr0
.LBB6_9612:                             ;   in Loop: Header=BB6_9582 Depth=4
	s_andn2_saveexec_b64 s[40:41], s[42:43]
	s_cbranch_execz .LBB6_9618
; %bb.9613:                             ;   in Loop: Header=BB6_9582 Depth=4
	v_cmp_ne_u64_e32 vcc, 0, v[32:33]
                                        ; implicit-def: $vgpr15
	s_and_saveexec_b64 s[42:43], vcc
	s_xor_b64 s[42:43], exec, s[42:43]
; %bb.9614:                             ;   in Loop: Header=BB6_9582 Depth=4
	v_or_b32_sdwa v15, v0, s44 dst_sel:DWORD dst_unused:UNUSED_PAD src0_sel:BYTE_3 src1_sel:DWORD
                                        ; implicit-def: $vgpr0
; %bb.9615:                             ;   in Loop: Header=BB6_9582 Depth=4
	s_andn2_saveexec_b64 s[42:43], s[42:43]
; %bb.9616:                             ;   in Loop: Header=BB6_9582 Depth=4
	v_cmp_lt_i32_e32 vcc, -1, v0
	v_bfrev_b32_e32 v0, 0.5
	v_mov_b32_e32 v1, 0x7c
	v_cndmask_b32_e32 v15, v0, v1, vcc
; %bb.9617:                             ;   in Loop: Header=BB6_9582 Depth=4
	s_or_b64 exec, exec, s[42:43]
.LBB6_9618:                             ;   in Loop: Header=BB6_9582 Depth=4
	s_or_b64 exec, exec, s[40:41]
	v_lshrrev_b16_e32 v0, 8, v8
	v_cmp_ne_u16_e32 vcc, 0, v0
	v_mov_b32_e32 v1, 0
	s_and_saveexec_b64 s[40:41], vcc
	s_cbranch_execz .LBB6_9626
; %bb.9619:                             ;   in Loop: Header=BB6_9582 Depth=4
	v_cmp_ne_u16_e32 vcc, s97, v0
	v_bfrev_b32_e32 v1, 1
	s_and_saveexec_b64 s[42:43], vcc
	s_cbranch_execz .LBB6_9625
; %bb.9620:                             ;   in Loop: Header=BB6_9582 Depth=4
	v_and_b32_e32 v1, 0x7c, v0
	v_and_b32_e32 v6, 3, v0
	v_cmp_ne_u32_e32 vcc, s86, v1
                                        ; implicit-def: $vgpr1
	s_and_saveexec_b64 s[62:63], vcc
	s_xor_b64 s[38:39], exec, s[62:63]
	s_cbranch_execz .LBB6_9622
; %bb.9621:                             ;   in Loop: Header=BB6_9582 Depth=4
	v_ffbh_u32_e32 v14, v6
	v_min_u32_e32 v14, 32, v14
	v_mov_b32_e32 v1, v33
	v_subrev_u32_e32 v24, 29, v14
	v_bfe_u32 v7, v0, 2, 5
	v_lshlrev_b64 v[0:1], v24, v[0:1]
	v_cmp_eq_u32_e32 vcc, 0, v7
	v_and_b32_e32 v0, 3, v0
	v_sub_u32_e32 v1, 30, v14
	v_cndmask_b32_e32 v0, v6, v0, vcc
	v_lshlrev_b32_e32 v6, 16, v8
	v_cndmask_b32_e32 v1, v7, v1, vcc
	v_and_b32_e32 v6, 0x80000000, v6
	v_lshl_add_u32 v1, v1, 23, v6
	v_lshl_or_b32 v0, v0, 21, v1
	v_add_u32_e32 v1, 0x38000000, v0
                                        ; implicit-def: $vgpr6
.LBB6_9622:                             ;   in Loop: Header=BB6_9582 Depth=4
	s_andn2_saveexec_b64 s[38:39], s[38:39]
; %bb.9623:                             ;   in Loop: Header=BB6_9582 Depth=4
	v_cmp_lt_i16_e32 vcc, -1, v8
	v_mov_b32_e32 v0, 0xff800000
	v_mov_b32_e32 v1, 0x7f800000
	v_cndmask_b32_e32 v0, v0, v1, vcc
	v_cmp_eq_u32_e32 vcc, 0, v6
	v_mov_b32_e32 v1, 0x7f800001
	v_cndmask_b32_e32 v1, v1, v0, vcc
; %bb.9624:                             ;   in Loop: Header=BB6_9582 Depth=4
	s_or_b64 exec, exec, s[38:39]
.LBB6_9625:                             ;   in Loop: Header=BB6_9582 Depth=4
	s_or_b64 exec, exec, s[42:43]
.LBB6_9626:                             ;   in Loop: Header=BB6_9582 Depth=4
	s_or_b64 exec, exec, s[40:41]
	v_mul_f32_e32 v0, v23, v1
	v_and_b32_e32 v6, 0x7f800000, v0
	v_mov_b32_e32 v7, v33
	v_cmp_ne_u64_e32 vcc, s[76:77], v[6:7]
	v_and_b32_e32 v32, 0x7fffff, v0
                                        ; implicit-def: $vgpr25
	s_and_saveexec_b64 s[40:41], vcc
	s_xor_b64 s[42:43], exec, s[40:41]
	s_cbranch_execz .LBB6_9640
; %bb.9627:                             ;   in Loop: Header=BB6_9582 Depth=4
	v_and_b32_e32 v6, 0x7fffffff, v0
	v_mov_b32_e32 v7, v33
	v_cmp_gt_u64_e32 vcc, s[78:79], v[6:7]
	v_and_b32_sdwa v14, v0, s97 dst_sel:DWORD dst_unused:UNUSED_PAD src0_sel:BYTE_3 src1_sel:DWORD
                                        ; implicit-def: $vgpr25
	s_and_saveexec_b64 s[40:41], vcc
	s_xor_b64 s[38:39], exec, s[40:41]
	s_cbranch_execz .LBB6_9637
; %bb.9628:                             ;   in Loop: Header=BB6_9582 Depth=4
	v_mov_b32_e32 v25, 0
	v_cmp_ne_u32_e32 vcc, 0, v0
	s_and_saveexec_b64 s[48:49], vcc
	s_cbranch_execz .LBB6_9636
; %bb.9629:                             ;   in Loop: Header=BB6_9582 Depth=4
	v_bfe_u32 v24, v0, 23, 8
	v_cmp_gt_u32_e64 s[40:41], s47, v24
	v_sub_u32_e32 v0, 0x71, v24
	v_cmp_eq_u32_e32 vcc, 0, v24
	v_cndmask_b32_e64 v0, 0, v0, s[40:41]
	v_mov_b32_e32 v6, 0x70
	v_cndmask_b32_e32 v25, v0, v6, vcc
	v_add_u32_e32 v6, 21, v25
	v_or_b32_e32 v1, 0x800000, v32
	v_lshlrev_b64 v[6:7], v6, -1
	v_cndmask_b32_e32 v0, v1, v32, vcc
	v_mov_b32_e32 v1, v33
	v_add_u32_e32 v26, 20, v25
	v_bfi_b32 v6, v6, 0, v0
	v_lshlrev_b64 v[26:27], v26, 1
	v_lshrrev_b64 v[0:1], v25, v[0:1]
	v_bfi_b32 v7, v7, 0, 0
	v_cmp_eq_u64_e64 s[40:41], v[6:7], v[26:27]
	v_mov_b32_e32 v7, v1
	v_mov_b32_e32 v6, v0
	s_and_saveexec_b64 s[50:51], s[40:41]
; %bb.9630:                             ;   in Loop: Header=BB6_9582 Depth=4
	v_bfe_u32 v1, v0, 21, 1
	v_add_co_u32_e64 v1, s[40:41], v0, v1
	v_add_co_u32_e64 v6, s[40:41], -1, v1
; %bb.9631:                             ;   in Loop: Header=BB6_9582 Depth=4
	s_or_b64 exec, exec, s[50:51]
	v_add_u32_e32 v1, 0xffffff81, v24
	v_mov_b32_e32 v7, 0xffffff82
	v_cndmask_b32_e32 v1, v1, v7, vcc
	v_lshrrev_b32_e32 v7, 23, v0
	v_add3_u32 v24, v25, v1, v7
	v_add_u32_e32 v7, 14, v24
	v_and_b32_e32 v1, 0x1fffff, v6
	v_add_u32_e32 v32, v1, v0
	v_cmp_ne_u32_e32 vcc, 0, v7
                                        ; implicit-def: $vgpr0_vgpr1
                                        ; implicit-def: $vgpr6
	s_and_saveexec_b64 s[40:41], vcc
	s_xor_b64 s[40:41], exec, s[40:41]
; %bb.9632:                             ;   in Loop: Header=BB6_9582 Depth=4
	v_cmp_lt_u64_e32 vcc, s[88:89], v[32:33]
	v_add_u32_e32 v0, 15, v24
	v_cndmask_b32_e32 v6, v7, v0, vcc
	v_cndmask_b32_e64 v0, 0, 1, vcc
	v_lshrrev_b64 v[0:1], v0, v[32:33]
; %bb.9633:                             ;   in Loop: Header=BB6_9582 Depth=4
	s_andn2_saveexec_b64 s[40:41], s[40:41]
; %bb.9634:                             ;   in Loop: Header=BB6_9582 Depth=4
	v_mov_b32_e32 v0, v32
	v_mov_b32_e32 v1, v33
	v_bfe_u32 v6, v32, 23, 1
; %bb.9635:                             ;   in Loop: Header=BB6_9582 Depth=4
	s_or_b64 exec, exec, s[40:41]
	v_lshrrev_b64 v[0:1], 21, v[0:1]
	v_cmp_gt_i32_e32 vcc, 32, v6
	v_cndmask_b32_e32 v1, 0, v1, vcc
	v_cndmask_b32_e32 v0, 3, v0, vcc
	v_cmp_eq_u64_e64 s[40:41], 0, v[0:1]
	v_min_i32_e32 v1, 31, v6
	v_lshlrev_b32_e32 v1, 2, v1
	v_cmp_eq_u32_e32 vcc, 0, v6
	v_and_b32_e32 v1, 0xfc, v1
	v_and_or_b32 v0, v0, 3, v1
	s_and_b64 s[40:41], vcc, s[40:41]
	v_cndmask_b32_e64 v0, v0, 0, s[40:41]
	v_or_b32_e32 v25, v0, v14
.LBB6_9636:                             ;   in Loop: Header=BB6_9582 Depth=4
	s_or_b64 exec, exec, s[48:49]
                                        ; implicit-def: $vgpr14
.LBB6_9637:                             ;   in Loop: Header=BB6_9582 Depth=4
	s_andn2_saveexec_b64 s[40:41], s[38:39]
; %bb.9638:                             ;   in Loop: Header=BB6_9582 Depth=4
	v_or_b32_e32 v25, 0x7b, v14
; %bb.9639:                             ;   in Loop: Header=BB6_9582 Depth=4
	s_or_b64 exec, exec, s[40:41]
                                        ; implicit-def: $vgpr0
.LBB6_9640:                             ;   in Loop: Header=BB6_9582 Depth=4
	s_andn2_saveexec_b64 s[40:41], s[42:43]
	s_cbranch_execz .LBB6_9646
; %bb.9641:                             ;   in Loop: Header=BB6_9582 Depth=4
	v_cmp_ne_u64_e32 vcc, 0, v[32:33]
                                        ; implicit-def: $vgpr25
	s_and_saveexec_b64 s[42:43], vcc
	s_xor_b64 s[42:43], exec, s[42:43]
; %bb.9642:                             ;   in Loop: Header=BB6_9582 Depth=4
	v_or_b32_sdwa v25, v0, s44 dst_sel:DWORD dst_unused:UNUSED_PAD src0_sel:BYTE_3 src1_sel:DWORD
                                        ; implicit-def: $vgpr0
; %bb.9643:                             ;   in Loop: Header=BB6_9582 Depth=4
	s_andn2_saveexec_b64 s[42:43], s[42:43]
; %bb.9644:                             ;   in Loop: Header=BB6_9582 Depth=4
	v_cmp_lt_i32_e32 vcc, -1, v0
	v_bfrev_b32_e32 v0, 0.5
	v_mov_b32_e32 v1, 0x7c
	v_cndmask_b32_e32 v25, v0, v1, vcc
; %bb.9645:                             ;   in Loop: Header=BB6_9582 Depth=4
	s_or_b64 exec, exec, s[42:43]
.LBB6_9646:                             ;   in Loop: Header=BB6_9582 Depth=4
	s_or_b64 exec, exec, s[40:41]
	v_lshrrev_b32_e32 v0, 16, v8
	v_cmp_ne_u16_sdwa s[42:43], v0, v33 src0_sel:BYTE_0 src1_sel:DWORD
	v_mov_b32_e32 v1, 0
	s_and_saveexec_b64 s[40:41], s[42:43]
	s_cbranch_execz .LBB6_9654
; %bb.9647:                             ;   in Loop: Header=BB6_9582 Depth=4
	v_cmp_ne_u16_sdwa s[62:63], v0, s97 src0_sel:BYTE_0 src1_sel:DWORD
	v_bfrev_b32_e32 v1, 1
	s_and_saveexec_b64 s[42:43], s[62:63]
	s_cbranch_execz .LBB6_9653
; %bb.9648:                             ;   in Loop: Header=BB6_9582 Depth=4
	v_and_b32_e32 v1, 0x7c0000, v8
	v_bfe_u32 v6, v8, 16, 2
	v_cmp_ne_u32_e32 vcc, s45, v1
                                        ; implicit-def: $vgpr1
	s_and_saveexec_b64 s[62:63], vcc
	s_xor_b64 s[38:39], exec, s[62:63]
	s_cbranch_execz .LBB6_9650
; %bb.9649:                             ;   in Loop: Header=BB6_9582 Depth=4
	v_ffbh_u32_e32 v1, v6
	v_min_u32_e32 v14, 32, v1
	v_subrev_u32_e32 v1, 29, v14
	v_lshlrev_b64 v[0:1], v1, v[0:1]
	v_bfe_u32 v7, v8, 18, 5
	v_and_b32_e32 v0, 3, v0
	v_cmp_eq_u32_e32 vcc, 0, v7
	v_sub_u32_e32 v1, 30, v14
	v_cndmask_b32_e32 v0, v6, v0, vcc
	v_lshlrev_b32_e32 v6, 8, v8
	v_cndmask_b32_e32 v1, v7, v1, vcc
	v_and_b32_e32 v6, 0x80000000, v6
	v_lshl_add_u32 v1, v1, 23, v6
	v_lshl_or_b32 v0, v0, 21, v1
	v_add_u32_e32 v1, 0x38000000, v0
                                        ; implicit-def: $vgpr6
                                        ; implicit-def: $vgpr0
.LBB6_9650:                             ;   in Loop: Header=BB6_9582 Depth=4
	s_andn2_saveexec_b64 s[38:39], s[38:39]
; %bb.9651:                             ;   in Loop: Header=BB6_9582 Depth=4
	v_mov_b32_e32 v1, -1
	v_cmp_gt_i16_sdwa vcc, sext(v0), v1 src0_sel:BYTE_0 src1_sel:DWORD
	v_mov_b32_e32 v0, 0xff800000
	v_mov_b32_e32 v1, 0x7f800000
	v_cndmask_b32_e32 v0, v0, v1, vcc
	v_cmp_eq_u32_e32 vcc, 0, v6
	v_mov_b32_e32 v1, 0x7f800001
	v_cndmask_b32_e32 v1, v1, v0, vcc
; %bb.9652:                             ;   in Loop: Header=BB6_9582 Depth=4
	s_or_b64 exec, exec, s[38:39]
.LBB6_9653:                             ;   in Loop: Header=BB6_9582 Depth=4
	s_or_b64 exec, exec, s[42:43]
.LBB6_9654:                             ;   in Loop: Header=BB6_9582 Depth=4
	s_or_b64 exec, exec, s[40:41]
	v_mul_f32_e32 v0, v23, v1
	v_and_b32_e32 v6, 0x7f800000, v0
	v_mov_b32_e32 v7, v33
	v_cmp_ne_u64_e32 vcc, s[76:77], v[6:7]
	v_and_b32_e32 v32, 0x7fffff, v0
                                        ; implicit-def: $vgpr28
	s_and_saveexec_b64 s[40:41], vcc
	s_xor_b64 s[42:43], exec, s[40:41]
	s_cbranch_execz .LBB6_9668
; %bb.9655:                             ;   in Loop: Header=BB6_9582 Depth=4
	v_and_b32_e32 v6, 0x7fffffff, v0
	v_mov_b32_e32 v7, v33
	v_cmp_gt_u64_e32 vcc, s[78:79], v[6:7]
	v_and_b32_sdwa v14, v0, s97 dst_sel:DWORD dst_unused:UNUSED_PAD src0_sel:BYTE_3 src1_sel:DWORD
                                        ; implicit-def: $vgpr28
	s_and_saveexec_b64 s[40:41], vcc
	s_xor_b64 s[38:39], exec, s[40:41]
	s_cbranch_execz .LBB6_9665
; %bb.9656:                             ;   in Loop: Header=BB6_9582 Depth=4
	v_mov_b32_e32 v28, 0
	v_cmp_ne_u32_e32 vcc, 0, v0
	s_and_saveexec_b64 s[48:49], vcc
	s_cbranch_execz .LBB6_9664
; %bb.9657:                             ;   in Loop: Header=BB6_9582 Depth=4
	v_bfe_u32 v24, v0, 23, 8
	v_cmp_gt_u32_e64 s[40:41], s47, v24
	v_sub_u32_e32 v0, 0x71, v24
	v_cmp_eq_u32_e32 vcc, 0, v24
	v_cndmask_b32_e64 v0, 0, v0, s[40:41]
	v_mov_b32_e32 v6, 0x70
	v_cndmask_b32_e32 v26, v0, v6, vcc
	v_add_u32_e32 v6, 21, v26
	v_or_b32_e32 v1, 0x800000, v32
	v_lshlrev_b64 v[6:7], v6, -1
	v_cndmask_b32_e32 v0, v1, v32, vcc
	v_mov_b32_e32 v1, v33
	v_add_u32_e32 v27, 20, v26
	v_bfi_b32 v6, v6, 0, v0
	v_lshlrev_b64 v[27:28], v27, 1
	v_lshrrev_b64 v[0:1], v26, v[0:1]
	v_bfi_b32 v7, v7, 0, 0
	v_cmp_eq_u64_e64 s[40:41], v[6:7], v[27:28]
	v_mov_b32_e32 v7, v1
	v_mov_b32_e32 v6, v0
	s_and_saveexec_b64 s[50:51], s[40:41]
; %bb.9658:                             ;   in Loop: Header=BB6_9582 Depth=4
	v_bfe_u32 v1, v0, 21, 1
	v_add_co_u32_e64 v1, s[40:41], v0, v1
	v_add_co_u32_e64 v6, s[40:41], -1, v1
; %bb.9659:                             ;   in Loop: Header=BB6_9582 Depth=4
	s_or_b64 exec, exec, s[50:51]
	v_add_u32_e32 v1, 0xffffff81, v24
	v_mov_b32_e32 v7, 0xffffff82
	v_cndmask_b32_e32 v1, v1, v7, vcc
	v_lshrrev_b32_e32 v7, 23, v0
	v_add3_u32 v24, v26, v1, v7
	v_add_u32_e32 v7, 14, v24
	v_and_b32_e32 v1, 0x1fffff, v6
	v_add_u32_e32 v32, v1, v0
	v_cmp_ne_u32_e32 vcc, 0, v7
                                        ; implicit-def: $vgpr0_vgpr1
                                        ; implicit-def: $vgpr6
	s_and_saveexec_b64 s[40:41], vcc
	s_xor_b64 s[40:41], exec, s[40:41]
; %bb.9660:                             ;   in Loop: Header=BB6_9582 Depth=4
	v_cmp_lt_u64_e32 vcc, s[88:89], v[32:33]
	v_add_u32_e32 v0, 15, v24
	v_cndmask_b32_e32 v6, v7, v0, vcc
	v_cndmask_b32_e64 v0, 0, 1, vcc
	v_lshrrev_b64 v[0:1], v0, v[32:33]
; %bb.9661:                             ;   in Loop: Header=BB6_9582 Depth=4
	s_andn2_saveexec_b64 s[40:41], s[40:41]
; %bb.9662:                             ;   in Loop: Header=BB6_9582 Depth=4
	v_mov_b32_e32 v0, v32
	v_mov_b32_e32 v1, v33
	v_bfe_u32 v6, v32, 23, 1
; %bb.9663:                             ;   in Loop: Header=BB6_9582 Depth=4
	s_or_b64 exec, exec, s[40:41]
	v_lshrrev_b64 v[0:1], 21, v[0:1]
	v_cmp_gt_i32_e32 vcc, 32, v6
	v_cndmask_b32_e32 v1, 0, v1, vcc
	v_cndmask_b32_e32 v0, 3, v0, vcc
	v_cmp_eq_u64_e64 s[40:41], 0, v[0:1]
	v_min_i32_e32 v1, 31, v6
	v_lshlrev_b32_e32 v1, 2, v1
	v_cmp_eq_u32_e32 vcc, 0, v6
	v_and_b32_e32 v1, 0xfc, v1
	v_and_or_b32 v0, v0, 3, v1
	s_and_b64 s[40:41], vcc, s[40:41]
	v_cndmask_b32_e64 v0, v0, 0, s[40:41]
	v_or_b32_e32 v28, v0, v14
.LBB6_9664:                             ;   in Loop: Header=BB6_9582 Depth=4
	s_or_b64 exec, exec, s[48:49]
                                        ; implicit-def: $vgpr14
.LBB6_9665:                             ;   in Loop: Header=BB6_9582 Depth=4
	s_andn2_saveexec_b64 s[40:41], s[38:39]
; %bb.9666:                             ;   in Loop: Header=BB6_9582 Depth=4
	v_or_b32_e32 v28, 0x7b, v14
; %bb.9667:                             ;   in Loop: Header=BB6_9582 Depth=4
	s_or_b64 exec, exec, s[40:41]
                                        ; implicit-def: $vgpr0
.LBB6_9668:                             ;   in Loop: Header=BB6_9582 Depth=4
	s_andn2_saveexec_b64 s[40:41], s[42:43]
	s_cbranch_execz .LBB6_9674
; %bb.9669:                             ;   in Loop: Header=BB6_9582 Depth=4
	v_cmp_ne_u64_e32 vcc, 0, v[32:33]
                                        ; implicit-def: $vgpr28
	s_and_saveexec_b64 s[42:43], vcc
	s_xor_b64 s[42:43], exec, s[42:43]
; %bb.9670:                             ;   in Loop: Header=BB6_9582 Depth=4
	v_or_b32_sdwa v28, v0, s44 dst_sel:DWORD dst_unused:UNUSED_PAD src0_sel:BYTE_3 src1_sel:DWORD
                                        ; implicit-def: $vgpr0
; %bb.9671:                             ;   in Loop: Header=BB6_9582 Depth=4
	s_andn2_saveexec_b64 s[42:43], s[42:43]
; %bb.9672:                             ;   in Loop: Header=BB6_9582 Depth=4
	v_cmp_lt_i32_e32 vcc, -1, v0
	v_bfrev_b32_e32 v0, 0.5
	v_mov_b32_e32 v1, 0x7c
	v_cndmask_b32_e32 v28, v0, v1, vcc
; %bb.9673:                             ;   in Loop: Header=BB6_9582 Depth=4
	s_or_b64 exec, exec, s[42:43]
.LBB6_9674:                             ;   in Loop: Header=BB6_9582 Depth=4
	s_or_b64 exec, exec, s[40:41]
	v_cmp_lt_u32_e32 vcc, s57, v8
	v_mov_b32_e32 v1, 0
	s_and_saveexec_b64 s[40:41], vcc
	s_cbranch_execz .LBB6_9682
; %bb.9675:                             ;   in Loop: Header=BB6_9582 Depth=4
	v_lshrrev_b32_e32 v0, 24, v8
	v_cmp_ne_u32_e32 vcc, s97, v0
	v_bfrev_b32_e32 v1, 1
	s_and_saveexec_b64 s[42:43], vcc
	s_cbranch_execz .LBB6_9681
; %bb.9676:                             ;   in Loop: Header=BB6_9582 Depth=4
	v_and_b32_e32 v1, 0x7c000000, v8
	v_bfe_u32 v6, v8, 24, 2
	v_cmp_ne_u32_e32 vcc, s68, v1
                                        ; implicit-def: $vgpr1
	s_and_saveexec_b64 s[62:63], vcc
	s_xor_b64 s[38:39], exec, s[62:63]
	s_cbranch_execz .LBB6_9678
; %bb.9677:                             ;   in Loop: Header=BB6_9582 Depth=4
	v_ffbh_u32_e32 v1, v6
	v_min_u32_e32 v14, 32, v1
	v_subrev_u32_e32 v1, 29, v14
	v_lshlrev_b64 v[0:1], v1, v[0:1]
	v_bfe_u32 v7, v8, 26, 5
	v_sub_u32_e32 v1, 30, v14
	v_and_b32_e32 v0, 3, v0
	v_cmp_eq_u32_e32 vcc, 0, v7
	v_cndmask_b32_e32 v1, v7, v1, vcc
	v_cndmask_b32_e32 v0, v6, v0, vcc
	v_and_b32_e32 v6, 0x80000000, v8
	v_lshl_add_u32 v1, v1, 23, v6
	v_lshl_or_b32 v0, v0, 21, v1
	v_add_u32_e32 v1, 0x38000000, v0
                                        ; implicit-def: $vgpr6
.LBB6_9678:                             ;   in Loop: Header=BB6_9582 Depth=4
	s_andn2_saveexec_b64 s[38:39], s[38:39]
; %bb.9679:                             ;   in Loop: Header=BB6_9582 Depth=4
	v_cmp_lt_i32_e32 vcc, -1, v8
	v_mov_b32_e32 v0, 0xff800000
	v_mov_b32_e32 v1, 0x7f800000
	v_cndmask_b32_e32 v0, v0, v1, vcc
	v_cmp_eq_u32_e32 vcc, 0, v6
	v_mov_b32_e32 v1, 0x7f800001
	v_cndmask_b32_e32 v1, v1, v0, vcc
; %bb.9680:                             ;   in Loop: Header=BB6_9582 Depth=4
	s_or_b64 exec, exec, s[38:39]
.LBB6_9681:                             ;   in Loop: Header=BB6_9582 Depth=4
	s_or_b64 exec, exec, s[42:43]
.LBB6_9682:                             ;   in Loop: Header=BB6_9582 Depth=4
	s_or_b64 exec, exec, s[40:41]
	v_mul_f32_e32 v0, v23, v1
	v_and_b32_e32 v6, 0x7f800000, v0
	v_mov_b32_e32 v7, v33
	v_cmp_ne_u64_e32 vcc, s[76:77], v[6:7]
	v_and_b32_e32 v32, 0x7fffff, v0
                                        ; implicit-def: $vgpr34
	s_and_saveexec_b64 s[40:41], vcc
	s_xor_b64 s[42:43], exec, s[40:41]
	s_cbranch_execz .LBB6_9696
; %bb.9683:                             ;   in Loop: Header=BB6_9582 Depth=4
	v_and_b32_e32 v6, 0x7fffffff, v0
	v_mov_b32_e32 v7, v33
	v_cmp_gt_u64_e32 vcc, s[78:79], v[6:7]
	v_and_b32_sdwa v14, v0, s97 dst_sel:DWORD dst_unused:UNUSED_PAD src0_sel:BYTE_3 src1_sel:DWORD
                                        ; implicit-def: $vgpr34
	s_and_saveexec_b64 s[40:41], vcc
	s_xor_b64 s[38:39], exec, s[40:41]
	s_cbranch_execz .LBB6_9693
; %bb.9684:                             ;   in Loop: Header=BB6_9582 Depth=4
	v_mov_b32_e32 v34, 0
	v_cmp_ne_u32_e32 vcc, 0, v0
	s_and_saveexec_b64 s[48:49], vcc
	s_cbranch_execz .LBB6_9692
; %bb.9685:                             ;   in Loop: Header=BB6_9582 Depth=4
	v_bfe_u32 v24, v0, 23, 8
	v_cmp_gt_u32_e64 s[40:41], s47, v24
	v_sub_u32_e32 v0, 0x71, v24
	v_cmp_eq_u32_e32 vcc, 0, v24
	v_cndmask_b32_e64 v0, 0, v0, s[40:41]
	v_mov_b32_e32 v6, 0x70
	v_cndmask_b32_e32 v26, v0, v6, vcc
	v_add_u32_e32 v6, 21, v26
	v_or_b32_e32 v1, 0x800000, v32
	v_lshlrev_b64 v[6:7], v6, -1
	v_cndmask_b32_e32 v0, v1, v32, vcc
	v_mov_b32_e32 v1, v33
	v_add_u32_e32 v27, 20, v26
	v_bfi_b32 v6, v6, 0, v0
	v_lshlrev_b64 v[29:30], v27, 1
	v_lshrrev_b64 v[0:1], v26, v[0:1]
	v_bfi_b32 v7, v7, 0, 0
	v_cmp_eq_u64_e64 s[40:41], v[6:7], v[29:30]
	v_mov_b32_e32 v7, v1
	v_mov_b32_e32 v6, v0
	s_and_saveexec_b64 s[50:51], s[40:41]
; %bb.9686:                             ;   in Loop: Header=BB6_9582 Depth=4
	v_bfe_u32 v1, v0, 21, 1
	v_add_co_u32_e64 v1, s[40:41], v0, v1
	v_add_co_u32_e64 v6, s[40:41], -1, v1
; %bb.9687:                             ;   in Loop: Header=BB6_9582 Depth=4
	s_or_b64 exec, exec, s[50:51]
	v_add_u32_e32 v1, 0xffffff81, v24
	v_mov_b32_e32 v7, 0xffffff82
	v_cndmask_b32_e32 v1, v1, v7, vcc
	v_lshrrev_b32_e32 v7, 23, v0
	v_add3_u32 v24, v26, v1, v7
	v_add_u32_e32 v7, 14, v24
	v_and_b32_e32 v1, 0x1fffff, v6
	v_add_u32_e32 v32, v1, v0
	v_cmp_ne_u32_e32 vcc, 0, v7
                                        ; implicit-def: $vgpr0_vgpr1
                                        ; implicit-def: $vgpr6
	s_and_saveexec_b64 s[40:41], vcc
	s_xor_b64 s[40:41], exec, s[40:41]
; %bb.9688:                             ;   in Loop: Header=BB6_9582 Depth=4
	v_cmp_lt_u64_e32 vcc, s[88:89], v[32:33]
	v_add_u32_e32 v0, 15, v24
	v_cndmask_b32_e32 v6, v7, v0, vcc
	v_cndmask_b32_e64 v0, 0, 1, vcc
	v_lshrrev_b64 v[0:1], v0, v[32:33]
; %bb.9689:                             ;   in Loop: Header=BB6_9582 Depth=4
	s_andn2_saveexec_b64 s[40:41], s[40:41]
; %bb.9690:                             ;   in Loop: Header=BB6_9582 Depth=4
	v_mov_b32_e32 v0, v32
	v_mov_b32_e32 v1, v33
	v_bfe_u32 v6, v32, 23, 1
; %bb.9691:                             ;   in Loop: Header=BB6_9582 Depth=4
	s_or_b64 exec, exec, s[40:41]
	v_lshrrev_b64 v[0:1], 21, v[0:1]
	v_cmp_gt_i32_e32 vcc, 32, v6
	v_cndmask_b32_e32 v1, 0, v1, vcc
	v_cndmask_b32_e32 v0, 3, v0, vcc
	v_cmp_eq_u64_e64 s[40:41], 0, v[0:1]
	v_min_i32_e32 v1, 31, v6
	v_lshlrev_b32_e32 v1, 2, v1
	v_cmp_eq_u32_e32 vcc, 0, v6
	v_and_b32_e32 v1, 0xfc, v1
	v_and_or_b32 v0, v0, 3, v1
	s_and_b64 s[40:41], vcc, s[40:41]
	v_cndmask_b32_e64 v0, v0, 0, s[40:41]
	v_or_b32_e32 v34, v0, v14
.LBB6_9692:                             ;   in Loop: Header=BB6_9582 Depth=4
	s_or_b64 exec, exec, s[48:49]
                                        ; implicit-def: $vgpr14
.LBB6_9693:                             ;   in Loop: Header=BB6_9582 Depth=4
	s_andn2_saveexec_b64 s[40:41], s[38:39]
; %bb.9694:                             ;   in Loop: Header=BB6_9582 Depth=4
	v_or_b32_e32 v34, 0x7b, v14
; %bb.9695:                             ;   in Loop: Header=BB6_9582 Depth=4
	s_or_b64 exec, exec, s[40:41]
                                        ; implicit-def: $vgpr0
.LBB6_9696:                             ;   in Loop: Header=BB6_9582 Depth=4
	s_andn2_saveexec_b64 s[40:41], s[42:43]
	s_cbranch_execz .LBB6_9702
; %bb.9697:                             ;   in Loop: Header=BB6_9582 Depth=4
	v_cmp_ne_u64_e32 vcc, 0, v[32:33]
                                        ; implicit-def: $vgpr34
	s_and_saveexec_b64 s[42:43], vcc
	s_xor_b64 s[42:43], exec, s[42:43]
; %bb.9698:                             ;   in Loop: Header=BB6_9582 Depth=4
	v_or_b32_sdwa v34, v0, s44 dst_sel:DWORD dst_unused:UNUSED_PAD src0_sel:BYTE_3 src1_sel:DWORD
                                        ; implicit-def: $vgpr0
; %bb.9699:                             ;   in Loop: Header=BB6_9582 Depth=4
	s_andn2_saveexec_b64 s[42:43], s[42:43]
; %bb.9700:                             ;   in Loop: Header=BB6_9582 Depth=4
	v_cmp_lt_i32_e32 vcc, -1, v0
	v_bfrev_b32_e32 v0, 0.5
	v_mov_b32_e32 v1, 0x7c
	v_cndmask_b32_e32 v34, v0, v1, vcc
; %bb.9701:                             ;   in Loop: Header=BB6_9582 Depth=4
	s_or_b64 exec, exec, s[42:43]
.LBB6_9702:                             ;   in Loop: Header=BB6_9582 Depth=4
	s_or_b64 exec, exec, s[40:41]
	v_mov_b32_e32 v32, v9
	v_cmp_ne_u16_sdwa s[42:43], v9, v33 src0_sel:BYTE_0 src1_sel:DWORD
	v_mov_b32_e32 v0, 0
	s_and_saveexec_b64 s[40:41], s[42:43]
	s_cbranch_execz .LBB6_9710
; %bb.9703:                             ;   in Loop: Header=BB6_9582 Depth=4
	v_cmp_ne_u16_sdwa s[62:63], v9, s97 src0_sel:BYTE_0 src1_sel:DWORD
	v_bfrev_b32_e32 v0, 1
	s_and_saveexec_b64 s[42:43], s[62:63]
	s_cbranch_execz .LBB6_9709
; %bb.9704:                             ;   in Loop: Header=BB6_9582 Depth=4
	v_and_b32_e32 v0, 0x7c, v9
	v_and_b32_e32 v1, 3, v9
	v_cmp_ne_u32_e32 vcc, s86, v0
                                        ; implicit-def: $vgpr0
	s_and_saveexec_b64 s[62:63], vcc
	s_xor_b64 s[38:39], exec, s[62:63]
	s_cbranch_execz .LBB6_9706
; %bb.9705:                             ;   in Loop: Header=BB6_9582 Depth=4
	v_ffbh_u32_e32 v6, v1
	v_min_u32_e32 v14, 32, v6
	v_subrev_u32_e32 v6, 29, v14
	v_lshlrev_b64 v[6:7], v6, v[32:33]
	v_bfe_u32 v0, v9, 2, 5
	v_and_b32_e32 v6, 3, v6
	v_cmp_eq_u32_e32 vcc, 0, v0
	v_sub_u32_e32 v7, 30, v14
	v_cndmask_b32_e32 v1, v1, v6, vcc
	v_lshlrev_b32_e32 v6, 24, v9
	v_cndmask_b32_e32 v0, v0, v7, vcc
	v_and_b32_e32 v6, 0x80000000, v6
	v_lshl_add_u32 v0, v0, 23, v6
	v_lshl_or_b32 v0, v1, 21, v0
	v_add_u32_e32 v0, 0x38000000, v0
                                        ; implicit-def: $vgpr1
.LBB6_9706:                             ;   in Loop: Header=BB6_9582 Depth=4
	s_andn2_saveexec_b64 s[38:39], s[38:39]
; %bb.9707:                             ;   in Loop: Header=BB6_9582 Depth=4
	v_mov_b32_e32 v0, -1
	v_cmp_gt_i16_sdwa vcc, sext(v9), v0 src0_sel:BYTE_0 src1_sel:DWORD
	v_mov_b32_e32 v0, 0xff800000
	v_mov_b32_e32 v6, 0x7f800000
	v_cndmask_b32_e32 v0, v0, v6, vcc
	v_cmp_eq_u32_e32 vcc, 0, v1
	v_mov_b32_e32 v1, 0x7f800001
	v_cndmask_b32_e32 v0, v1, v0, vcc
; %bb.9708:                             ;   in Loop: Header=BB6_9582 Depth=4
	s_or_b64 exec, exec, s[38:39]
.LBB6_9709:                             ;   in Loop: Header=BB6_9582 Depth=4
	s_or_b64 exec, exec, s[42:43]
.LBB6_9710:                             ;   in Loop: Header=BB6_9582 Depth=4
	s_or_b64 exec, exec, s[40:41]
	v_mul_f32_e32 v6, v23, v0
	v_and_b32_e32 v26, 0x7f800000, v6
	v_mov_b32_e32 v27, v33
	v_cmp_ne_u64_e32 vcc, s[76:77], v[26:27]
	v_and_b32_e32 v0, 0x7fffff, v6
	v_mov_b32_e32 v1, v33
                                        ; implicit-def: $vgpr14
	s_and_saveexec_b64 s[40:41], vcc
	s_xor_b64 s[42:43], exec, s[40:41]
	s_cbranch_execz .LBB6_9724
; %bb.9711:                             ;   in Loop: Header=BB6_9582 Depth=4
	v_and_b32_e32 v26, 0x7fffffff, v6
	v_mov_b32_e32 v27, v33
	v_cmp_gt_u64_e32 vcc, s[78:79], v[26:27]
	v_and_b32_sdwa v24, v6, s97 dst_sel:DWORD dst_unused:UNUSED_PAD src0_sel:BYTE_3 src1_sel:DWORD
                                        ; implicit-def: $vgpr14
	s_and_saveexec_b64 s[40:41], vcc
	s_xor_b64 s[38:39], exec, s[40:41]
	s_cbranch_execz .LBB6_9721
; %bb.9712:                             ;   in Loop: Header=BB6_9582 Depth=4
	v_mov_b32_e32 v14, 0
	v_cmp_ne_u32_e32 vcc, 0, v6
	s_and_saveexec_b64 s[48:49], vcc
	s_cbranch_execz .LBB6_9720
; %bb.9713:                             ;   in Loop: Header=BB6_9582 Depth=4
	v_bfe_u32 v14, v6, 23, 8
	v_cmp_gt_u32_e64 s[40:41], s47, v14
	v_sub_u32_e32 v6, 0x71, v14
	v_cmp_eq_u32_e32 vcc, 0, v14
	v_cndmask_b32_e64 v6, 0, v6, s[40:41]
	v_mov_b32_e32 v26, 0x70
	v_cndmask_b32_e32 v26, v6, v26, vcc
	v_or_b32_e32 v7, 0x800000, v0
	v_add_u32_e32 v6, 21, v26
	v_cndmask_b32_e32 v0, v7, v0, vcc
	v_lshlrev_b64 v[6:7], v6, -1
	v_add_u32_e32 v27, 20, v26
	v_bfi_b32 v6, v6, 0, v0
	v_lshlrev_b64 v[29:30], v27, 1
	v_lshrrev_b64 v[0:1], v26, v[0:1]
	v_bfi_b32 v7, v7, 0, 0
	v_cmp_eq_u64_e64 s[40:41], v[6:7], v[29:30]
	v_mov_b32_e32 v7, v1
	v_mov_b32_e32 v6, v0
	s_and_saveexec_b64 s[50:51], s[40:41]
; %bb.9714:                             ;   in Loop: Header=BB6_9582 Depth=4
	v_bfe_u32 v1, v0, 21, 1
	v_add_co_u32_e64 v1, s[40:41], v0, v1
	v_add_co_u32_e64 v6, s[40:41], -1, v1
; %bb.9715:                             ;   in Loop: Header=BB6_9582 Depth=4
	s_or_b64 exec, exec, s[50:51]
	v_add_u32_e32 v1, 0xffffff81, v14
	v_mov_b32_e32 v7, 0xffffff82
	v_cndmask_b32_e32 v1, v1, v7, vcc
	v_lshrrev_b32_e32 v7, 23, v0
	v_add3_u32 v14, v26, v1, v7
	v_add_u32_e32 v7, 14, v14
	v_and_b32_e32 v1, 0x1fffff, v6
	v_add_u32_e32 v0, v1, v0
	v_mov_b32_e32 v1, v33
	v_cmp_ne_u32_e32 vcc, 0, v7
                                        ; implicit-def: $vgpr6
	s_and_saveexec_b64 s[40:41], vcc
	s_xor_b64 s[40:41], exec, s[40:41]
; %bb.9716:                             ;   in Loop: Header=BB6_9582 Depth=4
	v_cmp_lt_u64_e32 vcc, s[88:89], v[0:1]
	v_add_u32_e32 v6, 15, v14
	v_cndmask_b32_e32 v6, v7, v6, vcc
	v_cndmask_b32_e64 v7, 0, 1, vcc
	v_lshrrev_b64 v[0:1], v7, v[0:1]
; %bb.9717:                             ;   in Loop: Header=BB6_9582 Depth=4
	s_andn2_saveexec_b64 s[40:41], s[40:41]
; %bb.9718:                             ;   in Loop: Header=BB6_9582 Depth=4
	v_bfe_u32 v6, v0, 23, 1
; %bb.9719:                             ;   in Loop: Header=BB6_9582 Depth=4
	s_or_b64 exec, exec, s[40:41]
	v_lshrrev_b64 v[0:1], 21, v[0:1]
	v_cmp_gt_i32_e32 vcc, 32, v6
	v_cndmask_b32_e32 v1, 0, v1, vcc
	v_cndmask_b32_e32 v0, 3, v0, vcc
	v_cmp_eq_u64_e64 s[40:41], 0, v[0:1]
	v_min_i32_e32 v1, 31, v6
	v_lshlrev_b32_e32 v1, 2, v1
	v_cmp_eq_u32_e32 vcc, 0, v6
	v_and_b32_e32 v1, 0xfc, v1
	v_and_or_b32 v0, v0, 3, v1
	s_and_b64 s[40:41], vcc, s[40:41]
	v_cndmask_b32_e64 v0, v0, 0, s[40:41]
	v_or_b32_e32 v14, v0, v24
.LBB6_9720:                             ;   in Loop: Header=BB6_9582 Depth=4
	s_or_b64 exec, exec, s[48:49]
                                        ; implicit-def: $vgpr24
.LBB6_9721:                             ;   in Loop: Header=BB6_9582 Depth=4
	s_andn2_saveexec_b64 s[40:41], s[38:39]
; %bb.9722:                             ;   in Loop: Header=BB6_9582 Depth=4
	v_or_b32_e32 v14, 0x7b, v24
; %bb.9723:                             ;   in Loop: Header=BB6_9582 Depth=4
	s_or_b64 exec, exec, s[40:41]
                                        ; implicit-def: $vgpr6
                                        ; implicit-def: $vgpr0_vgpr1
.LBB6_9724:                             ;   in Loop: Header=BB6_9582 Depth=4
	s_andn2_saveexec_b64 s[40:41], s[42:43]
	s_cbranch_execz .LBB6_9730
; %bb.9725:                             ;   in Loop: Header=BB6_9582 Depth=4
	v_cmp_ne_u64_e32 vcc, 0, v[0:1]
                                        ; implicit-def: $vgpr14
	s_and_saveexec_b64 s[42:43], vcc
	s_xor_b64 s[42:43], exec, s[42:43]
; %bb.9726:                             ;   in Loop: Header=BB6_9582 Depth=4
	v_or_b32_sdwa v14, v6, s44 dst_sel:DWORD dst_unused:UNUSED_PAD src0_sel:BYTE_3 src1_sel:DWORD
                                        ; implicit-def: $vgpr6
; %bb.9727:                             ;   in Loop: Header=BB6_9582 Depth=4
	s_andn2_saveexec_b64 s[42:43], s[42:43]
; %bb.9728:                             ;   in Loop: Header=BB6_9582 Depth=4
	v_cmp_lt_i32_e32 vcc, -1, v6
	v_bfrev_b32_e32 v0, 0.5
	v_mov_b32_e32 v1, 0x7c
	v_cndmask_b32_e32 v14, v0, v1, vcc
; %bb.9729:                             ;   in Loop: Header=BB6_9582 Depth=4
	s_or_b64 exec, exec, s[42:43]
.LBB6_9730:                             ;   in Loop: Header=BB6_9582 Depth=4
	s_or_b64 exec, exec, s[40:41]
	v_lshrrev_b16_e32 v0, 8, v32
	v_cmp_ne_u16_e32 vcc, 0, v0
	v_mov_b32_e32 v1, 0
	s_and_saveexec_b64 s[40:41], vcc
	s_cbranch_execz .LBB6_9738
; %bb.9731:                             ;   in Loop: Header=BB6_9582 Depth=4
	v_cmp_ne_u16_e32 vcc, s97, v0
	v_bfrev_b32_e32 v1, 1
	s_and_saveexec_b64 s[42:43], vcc
	s_cbranch_execz .LBB6_9737
; %bb.9732:                             ;   in Loop: Header=BB6_9582 Depth=4
	v_and_b32_e32 v1, 0x7c, v0
	v_and_b32_e32 v6, 3, v0
	v_cmp_ne_u32_e32 vcc, s86, v1
                                        ; implicit-def: $vgpr1
	s_and_saveexec_b64 s[62:63], vcc
	s_xor_b64 s[38:39], exec, s[62:63]
	s_cbranch_execz .LBB6_9734
; %bb.9733:                             ;   in Loop: Header=BB6_9582 Depth=4
	v_ffbh_u32_e32 v24, v6
	v_min_u32_e32 v24, 32, v24
	v_mov_b32_e32 v1, v33
	v_subrev_u32_e32 v26, 29, v24
	v_bfe_u32 v7, v0, 2, 5
	v_lshlrev_b64 v[0:1], v26, v[0:1]
	v_cmp_eq_u32_e32 vcc, 0, v7
	v_and_b32_e32 v0, 3, v0
	v_sub_u32_e32 v1, 30, v24
	v_cndmask_b32_e32 v0, v6, v0, vcc
	v_lshlrev_b32_e32 v6, 16, v32
	v_cndmask_b32_e32 v1, v7, v1, vcc
	v_and_b32_e32 v6, 0x80000000, v6
	v_lshl_add_u32 v1, v1, 23, v6
	v_lshl_or_b32 v0, v0, 21, v1
	v_add_u32_e32 v1, 0x38000000, v0
                                        ; implicit-def: $vgpr6
.LBB6_9734:                             ;   in Loop: Header=BB6_9582 Depth=4
	s_andn2_saveexec_b64 s[38:39], s[38:39]
; %bb.9735:                             ;   in Loop: Header=BB6_9582 Depth=4
	v_cmp_lt_i16_e32 vcc, -1, v32
	v_mov_b32_e32 v0, 0xff800000
	v_mov_b32_e32 v1, 0x7f800000
	v_cndmask_b32_e32 v0, v0, v1, vcc
	v_cmp_eq_u32_e32 vcc, 0, v6
	v_mov_b32_e32 v1, 0x7f800001
	v_cndmask_b32_e32 v1, v1, v0, vcc
; %bb.9736:                             ;   in Loop: Header=BB6_9582 Depth=4
	s_or_b64 exec, exec, s[38:39]
.LBB6_9737:                             ;   in Loop: Header=BB6_9582 Depth=4
	s_or_b64 exec, exec, s[42:43]
.LBB6_9738:                             ;   in Loop: Header=BB6_9582 Depth=4
	s_or_b64 exec, exec, s[40:41]
	v_mul_f32_e32 v0, v23, v1
	v_and_b32_e32 v6, 0x7f800000, v0
	v_mov_b32_e32 v7, v33
	v_cmp_ne_u64_e32 vcc, s[76:77], v[6:7]
	v_and_b32_e32 v32, 0x7fffff, v0
                                        ; implicit-def: $vgpr36
	s_and_saveexec_b64 s[40:41], vcc
	s_xor_b64 s[42:43], exec, s[40:41]
	s_cbranch_execz .LBB6_9752
; %bb.9739:                             ;   in Loop: Header=BB6_9582 Depth=4
	v_and_b32_e32 v6, 0x7fffffff, v0
	v_mov_b32_e32 v7, v33
	v_cmp_gt_u64_e32 vcc, s[78:79], v[6:7]
	v_and_b32_sdwa v24, v0, s97 dst_sel:DWORD dst_unused:UNUSED_PAD src0_sel:BYTE_3 src1_sel:DWORD
                                        ; implicit-def: $vgpr36
	s_and_saveexec_b64 s[40:41], vcc
	s_xor_b64 s[38:39], exec, s[40:41]
	s_cbranch_execz .LBB6_9749
; %bb.9740:                             ;   in Loop: Header=BB6_9582 Depth=4
	v_mov_b32_e32 v36, 0
	v_cmp_ne_u32_e32 vcc, 0, v0
	s_and_saveexec_b64 s[48:49], vcc
	s_cbranch_execz .LBB6_9748
; %bb.9741:                             ;   in Loop: Header=BB6_9582 Depth=4
	v_bfe_u32 v26, v0, 23, 8
	v_cmp_gt_u32_e64 s[40:41], s47, v26
	v_sub_u32_e32 v0, 0x71, v26
	v_cmp_eq_u32_e32 vcc, 0, v26
	v_cndmask_b32_e64 v0, 0, v0, s[40:41]
	v_mov_b32_e32 v6, 0x70
	v_cndmask_b32_e32 v27, v0, v6, vcc
	v_add_u32_e32 v6, 21, v27
	v_or_b32_e32 v1, 0x800000, v32
	v_lshlrev_b64 v[6:7], v6, -1
	v_cndmask_b32_e32 v0, v1, v32, vcc
	v_mov_b32_e32 v1, v33
	v_add_u32_e32 v29, 20, v27
	v_bfi_b32 v6, v6, 0, v0
	v_lshlrev_b64 v[29:30], v29, 1
	v_lshrrev_b64 v[0:1], v27, v[0:1]
	v_bfi_b32 v7, v7, 0, 0
	v_cmp_eq_u64_e64 s[40:41], v[6:7], v[29:30]
	v_mov_b32_e32 v7, v1
	v_mov_b32_e32 v6, v0
	s_and_saveexec_b64 s[50:51], s[40:41]
; %bb.9742:                             ;   in Loop: Header=BB6_9582 Depth=4
	v_bfe_u32 v1, v0, 21, 1
	v_add_co_u32_e64 v1, s[40:41], v0, v1
	v_add_co_u32_e64 v6, s[40:41], -1, v1
; %bb.9743:                             ;   in Loop: Header=BB6_9582 Depth=4
	s_or_b64 exec, exec, s[50:51]
	v_add_u32_e32 v1, 0xffffff81, v26
	v_mov_b32_e32 v7, 0xffffff82
	v_cndmask_b32_e32 v1, v1, v7, vcc
	v_lshrrev_b32_e32 v7, 23, v0
	v_add3_u32 v26, v27, v1, v7
	v_add_u32_e32 v7, 14, v26
	v_and_b32_e32 v1, 0x1fffff, v6
	v_add_u32_e32 v32, v1, v0
	v_cmp_ne_u32_e32 vcc, 0, v7
                                        ; implicit-def: $vgpr0_vgpr1
                                        ; implicit-def: $vgpr6
	s_and_saveexec_b64 s[40:41], vcc
	s_xor_b64 s[40:41], exec, s[40:41]
; %bb.9744:                             ;   in Loop: Header=BB6_9582 Depth=4
	v_cmp_lt_u64_e32 vcc, s[88:89], v[32:33]
	v_add_u32_e32 v0, 15, v26
	v_cndmask_b32_e32 v6, v7, v0, vcc
	v_cndmask_b32_e64 v0, 0, 1, vcc
	v_lshrrev_b64 v[0:1], v0, v[32:33]
; %bb.9745:                             ;   in Loop: Header=BB6_9582 Depth=4
	s_andn2_saveexec_b64 s[40:41], s[40:41]
; %bb.9746:                             ;   in Loop: Header=BB6_9582 Depth=4
	v_mov_b32_e32 v0, v32
	v_mov_b32_e32 v1, v33
	v_bfe_u32 v6, v32, 23, 1
; %bb.9747:                             ;   in Loop: Header=BB6_9582 Depth=4
	s_or_b64 exec, exec, s[40:41]
	v_lshrrev_b64 v[0:1], 21, v[0:1]
	v_cmp_gt_i32_e32 vcc, 32, v6
	v_cndmask_b32_e32 v1, 0, v1, vcc
	v_cndmask_b32_e32 v0, 3, v0, vcc
	v_cmp_eq_u64_e64 s[40:41], 0, v[0:1]
	v_min_i32_e32 v1, 31, v6
	v_lshlrev_b32_e32 v1, 2, v1
	v_cmp_eq_u32_e32 vcc, 0, v6
	v_and_b32_e32 v1, 0xfc, v1
	v_and_or_b32 v0, v0, 3, v1
	s_and_b64 s[40:41], vcc, s[40:41]
	v_cndmask_b32_e64 v0, v0, 0, s[40:41]
	v_or_b32_e32 v36, v0, v24
.LBB6_9748:                             ;   in Loop: Header=BB6_9582 Depth=4
	s_or_b64 exec, exec, s[48:49]
                                        ; implicit-def: $vgpr24
.LBB6_9749:                             ;   in Loop: Header=BB6_9582 Depth=4
	s_andn2_saveexec_b64 s[40:41], s[38:39]
; %bb.9750:                             ;   in Loop: Header=BB6_9582 Depth=4
	v_or_b32_e32 v36, 0x7b, v24
; %bb.9751:                             ;   in Loop: Header=BB6_9582 Depth=4
	s_or_b64 exec, exec, s[40:41]
                                        ; implicit-def: $vgpr0
.LBB6_9752:                             ;   in Loop: Header=BB6_9582 Depth=4
	s_andn2_saveexec_b64 s[40:41], s[42:43]
	s_cbranch_execz .LBB6_9758
; %bb.9753:                             ;   in Loop: Header=BB6_9582 Depth=4
	v_cmp_ne_u64_e32 vcc, 0, v[32:33]
                                        ; implicit-def: $vgpr36
	s_and_saveexec_b64 s[42:43], vcc
	s_xor_b64 s[42:43], exec, s[42:43]
; %bb.9754:                             ;   in Loop: Header=BB6_9582 Depth=4
	v_or_b32_sdwa v36, v0, s44 dst_sel:DWORD dst_unused:UNUSED_PAD src0_sel:BYTE_3 src1_sel:DWORD
                                        ; implicit-def: $vgpr0
; %bb.9755:                             ;   in Loop: Header=BB6_9582 Depth=4
	s_andn2_saveexec_b64 s[42:43], s[42:43]
; %bb.9756:                             ;   in Loop: Header=BB6_9582 Depth=4
	v_cmp_lt_i32_e32 vcc, -1, v0
	v_bfrev_b32_e32 v0, 0.5
	v_mov_b32_e32 v1, 0x7c
	v_cndmask_b32_e32 v36, v0, v1, vcc
; %bb.9757:                             ;   in Loop: Header=BB6_9582 Depth=4
	s_or_b64 exec, exec, s[42:43]
.LBB6_9758:                             ;   in Loop: Header=BB6_9582 Depth=4
	s_or_b64 exec, exec, s[40:41]
	v_lshrrev_b32_e32 v0, 16, v9
	v_cmp_ne_u16_sdwa s[42:43], v0, v33 src0_sel:BYTE_0 src1_sel:DWORD
	v_mov_b32_e32 v1, 0
	s_and_saveexec_b64 s[40:41], s[42:43]
	s_cbranch_execz .LBB6_9766
; %bb.9759:                             ;   in Loop: Header=BB6_9582 Depth=4
	v_cmp_ne_u16_sdwa s[62:63], v0, s97 src0_sel:BYTE_0 src1_sel:DWORD
	v_bfrev_b32_e32 v1, 1
	s_and_saveexec_b64 s[42:43], s[62:63]
	s_cbranch_execz .LBB6_9765
; %bb.9760:                             ;   in Loop: Header=BB6_9582 Depth=4
	v_and_b32_e32 v1, 0x7c0000, v9
	v_bfe_u32 v6, v9, 16, 2
	v_cmp_ne_u32_e32 vcc, s45, v1
                                        ; implicit-def: $vgpr1
	s_and_saveexec_b64 s[62:63], vcc
	s_xor_b64 s[38:39], exec, s[62:63]
	s_cbranch_execz .LBB6_9762
; %bb.9761:                             ;   in Loop: Header=BB6_9582 Depth=4
	v_ffbh_u32_e32 v1, v6
	v_min_u32_e32 v24, 32, v1
	v_subrev_u32_e32 v1, 29, v24
	v_lshlrev_b64 v[0:1], v1, v[0:1]
	v_bfe_u32 v7, v9, 18, 5
	v_and_b32_e32 v0, 3, v0
	v_cmp_eq_u32_e32 vcc, 0, v7
	v_sub_u32_e32 v1, 30, v24
	v_cndmask_b32_e32 v0, v6, v0, vcc
	v_lshlrev_b32_e32 v6, 8, v9
	v_cndmask_b32_e32 v1, v7, v1, vcc
	v_and_b32_e32 v6, 0x80000000, v6
	v_lshl_add_u32 v1, v1, 23, v6
	v_lshl_or_b32 v0, v0, 21, v1
	v_add_u32_e32 v1, 0x38000000, v0
                                        ; implicit-def: $vgpr6
                                        ; implicit-def: $vgpr0
.LBB6_9762:                             ;   in Loop: Header=BB6_9582 Depth=4
	s_andn2_saveexec_b64 s[38:39], s[38:39]
; %bb.9763:                             ;   in Loop: Header=BB6_9582 Depth=4
	v_mov_b32_e32 v1, -1
	v_cmp_gt_i16_sdwa vcc, sext(v0), v1 src0_sel:BYTE_0 src1_sel:DWORD
	v_mov_b32_e32 v0, 0xff800000
	v_mov_b32_e32 v1, 0x7f800000
	v_cndmask_b32_e32 v0, v0, v1, vcc
	v_cmp_eq_u32_e32 vcc, 0, v6
	v_mov_b32_e32 v1, 0x7f800001
	v_cndmask_b32_e32 v1, v1, v0, vcc
; %bb.9764:                             ;   in Loop: Header=BB6_9582 Depth=4
	s_or_b64 exec, exec, s[38:39]
.LBB6_9765:                             ;   in Loop: Header=BB6_9582 Depth=4
	s_or_b64 exec, exec, s[42:43]
.LBB6_9766:                             ;   in Loop: Header=BB6_9582 Depth=4
	s_or_b64 exec, exec, s[40:41]
	v_mul_f32_e32 v0, v23, v1
	v_and_b32_e32 v6, 0x7f800000, v0
	v_mov_b32_e32 v7, v33
	v_cmp_ne_u64_e32 vcc, s[76:77], v[6:7]
	v_and_b32_e32 v32, 0x7fffff, v0
                                        ; implicit-def: $vgpr38
	s_and_saveexec_b64 s[40:41], vcc
	s_xor_b64 s[42:43], exec, s[40:41]
	s_cbranch_execz .LBB6_9780
; %bb.9767:                             ;   in Loop: Header=BB6_9582 Depth=4
	v_and_b32_e32 v6, 0x7fffffff, v0
	v_mov_b32_e32 v7, v33
	v_cmp_gt_u64_e32 vcc, s[78:79], v[6:7]
	v_and_b32_sdwa v24, v0, s97 dst_sel:DWORD dst_unused:UNUSED_PAD src0_sel:BYTE_3 src1_sel:DWORD
                                        ; implicit-def: $vgpr38
	s_and_saveexec_b64 s[40:41], vcc
	s_xor_b64 s[38:39], exec, s[40:41]
	s_cbranch_execz .LBB6_9777
; %bb.9768:                             ;   in Loop: Header=BB6_9582 Depth=4
	v_mov_b32_e32 v38, 0
	v_cmp_ne_u32_e32 vcc, 0, v0
	s_and_saveexec_b64 s[48:49], vcc
	s_cbranch_execz .LBB6_9776
; %bb.9769:                             ;   in Loop: Header=BB6_9582 Depth=4
	v_bfe_u32 v26, v0, 23, 8
	v_cmp_gt_u32_e64 s[40:41], s47, v26
	v_sub_u32_e32 v0, 0x71, v26
	v_cmp_eq_u32_e32 vcc, 0, v26
	v_cndmask_b32_e64 v0, 0, v0, s[40:41]
	v_mov_b32_e32 v6, 0x70
	v_cndmask_b32_e32 v27, v0, v6, vcc
	v_add_u32_e32 v6, 21, v27
	v_or_b32_e32 v1, 0x800000, v32
	v_lshlrev_b64 v[6:7], v6, -1
	v_cndmask_b32_e32 v0, v1, v32, vcc
	v_mov_b32_e32 v1, v33
	v_add_u32_e32 v29, 20, v27
	v_bfi_b32 v6, v6, 0, v0
	v_lshlrev_b64 v[29:30], v29, 1
	v_lshrrev_b64 v[0:1], v27, v[0:1]
	v_bfi_b32 v7, v7, 0, 0
	v_cmp_eq_u64_e64 s[40:41], v[6:7], v[29:30]
	v_mov_b32_e32 v7, v1
	v_mov_b32_e32 v6, v0
	s_and_saveexec_b64 s[50:51], s[40:41]
; %bb.9770:                             ;   in Loop: Header=BB6_9582 Depth=4
	v_bfe_u32 v1, v0, 21, 1
	v_add_co_u32_e64 v1, s[40:41], v0, v1
	v_add_co_u32_e64 v6, s[40:41], -1, v1
; %bb.9771:                             ;   in Loop: Header=BB6_9582 Depth=4
	s_or_b64 exec, exec, s[50:51]
	v_add_u32_e32 v1, 0xffffff81, v26
	v_mov_b32_e32 v7, 0xffffff82
	v_cndmask_b32_e32 v1, v1, v7, vcc
	v_lshrrev_b32_e32 v7, 23, v0
	v_add3_u32 v26, v27, v1, v7
	v_add_u32_e32 v7, 14, v26
	v_and_b32_e32 v1, 0x1fffff, v6
	v_add_u32_e32 v32, v1, v0
	v_cmp_ne_u32_e32 vcc, 0, v7
                                        ; implicit-def: $vgpr0_vgpr1
                                        ; implicit-def: $vgpr6
	s_and_saveexec_b64 s[40:41], vcc
	s_xor_b64 s[40:41], exec, s[40:41]
; %bb.9772:                             ;   in Loop: Header=BB6_9582 Depth=4
	v_cmp_lt_u64_e32 vcc, s[88:89], v[32:33]
	v_add_u32_e32 v0, 15, v26
	v_cndmask_b32_e32 v6, v7, v0, vcc
	v_cndmask_b32_e64 v0, 0, 1, vcc
	v_lshrrev_b64 v[0:1], v0, v[32:33]
; %bb.9773:                             ;   in Loop: Header=BB6_9582 Depth=4
	s_andn2_saveexec_b64 s[40:41], s[40:41]
; %bb.9774:                             ;   in Loop: Header=BB6_9582 Depth=4
	v_mov_b32_e32 v0, v32
	v_mov_b32_e32 v1, v33
	v_bfe_u32 v6, v32, 23, 1
; %bb.9775:                             ;   in Loop: Header=BB6_9582 Depth=4
	s_or_b64 exec, exec, s[40:41]
	v_lshrrev_b64 v[0:1], 21, v[0:1]
	v_cmp_gt_i32_e32 vcc, 32, v6
	v_cndmask_b32_e32 v1, 0, v1, vcc
	v_cndmask_b32_e32 v0, 3, v0, vcc
	v_cmp_eq_u64_e64 s[40:41], 0, v[0:1]
	v_min_i32_e32 v1, 31, v6
	v_lshlrev_b32_e32 v1, 2, v1
	v_cmp_eq_u32_e32 vcc, 0, v6
	v_and_b32_e32 v1, 0xfc, v1
	v_and_or_b32 v0, v0, 3, v1
	s_and_b64 s[40:41], vcc, s[40:41]
	v_cndmask_b32_e64 v0, v0, 0, s[40:41]
	v_or_b32_e32 v38, v0, v24
.LBB6_9776:                             ;   in Loop: Header=BB6_9582 Depth=4
	s_or_b64 exec, exec, s[48:49]
                                        ; implicit-def: $vgpr24
.LBB6_9777:                             ;   in Loop: Header=BB6_9582 Depth=4
	s_andn2_saveexec_b64 s[40:41], s[38:39]
; %bb.9778:                             ;   in Loop: Header=BB6_9582 Depth=4
	v_or_b32_e32 v38, 0x7b, v24
; %bb.9779:                             ;   in Loop: Header=BB6_9582 Depth=4
	s_or_b64 exec, exec, s[40:41]
                                        ; implicit-def: $vgpr0
.LBB6_9780:                             ;   in Loop: Header=BB6_9582 Depth=4
	s_andn2_saveexec_b64 s[40:41], s[42:43]
	s_cbranch_execz .LBB6_9786
; %bb.9781:                             ;   in Loop: Header=BB6_9582 Depth=4
	v_cmp_ne_u64_e32 vcc, 0, v[32:33]
                                        ; implicit-def: $vgpr38
	s_and_saveexec_b64 s[42:43], vcc
	s_xor_b64 s[42:43], exec, s[42:43]
; %bb.9782:                             ;   in Loop: Header=BB6_9582 Depth=4
	v_or_b32_sdwa v38, v0, s44 dst_sel:DWORD dst_unused:UNUSED_PAD src0_sel:BYTE_3 src1_sel:DWORD
                                        ; implicit-def: $vgpr0
; %bb.9783:                             ;   in Loop: Header=BB6_9582 Depth=4
	s_andn2_saveexec_b64 s[42:43], s[42:43]
; %bb.9784:                             ;   in Loop: Header=BB6_9582 Depth=4
	v_cmp_lt_i32_e32 vcc, -1, v0
	v_bfrev_b32_e32 v0, 0.5
	v_mov_b32_e32 v1, 0x7c
	v_cndmask_b32_e32 v38, v0, v1, vcc
; %bb.9785:                             ;   in Loop: Header=BB6_9582 Depth=4
	s_or_b64 exec, exec, s[42:43]
.LBB6_9786:                             ;   in Loop: Header=BB6_9582 Depth=4
	s_or_b64 exec, exec, s[40:41]
	v_cmp_lt_u64_e32 vcc, s[56:57], v[8:9]
	v_mov_b32_e32 v1, 0
	s_and_saveexec_b64 s[40:41], vcc
	s_cbranch_execz .LBB6_9794
; %bb.9787:                             ;   in Loop: Header=BB6_9582 Depth=4
	v_lshrrev_b32_e32 v0, 24, v9
	v_cmp_ne_u32_e32 vcc, s97, v0
	v_bfrev_b32_e32 v1, 1
	s_and_saveexec_b64 s[42:43], vcc
	s_cbranch_execz .LBB6_9793
; %bb.9788:                             ;   in Loop: Header=BB6_9582 Depth=4
	v_and_b32_e32 v1, 0x7c000000, v9
	v_bfe_u32 v6, v9, 24, 2
	v_cmp_ne_u32_e32 vcc, s68, v1
                                        ; implicit-def: $vgpr1
	s_and_saveexec_b64 s[62:63], vcc
	s_xor_b64 s[38:39], exec, s[62:63]
	s_cbranch_execz .LBB6_9790
; %bb.9789:                             ;   in Loop: Header=BB6_9582 Depth=4
	v_ffbh_u32_e32 v1, v6
	v_min_u32_e32 v24, 32, v1
	v_subrev_u32_e32 v1, 29, v24
	v_lshlrev_b64 v[0:1], v1, v[0:1]
	v_bfe_u32 v7, v9, 26, 5
	v_sub_u32_e32 v1, 30, v24
	v_and_b32_e32 v0, 3, v0
	v_cmp_eq_u32_e32 vcc, 0, v7
	v_cndmask_b32_e32 v1, v7, v1, vcc
	v_cndmask_b32_e32 v0, v6, v0, vcc
	v_and_b32_e32 v6, 0x80000000, v9
	v_lshl_add_u32 v1, v1, 23, v6
	v_lshl_or_b32 v0, v0, 21, v1
	v_add_u32_e32 v1, 0x38000000, v0
                                        ; implicit-def: $vgpr6
.LBB6_9790:                             ;   in Loop: Header=BB6_9582 Depth=4
	s_andn2_saveexec_b64 s[38:39], s[38:39]
; %bb.9791:                             ;   in Loop: Header=BB6_9582 Depth=4
	v_cmp_lt_i64_e32 vcc, -1, v[8:9]
	v_mov_b32_e32 v0, 0xff800000
	v_mov_b32_e32 v1, 0x7f800000
	v_cndmask_b32_e32 v0, v0, v1, vcc
	v_cmp_eq_u32_e32 vcc, 0, v6
	v_mov_b32_e32 v1, 0x7f800001
	v_cndmask_b32_e32 v1, v1, v0, vcc
; %bb.9792:                             ;   in Loop: Header=BB6_9582 Depth=4
	s_or_b64 exec, exec, s[38:39]
.LBB6_9793:                             ;   in Loop: Header=BB6_9582 Depth=4
	s_or_b64 exec, exec, s[42:43]
.LBB6_9794:                             ;   in Loop: Header=BB6_9582 Depth=4
	s_or_b64 exec, exec, s[40:41]
	v_mul_f32_e32 v0, v23, v1
	v_and_b32_e32 v6, 0x7f800000, v0
	v_mov_b32_e32 v7, v33
	v_cmp_ne_u64_e32 vcc, s[76:77], v[6:7]
	v_and_b32_e32 v32, 0x7fffff, v0
                                        ; implicit-def: $vgpr39
	s_and_saveexec_b64 s[40:41], vcc
	s_xor_b64 s[42:43], exec, s[40:41]
	s_cbranch_execz .LBB6_9808
; %bb.9795:                             ;   in Loop: Header=BB6_9582 Depth=4
	v_and_b32_e32 v6, 0x7fffffff, v0
	v_mov_b32_e32 v7, v33
	v_cmp_gt_u64_e32 vcc, s[78:79], v[6:7]
	v_and_b32_sdwa v8, v0, s97 dst_sel:DWORD dst_unused:UNUSED_PAD src0_sel:BYTE_3 src1_sel:DWORD
                                        ; implicit-def: $vgpr39
	s_and_saveexec_b64 s[40:41], vcc
	s_xor_b64 s[38:39], exec, s[40:41]
	s_cbranch_execz .LBB6_9805
; %bb.9796:                             ;   in Loop: Header=BB6_9582 Depth=4
	v_mov_b32_e32 v39, 0
	v_cmp_ne_u32_e32 vcc, 0, v0
	s_and_saveexec_b64 s[48:49], vcc
	s_cbranch_execz .LBB6_9804
; %bb.9797:                             ;   in Loop: Header=BB6_9582 Depth=4
	v_bfe_u32 v9, v0, 23, 8
	v_cmp_gt_u32_e64 s[40:41], s47, v9
	v_sub_u32_e32 v0, 0x71, v9
	v_cmp_eq_u32_e32 vcc, 0, v9
	v_cndmask_b32_e64 v0, 0, v0, s[40:41]
	v_mov_b32_e32 v6, 0x70
	v_cndmask_b32_e32 v24, v0, v6, vcc
	v_add_u32_e32 v6, 21, v24
	v_or_b32_e32 v1, 0x800000, v32
	v_lshlrev_b64 v[6:7], v6, -1
	v_cndmask_b32_e32 v0, v1, v32, vcc
	v_mov_b32_e32 v1, v33
	v_add_u32_e32 v26, 20, v24
	v_bfi_b32 v6, v6, 0, v0
	v_lshlrev_b64 v[26:27], v26, 1
	v_lshrrev_b64 v[0:1], v24, v[0:1]
	v_bfi_b32 v7, v7, 0, 0
	v_cmp_eq_u64_e64 s[40:41], v[6:7], v[26:27]
	v_mov_b32_e32 v7, v1
	v_mov_b32_e32 v6, v0
	s_and_saveexec_b64 s[50:51], s[40:41]
; %bb.9798:                             ;   in Loop: Header=BB6_9582 Depth=4
	v_bfe_u32 v1, v0, 21, 1
	v_add_co_u32_e64 v1, s[40:41], v0, v1
	v_add_co_u32_e64 v6, s[40:41], -1, v1
; %bb.9799:                             ;   in Loop: Header=BB6_9582 Depth=4
	s_or_b64 exec, exec, s[50:51]
	v_add_u32_e32 v1, 0xffffff81, v9
	v_mov_b32_e32 v7, 0xffffff82
	v_cndmask_b32_e32 v1, v1, v7, vcc
	v_lshrrev_b32_e32 v7, 23, v0
	v_add3_u32 v9, v24, v1, v7
	v_add_u32_e32 v7, 14, v9
	v_and_b32_e32 v1, 0x1fffff, v6
	v_add_u32_e32 v32, v1, v0
	v_cmp_ne_u32_e32 vcc, 0, v7
                                        ; implicit-def: $vgpr0_vgpr1
                                        ; implicit-def: $vgpr6
	s_and_saveexec_b64 s[40:41], vcc
	s_xor_b64 s[40:41], exec, s[40:41]
; %bb.9800:                             ;   in Loop: Header=BB6_9582 Depth=4
	v_cmp_lt_u64_e32 vcc, s[88:89], v[32:33]
	v_add_u32_e32 v0, 15, v9
	v_cndmask_b32_e32 v6, v7, v0, vcc
	v_cndmask_b32_e64 v0, 0, 1, vcc
	v_lshrrev_b64 v[0:1], v0, v[32:33]
; %bb.9801:                             ;   in Loop: Header=BB6_9582 Depth=4
	s_andn2_saveexec_b64 s[40:41], s[40:41]
; %bb.9802:                             ;   in Loop: Header=BB6_9582 Depth=4
	v_mov_b32_e32 v0, v32
	v_mov_b32_e32 v1, v33
	v_bfe_u32 v6, v32, 23, 1
; %bb.9803:                             ;   in Loop: Header=BB6_9582 Depth=4
	s_or_b64 exec, exec, s[40:41]
	v_lshrrev_b64 v[0:1], 21, v[0:1]
	v_cmp_gt_i32_e32 vcc, 32, v6
	v_cndmask_b32_e32 v1, 0, v1, vcc
	v_cndmask_b32_e32 v0, 3, v0, vcc
	v_cmp_eq_u64_e64 s[40:41], 0, v[0:1]
	v_min_i32_e32 v1, 31, v6
	v_lshlrev_b32_e32 v1, 2, v1
	v_cmp_eq_u32_e32 vcc, 0, v6
	v_and_b32_e32 v1, 0xfc, v1
	v_and_or_b32 v0, v0, 3, v1
	s_and_b64 s[40:41], vcc, s[40:41]
	v_cndmask_b32_e64 v0, v0, 0, s[40:41]
	v_or_b32_e32 v39, v0, v8
.LBB6_9804:                             ;   in Loop: Header=BB6_9582 Depth=4
	s_or_b64 exec, exec, s[48:49]
                                        ; implicit-def: $vgpr8
.LBB6_9805:                             ;   in Loop: Header=BB6_9582 Depth=4
	s_andn2_saveexec_b64 s[40:41], s[38:39]
; %bb.9806:                             ;   in Loop: Header=BB6_9582 Depth=4
	v_or_b32_e32 v39, 0x7b, v8
; %bb.9807:                             ;   in Loop: Header=BB6_9582 Depth=4
	s_or_b64 exec, exec, s[40:41]
                                        ; implicit-def: $vgpr0
.LBB6_9808:                             ;   in Loop: Header=BB6_9582 Depth=4
	s_andn2_saveexec_b64 s[40:41], s[42:43]
	s_cbranch_execz .LBB6_9814
; %bb.9809:                             ;   in Loop: Header=BB6_9582 Depth=4
	v_cmp_ne_u64_e32 vcc, 0, v[32:33]
                                        ; implicit-def: $vgpr39
	s_and_saveexec_b64 s[42:43], vcc
	s_xor_b64 s[42:43], exec, s[42:43]
; %bb.9810:                             ;   in Loop: Header=BB6_9582 Depth=4
	v_or_b32_sdwa v39, v0, s44 dst_sel:DWORD dst_unused:UNUSED_PAD src0_sel:BYTE_3 src1_sel:DWORD
                                        ; implicit-def: $vgpr0
; %bb.9811:                             ;   in Loop: Header=BB6_9582 Depth=4
	s_andn2_saveexec_b64 s[42:43], s[42:43]
; %bb.9812:                             ;   in Loop: Header=BB6_9582 Depth=4
	v_cmp_lt_i32_e32 vcc, -1, v0
	v_bfrev_b32_e32 v0, 0.5
	v_mov_b32_e32 v1, 0x7c
	v_cndmask_b32_e32 v39, v0, v1, vcc
; %bb.9813:                             ;   in Loop: Header=BB6_9582 Depth=4
	s_or_b64 exec, exec, s[42:43]
.LBB6_9814:                             ;   in Loop: Header=BB6_9582 Depth=4
	s_or_b64 exec, exec, s[40:41]
	v_cmp_ne_u16_sdwa s[42:43], v10, v33 src0_sel:BYTE_0 src1_sel:DWORD
	v_mov_b32_e32 v0, 0
	s_and_saveexec_b64 s[40:41], s[42:43]
	s_cbranch_execz .LBB6_9822
; %bb.9815:                             ;   in Loop: Header=BB6_9582 Depth=4
	v_cmp_ne_u16_sdwa s[62:63], sext(v10), s46 src0_sel:BYTE_0 src1_sel:DWORD
	v_bfrev_b32_e32 v0, 1
	s_and_saveexec_b64 s[42:43], s[62:63]
	s_cbranch_execz .LBB6_9821
; %bb.9816:                             ;   in Loop: Header=BB6_9582 Depth=4
	v_and_b32_e32 v0, 0x7c, v10
	v_and_b32_e32 v1, 3, v10
	v_cmp_ne_u32_e32 vcc, s86, v0
                                        ; implicit-def: $vgpr0
	s_and_saveexec_b64 s[62:63], vcc
	s_xor_b64 s[38:39], exec, s[62:63]
	s_cbranch_execz .LBB6_9818
; %bb.9817:                             ;   in Loop: Header=BB6_9582 Depth=4
	v_ffbh_u32_e32 v6, v1
	v_min_u32_e32 v8, 32, v6
	v_subrev_u32_e32 v6, 29, v8
	v_lshlrev_b64 v[6:7], v6, v[10:11]
	v_bfe_u32 v0, v10, 2, 5
	v_and_b32_e32 v6, 3, v6
	v_cmp_eq_u32_e32 vcc, 0, v0
	v_sub_u32_e32 v7, 30, v8
	v_cndmask_b32_e32 v1, v1, v6, vcc
	v_lshlrev_b32_e32 v6, 24, v10
	v_cndmask_b32_e32 v0, v0, v7, vcc
	v_and_b32_e32 v6, 0x80000000, v6
	v_lshl_add_u32 v0, v0, 23, v6
	v_lshl_or_b32 v0, v1, 21, v0
	v_add_u32_e32 v0, 0x38000000, v0
                                        ; implicit-def: $vgpr1
.LBB6_9818:                             ;   in Loop: Header=BB6_9582 Depth=4
	s_andn2_saveexec_b64 s[38:39], s[38:39]
; %bb.9819:                             ;   in Loop: Header=BB6_9582 Depth=4
	v_mov_b32_e32 v0, -1
	v_cmp_gt_i16_sdwa vcc, sext(v10), v0 src0_sel:BYTE_0 src1_sel:DWORD
	v_mov_b32_e32 v0, 0xff800000
	v_mov_b32_e32 v6, 0x7f800000
	v_cndmask_b32_e32 v0, v0, v6, vcc
	v_cmp_eq_u32_e32 vcc, 0, v1
	v_mov_b32_e32 v1, 0x7f800001
	v_cndmask_b32_e32 v0, v1, v0, vcc
; %bb.9820:                             ;   in Loop: Header=BB6_9582 Depth=4
	s_or_b64 exec, exec, s[38:39]
.LBB6_9821:                             ;   in Loop: Header=BB6_9582 Depth=4
	s_or_b64 exec, exec, s[42:43]
.LBB6_9822:                             ;   in Loop: Header=BB6_9582 Depth=4
	s_or_b64 exec, exec, s[40:41]
	v_mul_f32_e32 v0, v23, v0
	v_and_b32_e32 v6, 0x7f800000, v0
	v_mov_b32_e32 v7, v33
	v_cmp_ne_u64_e32 vcc, s[76:77], v[6:7]
	v_and_b32_e32 v32, 0x7fffff, v0
                                        ; implicit-def: $vgpr26
	s_and_saveexec_b64 s[40:41], vcc
	s_xor_b64 s[42:43], exec, s[40:41]
	s_cbranch_execz .LBB6_9836
; %bb.9823:                             ;   in Loop: Header=BB6_9582 Depth=4
	v_and_b32_e32 v6, 0x7fffffff, v0
	v_mov_b32_e32 v7, v33
	v_cmp_gt_u64_e32 vcc, s[78:79], v[6:7]
	v_and_b32_sdwa v8, v0, s97 dst_sel:DWORD dst_unused:UNUSED_PAD src0_sel:BYTE_3 src1_sel:DWORD
                                        ; implicit-def: $vgpr26
	s_and_saveexec_b64 s[40:41], vcc
	s_xor_b64 s[38:39], exec, s[40:41]
	s_cbranch_execz .LBB6_9833
; %bb.9824:                             ;   in Loop: Header=BB6_9582 Depth=4
	v_mov_b32_e32 v26, 0
	v_cmp_ne_u32_e32 vcc, 0, v0
	s_and_saveexec_b64 s[48:49], vcc
	s_cbranch_execz .LBB6_9832
; %bb.9825:                             ;   in Loop: Header=BB6_9582 Depth=4
	v_bfe_u32 v9, v0, 23, 8
	v_cmp_gt_u32_e64 s[40:41], s47, v9
	v_sub_u32_e32 v0, 0x71, v9
	v_cmp_eq_u32_e32 vcc, 0, v9
	v_cndmask_b32_e64 v0, 0, v0, s[40:41]
	v_mov_b32_e32 v6, 0x70
	v_cndmask_b32_e32 v24, v0, v6, vcc
	v_add_u32_e32 v6, 21, v24
	v_or_b32_e32 v1, 0x800000, v32
	v_lshlrev_b64 v[6:7], v6, -1
	v_cndmask_b32_e32 v0, v1, v32, vcc
	v_mov_b32_e32 v1, v33
	v_add_u32_e32 v26, 20, v24
	v_bfi_b32 v6, v6, 0, v0
	v_lshlrev_b64 v[26:27], v26, 1
	v_lshrrev_b64 v[0:1], v24, v[0:1]
	v_bfi_b32 v7, v7, 0, 0
	v_cmp_eq_u64_e64 s[40:41], v[6:7], v[26:27]
	v_mov_b32_e32 v7, v1
	v_mov_b32_e32 v6, v0
	s_and_saveexec_b64 s[50:51], s[40:41]
; %bb.9826:                             ;   in Loop: Header=BB6_9582 Depth=4
	v_bfe_u32 v1, v0, 21, 1
	v_add_co_u32_e64 v1, s[40:41], v0, v1
	v_add_co_u32_e64 v6, s[40:41], -1, v1
; %bb.9827:                             ;   in Loop: Header=BB6_9582 Depth=4
	s_or_b64 exec, exec, s[50:51]
	v_add_u32_e32 v1, 0xffffff81, v9
	v_mov_b32_e32 v7, 0xffffff82
	v_cndmask_b32_e32 v1, v1, v7, vcc
	v_lshrrev_b32_e32 v7, 23, v0
	v_add3_u32 v9, v24, v1, v7
	v_add_u32_e32 v7, 14, v9
	v_and_b32_e32 v1, 0x1fffff, v6
	v_add_u32_e32 v32, v1, v0
	v_cmp_ne_u32_e32 vcc, 0, v7
                                        ; implicit-def: $vgpr0_vgpr1
                                        ; implicit-def: $vgpr6
	s_and_saveexec_b64 s[40:41], vcc
	s_xor_b64 s[40:41], exec, s[40:41]
; %bb.9828:                             ;   in Loop: Header=BB6_9582 Depth=4
	v_cmp_lt_u64_e32 vcc, s[88:89], v[32:33]
	v_add_u32_e32 v0, 15, v9
	v_cndmask_b32_e32 v6, v7, v0, vcc
	v_cndmask_b32_e64 v0, 0, 1, vcc
	v_lshrrev_b64 v[0:1], v0, v[32:33]
; %bb.9829:                             ;   in Loop: Header=BB6_9582 Depth=4
	s_andn2_saveexec_b64 s[40:41], s[40:41]
; %bb.9830:                             ;   in Loop: Header=BB6_9582 Depth=4
	v_mov_b32_e32 v0, v32
	v_mov_b32_e32 v1, v33
	v_bfe_u32 v6, v32, 23, 1
; %bb.9831:                             ;   in Loop: Header=BB6_9582 Depth=4
	s_or_b64 exec, exec, s[40:41]
	v_lshrrev_b64 v[0:1], 21, v[0:1]
	v_cmp_gt_i32_e32 vcc, 32, v6
	v_cndmask_b32_e32 v1, 0, v1, vcc
	v_cndmask_b32_e32 v0, 3, v0, vcc
	v_cmp_eq_u64_e64 s[40:41], 0, v[0:1]
	v_min_i32_e32 v1, 31, v6
	v_lshlrev_b32_e32 v1, 2, v1
	v_cmp_eq_u32_e32 vcc, 0, v6
	v_and_b32_e32 v1, 0xfc, v1
	v_and_or_b32 v0, v0, 3, v1
	s_and_b64 s[40:41], vcc, s[40:41]
	v_cndmask_b32_e64 v0, v0, 0, s[40:41]
	v_or_b32_e32 v26, v0, v8
.LBB6_9832:                             ;   in Loop: Header=BB6_9582 Depth=4
	s_or_b64 exec, exec, s[48:49]
                                        ; implicit-def: $vgpr8
.LBB6_9833:                             ;   in Loop: Header=BB6_9582 Depth=4
	s_andn2_saveexec_b64 s[40:41], s[38:39]
; %bb.9834:                             ;   in Loop: Header=BB6_9582 Depth=4
	v_or_b32_e32 v26, 0x7b, v8
; %bb.9835:                             ;   in Loop: Header=BB6_9582 Depth=4
	s_or_b64 exec, exec, s[40:41]
                                        ; implicit-def: $vgpr0
.LBB6_9836:                             ;   in Loop: Header=BB6_9582 Depth=4
	s_andn2_saveexec_b64 s[40:41], s[42:43]
	s_cbranch_execz .LBB6_9842
; %bb.9837:                             ;   in Loop: Header=BB6_9582 Depth=4
	v_cmp_ne_u64_e32 vcc, 0, v[32:33]
                                        ; implicit-def: $vgpr26
	s_and_saveexec_b64 s[42:43], vcc
	s_xor_b64 s[42:43], exec, s[42:43]
; %bb.9838:                             ;   in Loop: Header=BB6_9582 Depth=4
	v_or_b32_sdwa v26, v0, s44 dst_sel:DWORD dst_unused:UNUSED_PAD src0_sel:BYTE_3 src1_sel:DWORD
                                        ; implicit-def: $vgpr0
; %bb.9839:                             ;   in Loop: Header=BB6_9582 Depth=4
	s_andn2_saveexec_b64 s[42:43], s[42:43]
; %bb.9840:                             ;   in Loop: Header=BB6_9582 Depth=4
	v_cmp_lt_i32_e32 vcc, -1, v0
	v_bfrev_b32_e32 v0, 0.5
	v_mov_b32_e32 v1, 0x7c
	v_cndmask_b32_e32 v26, v0, v1, vcc
; %bb.9841:                             ;   in Loop: Header=BB6_9582 Depth=4
	s_or_b64 exec, exec, s[42:43]
.LBB6_9842:                             ;   in Loop: Header=BB6_9582 Depth=4
	s_or_b64 exec, exec, s[40:41]
	v_lshrrev_b16_e32 v0, 8, v10
	v_cmp_ne_u16_e32 vcc, 0, v0
	v_mov_b32_e32 v1, 0
	s_and_saveexec_b64 s[40:41], vcc
	s_cbranch_execz .LBB6_9850
; %bb.9843:                             ;   in Loop: Header=BB6_9582 Depth=4
	v_cmp_ne_u16_e32 vcc, s97, v0
	v_bfrev_b32_e32 v1, 1
	s_and_saveexec_b64 s[42:43], vcc
	s_cbranch_execz .LBB6_9849
; %bb.9844:                             ;   in Loop: Header=BB6_9582 Depth=4
	v_and_b32_e32 v1, 0x7c, v0
	v_and_b32_e32 v6, 3, v0
	v_cmp_ne_u32_e32 vcc, s86, v1
                                        ; implicit-def: $vgpr1
	s_and_saveexec_b64 s[62:63], vcc
	s_xor_b64 s[38:39], exec, s[62:63]
	s_cbranch_execz .LBB6_9846
; %bb.9845:                             ;   in Loop: Header=BB6_9582 Depth=4
	v_ffbh_u32_e32 v8, v6
	v_min_u32_e32 v8, 32, v8
	v_mov_b32_e32 v1, v33
	v_subrev_u32_e32 v9, 29, v8
	v_bfe_u32 v7, v0, 2, 5
	v_lshlrev_b64 v[0:1], v9, v[0:1]
	v_cmp_eq_u32_e32 vcc, 0, v7
	v_and_b32_e32 v0, 3, v0
	v_sub_u32_e32 v1, 30, v8
	v_cndmask_b32_e32 v0, v6, v0, vcc
	v_lshlrev_b32_e32 v6, 16, v10
	v_cndmask_b32_e32 v1, v7, v1, vcc
	v_and_b32_e32 v6, 0x80000000, v6
	v_lshl_add_u32 v1, v1, 23, v6
	v_lshl_or_b32 v0, v0, 21, v1
	v_add_u32_e32 v1, 0x38000000, v0
                                        ; implicit-def: $vgpr6
.LBB6_9846:                             ;   in Loop: Header=BB6_9582 Depth=4
	s_andn2_saveexec_b64 s[38:39], s[38:39]
; %bb.9847:                             ;   in Loop: Header=BB6_9582 Depth=4
	v_cmp_lt_i16_e32 vcc, -1, v10
	v_mov_b32_e32 v0, 0xff800000
	v_mov_b32_e32 v1, 0x7f800000
	v_cndmask_b32_e32 v0, v0, v1, vcc
	v_cmp_eq_u32_e32 vcc, 0, v6
	v_mov_b32_e32 v1, 0x7f800001
	v_cndmask_b32_e32 v1, v1, v0, vcc
; %bb.9848:                             ;   in Loop: Header=BB6_9582 Depth=4
	s_or_b64 exec, exec, s[38:39]
.LBB6_9849:                             ;   in Loop: Header=BB6_9582 Depth=4
	s_or_b64 exec, exec, s[42:43]
.LBB6_9850:                             ;   in Loop: Header=BB6_9582 Depth=4
	s_or_b64 exec, exec, s[40:41]
	v_mul_f32_e32 v0, v23, v1
	v_and_b32_e32 v6, 0x7f800000, v0
	v_mov_b32_e32 v7, v33
	v_cmp_ne_u64_e32 vcc, s[76:77], v[6:7]
	v_and_b32_e32 v32, 0x7fffff, v0
                                        ; implicit-def: $vgpr30
	s_and_saveexec_b64 s[40:41], vcc
	s_xor_b64 s[42:43], exec, s[40:41]
	s_cbranch_execz .LBB6_9864
; %bb.9851:                             ;   in Loop: Header=BB6_9582 Depth=4
	v_and_b32_e32 v6, 0x7fffffff, v0
	v_mov_b32_e32 v7, v33
	v_cmp_gt_u64_e32 vcc, s[78:79], v[6:7]
	v_and_b32_sdwa v8, v0, s97 dst_sel:DWORD dst_unused:UNUSED_PAD src0_sel:BYTE_3 src1_sel:DWORD
                                        ; implicit-def: $vgpr30
	s_and_saveexec_b64 s[40:41], vcc
	s_xor_b64 s[38:39], exec, s[40:41]
	s_cbranch_execz .LBB6_9861
; %bb.9852:                             ;   in Loop: Header=BB6_9582 Depth=4
	v_mov_b32_e32 v30, 0
	v_cmp_ne_u32_e32 vcc, 0, v0
	s_and_saveexec_b64 s[48:49], vcc
	s_cbranch_execz .LBB6_9860
; %bb.9853:                             ;   in Loop: Header=BB6_9582 Depth=4
	v_bfe_u32 v9, v0, 23, 8
	v_cmp_gt_u32_e64 s[40:41], s47, v9
	v_sub_u32_e32 v0, 0x71, v9
	v_cmp_eq_u32_e32 vcc, 0, v9
	v_cndmask_b32_e64 v0, 0, v0, s[40:41]
	v_mov_b32_e32 v6, 0x70
	v_cndmask_b32_e32 v24, v0, v6, vcc
	v_add_u32_e32 v6, 21, v24
	v_or_b32_e32 v1, 0x800000, v32
	v_lshlrev_b64 v[6:7], v6, -1
	v_cndmask_b32_e32 v0, v1, v32, vcc
	v_mov_b32_e32 v1, v33
	v_add_u32_e32 v27, 20, v24
	v_bfi_b32 v6, v6, 0, v0
	v_lshlrev_b64 v[29:30], v27, 1
	v_lshrrev_b64 v[0:1], v24, v[0:1]
	v_bfi_b32 v7, v7, 0, 0
	v_cmp_eq_u64_e64 s[40:41], v[6:7], v[29:30]
	v_mov_b32_e32 v7, v1
	v_mov_b32_e32 v6, v0
	s_and_saveexec_b64 s[50:51], s[40:41]
; %bb.9854:                             ;   in Loop: Header=BB6_9582 Depth=4
	v_bfe_u32 v1, v0, 21, 1
	v_add_co_u32_e64 v1, s[40:41], v0, v1
	v_add_co_u32_e64 v6, s[40:41], -1, v1
; %bb.9855:                             ;   in Loop: Header=BB6_9582 Depth=4
	s_or_b64 exec, exec, s[50:51]
	v_add_u32_e32 v1, 0xffffff81, v9
	v_mov_b32_e32 v7, 0xffffff82
	v_cndmask_b32_e32 v1, v1, v7, vcc
	v_lshrrev_b32_e32 v7, 23, v0
	v_add3_u32 v9, v24, v1, v7
	v_add_u32_e32 v7, 14, v9
	v_and_b32_e32 v1, 0x1fffff, v6
	v_add_u32_e32 v32, v1, v0
	v_cmp_ne_u32_e32 vcc, 0, v7
                                        ; implicit-def: $vgpr0_vgpr1
                                        ; implicit-def: $vgpr6
	s_and_saveexec_b64 s[40:41], vcc
	s_xor_b64 s[40:41], exec, s[40:41]
; %bb.9856:                             ;   in Loop: Header=BB6_9582 Depth=4
	v_cmp_lt_u64_e32 vcc, s[88:89], v[32:33]
	v_add_u32_e32 v0, 15, v9
	v_cndmask_b32_e32 v6, v7, v0, vcc
	v_cndmask_b32_e64 v0, 0, 1, vcc
	v_lshrrev_b64 v[0:1], v0, v[32:33]
; %bb.9857:                             ;   in Loop: Header=BB6_9582 Depth=4
	s_andn2_saveexec_b64 s[40:41], s[40:41]
; %bb.9858:                             ;   in Loop: Header=BB6_9582 Depth=4
	v_mov_b32_e32 v0, v32
	v_mov_b32_e32 v1, v33
	v_bfe_u32 v6, v32, 23, 1
; %bb.9859:                             ;   in Loop: Header=BB6_9582 Depth=4
	s_or_b64 exec, exec, s[40:41]
	v_lshrrev_b64 v[0:1], 21, v[0:1]
	v_cmp_gt_i32_e32 vcc, 32, v6
	v_cndmask_b32_e32 v1, 0, v1, vcc
	v_cndmask_b32_e32 v0, 3, v0, vcc
	v_cmp_eq_u64_e64 s[40:41], 0, v[0:1]
	v_min_i32_e32 v1, 31, v6
	v_lshlrev_b32_e32 v1, 2, v1
	v_cmp_eq_u32_e32 vcc, 0, v6
	v_and_b32_e32 v1, 0xfc, v1
	v_and_or_b32 v0, v0, 3, v1
	s_and_b64 s[40:41], vcc, s[40:41]
	v_cndmask_b32_e64 v0, v0, 0, s[40:41]
	v_or_b32_e32 v30, v0, v8
.LBB6_9860:                             ;   in Loop: Header=BB6_9582 Depth=4
	s_or_b64 exec, exec, s[48:49]
                                        ; implicit-def: $vgpr8
.LBB6_9861:                             ;   in Loop: Header=BB6_9582 Depth=4
	s_andn2_saveexec_b64 s[40:41], s[38:39]
; %bb.9862:                             ;   in Loop: Header=BB6_9582 Depth=4
	v_or_b32_e32 v30, 0x7b, v8
; %bb.9863:                             ;   in Loop: Header=BB6_9582 Depth=4
	s_or_b64 exec, exec, s[40:41]
                                        ; implicit-def: $vgpr0
.LBB6_9864:                             ;   in Loop: Header=BB6_9582 Depth=4
	s_andn2_saveexec_b64 s[40:41], s[42:43]
	s_cbranch_execz .LBB6_9870
; %bb.9865:                             ;   in Loop: Header=BB6_9582 Depth=4
	v_cmp_ne_u64_e32 vcc, 0, v[32:33]
                                        ; implicit-def: $vgpr30
	s_and_saveexec_b64 s[42:43], vcc
	s_xor_b64 s[42:43], exec, s[42:43]
; %bb.9866:                             ;   in Loop: Header=BB6_9582 Depth=4
	v_or_b32_sdwa v30, v0, s44 dst_sel:DWORD dst_unused:UNUSED_PAD src0_sel:BYTE_3 src1_sel:DWORD
                                        ; implicit-def: $vgpr0
; %bb.9867:                             ;   in Loop: Header=BB6_9582 Depth=4
	s_andn2_saveexec_b64 s[42:43], s[42:43]
; %bb.9868:                             ;   in Loop: Header=BB6_9582 Depth=4
	v_cmp_lt_i32_e32 vcc, -1, v0
	v_bfrev_b32_e32 v0, 0.5
	v_mov_b32_e32 v1, 0x7c
	v_cndmask_b32_e32 v30, v0, v1, vcc
; %bb.9869:                             ;   in Loop: Header=BB6_9582 Depth=4
	s_or_b64 exec, exec, s[42:43]
.LBB6_9870:                             ;   in Loop: Header=BB6_9582 Depth=4
	s_or_b64 exec, exec, s[40:41]
	v_lshrrev_b32_e32 v0, 16, v10
	v_cmp_ne_u16_sdwa s[42:43], v0, v33 src0_sel:BYTE_0 src1_sel:DWORD
	v_mov_b32_e32 v1, 0
	s_and_saveexec_b64 s[40:41], s[42:43]
	s_cbranch_execz .LBB6_9878
; %bb.9871:                             ;   in Loop: Header=BB6_9582 Depth=4
	v_cmp_ne_u16_sdwa s[62:63], v0, s97 src0_sel:BYTE_0 src1_sel:DWORD
	v_bfrev_b32_e32 v1, 1
	s_and_saveexec_b64 s[42:43], s[62:63]
	s_cbranch_execz .LBB6_9877
; %bb.9872:                             ;   in Loop: Header=BB6_9582 Depth=4
	v_and_b32_e32 v1, 0x7c0000, v10
	v_bfe_u32 v6, v10, 16, 2
	v_cmp_ne_u32_e32 vcc, s45, v1
                                        ; implicit-def: $vgpr1
	s_and_saveexec_b64 s[62:63], vcc
	s_xor_b64 s[38:39], exec, s[62:63]
	s_cbranch_execz .LBB6_9874
; %bb.9873:                             ;   in Loop: Header=BB6_9582 Depth=4
	v_ffbh_u32_e32 v1, v6
	v_min_u32_e32 v8, 32, v1
	v_subrev_u32_e32 v1, 29, v8
	v_lshlrev_b64 v[0:1], v1, v[0:1]
	v_bfe_u32 v7, v10, 18, 5
	v_and_b32_e32 v0, 3, v0
	v_cmp_eq_u32_e32 vcc, 0, v7
	v_sub_u32_e32 v1, 30, v8
	v_cndmask_b32_e32 v0, v6, v0, vcc
	v_lshlrev_b32_e32 v6, 8, v10
	v_cndmask_b32_e32 v1, v7, v1, vcc
	v_and_b32_e32 v6, 0x80000000, v6
	v_lshl_add_u32 v1, v1, 23, v6
	v_lshl_or_b32 v0, v0, 21, v1
	v_add_u32_e32 v1, 0x38000000, v0
                                        ; implicit-def: $vgpr6
                                        ; implicit-def: $vgpr0
.LBB6_9874:                             ;   in Loop: Header=BB6_9582 Depth=4
	s_andn2_saveexec_b64 s[38:39], s[38:39]
; %bb.9875:                             ;   in Loop: Header=BB6_9582 Depth=4
	v_mov_b32_e32 v1, -1
	v_cmp_gt_i16_sdwa vcc, sext(v0), v1 src0_sel:BYTE_0 src1_sel:DWORD
	v_mov_b32_e32 v0, 0xff800000
	v_mov_b32_e32 v1, 0x7f800000
	v_cndmask_b32_e32 v0, v0, v1, vcc
	v_cmp_eq_u32_e32 vcc, 0, v6
	v_mov_b32_e32 v1, 0x7f800001
	v_cndmask_b32_e32 v1, v1, v0, vcc
; %bb.9876:                             ;   in Loop: Header=BB6_9582 Depth=4
	s_or_b64 exec, exec, s[38:39]
.LBB6_9877:                             ;   in Loop: Header=BB6_9582 Depth=4
	s_or_b64 exec, exec, s[42:43]
.LBB6_9878:                             ;   in Loop: Header=BB6_9582 Depth=4
	s_or_b64 exec, exec, s[40:41]
	v_mul_f32_e32 v0, v23, v1
	v_and_b32_e32 v6, 0x7f800000, v0
	v_mov_b32_e32 v7, v33
	v_cmp_ne_u64_e32 vcc, s[76:77], v[6:7]
	v_and_b32_e32 v32, 0x7fffff, v0
                                        ; implicit-def: $vgpr35
	s_and_saveexec_b64 s[40:41], vcc
	s_xor_b64 s[42:43], exec, s[40:41]
	s_cbranch_execz .LBB6_9892
; %bb.9879:                             ;   in Loop: Header=BB6_9582 Depth=4
	v_and_b32_e32 v6, 0x7fffffff, v0
	v_mov_b32_e32 v7, v33
	v_cmp_gt_u64_e32 vcc, s[78:79], v[6:7]
	v_and_b32_sdwa v8, v0, s97 dst_sel:DWORD dst_unused:UNUSED_PAD src0_sel:BYTE_3 src1_sel:DWORD
                                        ; implicit-def: $vgpr35
	s_and_saveexec_b64 s[40:41], vcc
	s_xor_b64 s[38:39], exec, s[40:41]
	s_cbranch_execz .LBB6_9889
; %bb.9880:                             ;   in Loop: Header=BB6_9582 Depth=4
	v_mov_b32_e32 v35, 0
	v_cmp_ne_u32_e32 vcc, 0, v0
	s_and_saveexec_b64 s[48:49], vcc
	s_cbranch_execz .LBB6_9888
; %bb.9881:                             ;   in Loop: Header=BB6_9582 Depth=4
	v_bfe_u32 v9, v0, 23, 8
	v_cmp_gt_u32_e64 s[40:41], s47, v9
	v_sub_u32_e32 v0, 0x71, v9
	v_cmp_eq_u32_e32 vcc, 0, v9
	v_cndmask_b32_e64 v0, 0, v0, s[40:41]
	v_mov_b32_e32 v6, 0x70
	v_cndmask_b32_e32 v24, v0, v6, vcc
	v_add_u32_e32 v6, 21, v24
	v_or_b32_e32 v1, 0x800000, v32
	v_lshlrev_b64 v[6:7], v6, -1
	v_cndmask_b32_e32 v0, v1, v32, vcc
	v_mov_b32_e32 v1, v33
	v_add_u32_e32 v27, 20, v24
	v_bfi_b32 v6, v6, 0, v0
	v_lshlrev_b64 v[31:32], v27, 1
	v_lshrrev_b64 v[0:1], v24, v[0:1]
	v_bfi_b32 v7, v7, 0, 0
	v_cmp_eq_u64_e64 s[40:41], v[6:7], v[31:32]
	v_mov_b32_e32 v7, v1
	v_mov_b32_e32 v6, v0
	s_and_saveexec_b64 s[50:51], s[40:41]
; %bb.9882:                             ;   in Loop: Header=BB6_9582 Depth=4
	v_bfe_u32 v1, v0, 21, 1
	v_add_co_u32_e64 v1, s[40:41], v0, v1
	v_add_co_u32_e64 v6, s[40:41], -1, v1
; %bb.9883:                             ;   in Loop: Header=BB6_9582 Depth=4
	s_or_b64 exec, exec, s[50:51]
	v_add_u32_e32 v1, 0xffffff81, v9
	v_mov_b32_e32 v7, 0xffffff82
	v_cndmask_b32_e32 v1, v1, v7, vcc
	v_lshrrev_b32_e32 v7, 23, v0
	v_add3_u32 v9, v24, v1, v7
	v_add_u32_e32 v7, 14, v9
	v_and_b32_e32 v1, 0x1fffff, v6
	v_add_u32_e32 v32, v1, v0
	v_cmp_ne_u32_e32 vcc, 0, v7
                                        ; implicit-def: $vgpr0_vgpr1
                                        ; implicit-def: $vgpr6
	s_and_saveexec_b64 s[40:41], vcc
	s_xor_b64 s[40:41], exec, s[40:41]
; %bb.9884:                             ;   in Loop: Header=BB6_9582 Depth=4
	v_cmp_lt_u64_e32 vcc, s[88:89], v[32:33]
	v_add_u32_e32 v0, 15, v9
	v_cndmask_b32_e32 v6, v7, v0, vcc
	v_cndmask_b32_e64 v0, 0, 1, vcc
	v_lshrrev_b64 v[0:1], v0, v[32:33]
; %bb.9885:                             ;   in Loop: Header=BB6_9582 Depth=4
	s_andn2_saveexec_b64 s[40:41], s[40:41]
; %bb.9886:                             ;   in Loop: Header=BB6_9582 Depth=4
	v_mov_b32_e32 v0, v32
	v_mov_b32_e32 v1, v33
	v_bfe_u32 v6, v32, 23, 1
; %bb.9887:                             ;   in Loop: Header=BB6_9582 Depth=4
	s_or_b64 exec, exec, s[40:41]
	v_lshrrev_b64 v[0:1], 21, v[0:1]
	v_cmp_gt_i32_e32 vcc, 32, v6
	v_cndmask_b32_e32 v1, 0, v1, vcc
	v_cndmask_b32_e32 v0, 3, v0, vcc
	v_cmp_eq_u64_e64 s[40:41], 0, v[0:1]
	v_min_i32_e32 v1, 31, v6
	v_lshlrev_b32_e32 v1, 2, v1
	v_cmp_eq_u32_e32 vcc, 0, v6
	v_and_b32_e32 v1, 0xfc, v1
	v_and_or_b32 v0, v0, 3, v1
	s_and_b64 s[40:41], vcc, s[40:41]
	v_cndmask_b32_e64 v0, v0, 0, s[40:41]
	v_or_b32_e32 v35, v0, v8
.LBB6_9888:                             ;   in Loop: Header=BB6_9582 Depth=4
	s_or_b64 exec, exec, s[48:49]
                                        ; implicit-def: $vgpr8
.LBB6_9889:                             ;   in Loop: Header=BB6_9582 Depth=4
	s_andn2_saveexec_b64 s[40:41], s[38:39]
; %bb.9890:                             ;   in Loop: Header=BB6_9582 Depth=4
	v_or_b32_e32 v35, 0x7b, v8
; %bb.9891:                             ;   in Loop: Header=BB6_9582 Depth=4
	s_or_b64 exec, exec, s[40:41]
                                        ; implicit-def: $vgpr0
.LBB6_9892:                             ;   in Loop: Header=BB6_9582 Depth=4
	s_andn2_saveexec_b64 s[40:41], s[42:43]
	s_cbranch_execz .LBB6_9898
; %bb.9893:                             ;   in Loop: Header=BB6_9582 Depth=4
	v_cmp_ne_u64_e32 vcc, 0, v[32:33]
                                        ; implicit-def: $vgpr35
	s_and_saveexec_b64 s[42:43], vcc
	s_xor_b64 s[42:43], exec, s[42:43]
; %bb.9894:                             ;   in Loop: Header=BB6_9582 Depth=4
	v_or_b32_sdwa v35, v0, s44 dst_sel:DWORD dst_unused:UNUSED_PAD src0_sel:BYTE_3 src1_sel:DWORD
                                        ; implicit-def: $vgpr0
; %bb.9895:                             ;   in Loop: Header=BB6_9582 Depth=4
	s_andn2_saveexec_b64 s[42:43], s[42:43]
; %bb.9896:                             ;   in Loop: Header=BB6_9582 Depth=4
	v_cmp_lt_i32_e32 vcc, -1, v0
	v_bfrev_b32_e32 v0, 0.5
	v_mov_b32_e32 v1, 0x7c
	v_cndmask_b32_e32 v35, v0, v1, vcc
; %bb.9897:                             ;   in Loop: Header=BB6_9582 Depth=4
	s_or_b64 exec, exec, s[42:43]
.LBB6_9898:                             ;   in Loop: Header=BB6_9582 Depth=4
	s_or_b64 exec, exec, s[40:41]
	v_cmp_lt_u32_e32 vcc, s57, v10
	v_mov_b32_e32 v1, 0
	s_and_saveexec_b64 s[40:41], vcc
	s_cbranch_execz .LBB6_9906
; %bb.9899:                             ;   in Loop: Header=BB6_9582 Depth=4
	v_lshrrev_b32_e32 v0, 24, v10
	v_cmp_ne_u32_e32 vcc, s97, v0
	v_bfrev_b32_e32 v1, 1
	s_and_saveexec_b64 s[42:43], vcc
	s_cbranch_execz .LBB6_9905
; %bb.9900:                             ;   in Loop: Header=BB6_9582 Depth=4
	v_and_b32_e32 v1, 0x7c000000, v10
	v_bfe_u32 v6, v10, 24, 2
	v_cmp_ne_u32_e32 vcc, s68, v1
                                        ; implicit-def: $vgpr1
	s_and_saveexec_b64 s[62:63], vcc
	s_xor_b64 s[38:39], exec, s[62:63]
	s_cbranch_execz .LBB6_9902
; %bb.9901:                             ;   in Loop: Header=BB6_9582 Depth=4
	v_ffbh_u32_e32 v1, v6
	v_min_u32_e32 v8, 32, v1
	v_subrev_u32_e32 v1, 29, v8
	v_lshlrev_b64 v[0:1], v1, v[0:1]
	v_bfe_u32 v7, v10, 26, 5
	v_sub_u32_e32 v1, 30, v8
	v_and_b32_e32 v0, 3, v0
	v_cmp_eq_u32_e32 vcc, 0, v7
	v_cndmask_b32_e32 v1, v7, v1, vcc
	v_cndmask_b32_e32 v0, v6, v0, vcc
	v_and_b32_e32 v6, 0x80000000, v10
	v_lshl_add_u32 v1, v1, 23, v6
	v_lshl_or_b32 v0, v0, 21, v1
	v_add_u32_e32 v1, 0x38000000, v0
                                        ; implicit-def: $vgpr6
.LBB6_9902:                             ;   in Loop: Header=BB6_9582 Depth=4
	s_andn2_saveexec_b64 s[38:39], s[38:39]
; %bb.9903:                             ;   in Loop: Header=BB6_9582 Depth=4
	v_cmp_lt_i32_e32 vcc, -1, v10
	v_mov_b32_e32 v0, 0xff800000
	v_mov_b32_e32 v1, 0x7f800000
	v_cndmask_b32_e32 v0, v0, v1, vcc
	v_cmp_eq_u32_e32 vcc, 0, v6
	v_mov_b32_e32 v1, 0x7f800001
	v_cndmask_b32_e32 v1, v1, v0, vcc
; %bb.9904:                             ;   in Loop: Header=BB6_9582 Depth=4
	s_or_b64 exec, exec, s[38:39]
.LBB6_9905:                             ;   in Loop: Header=BB6_9582 Depth=4
	s_or_b64 exec, exec, s[42:43]
.LBB6_9906:                             ;   in Loop: Header=BB6_9582 Depth=4
	s_or_b64 exec, exec, s[40:41]
	v_mul_f32_e32 v0, v23, v1
	v_and_b32_e32 v6, 0x7f800000, v0
	v_mov_b32_e32 v7, v33
	v_cmp_ne_u64_e32 vcc, s[76:77], v[6:7]
	v_and_b32_e32 v32, 0x7fffff, v0
                                        ; implicit-def: $vgpr37
	s_and_saveexec_b64 s[40:41], vcc
	s_xor_b64 s[42:43], exec, s[40:41]
	s_cbranch_execz .LBB6_9920
; %bb.9907:                             ;   in Loop: Header=BB6_9582 Depth=4
	v_and_b32_e32 v6, 0x7fffffff, v0
	v_mov_b32_e32 v7, v33
	v_cmp_gt_u64_e32 vcc, s[78:79], v[6:7]
	v_and_b32_sdwa v8, v0, s97 dst_sel:DWORD dst_unused:UNUSED_PAD src0_sel:BYTE_3 src1_sel:DWORD
                                        ; implicit-def: $vgpr37
	s_and_saveexec_b64 s[40:41], vcc
	s_xor_b64 s[38:39], exec, s[40:41]
	s_cbranch_execz .LBB6_9917
; %bb.9908:                             ;   in Loop: Header=BB6_9582 Depth=4
	v_mov_b32_e32 v37, 0
	v_cmp_ne_u32_e32 vcc, 0, v0
	s_and_saveexec_b64 s[48:49], vcc
	s_cbranch_execz .LBB6_9916
; %bb.9909:                             ;   in Loop: Header=BB6_9582 Depth=4
	v_bfe_u32 v9, v0, 23, 8
	v_cmp_gt_u32_e64 s[40:41], s47, v9
	v_sub_u32_e32 v0, 0x71, v9
	v_cmp_eq_u32_e32 vcc, 0, v9
	v_cndmask_b32_e64 v0, 0, v0, s[40:41]
	v_mov_b32_e32 v6, 0x70
	v_cndmask_b32_e32 v24, v0, v6, vcc
	v_add_u32_e32 v6, 21, v24
	v_or_b32_e32 v1, 0x800000, v32
	v_lshlrev_b64 v[6:7], v6, -1
	v_cndmask_b32_e32 v0, v1, v32, vcc
	v_mov_b32_e32 v1, v33
	v_add_u32_e32 v27, 20, v24
	v_bfi_b32 v6, v6, 0, v0
	v_lshlrev_b64 v[31:32], v27, 1
	v_lshrrev_b64 v[0:1], v24, v[0:1]
	v_bfi_b32 v7, v7, 0, 0
	v_cmp_eq_u64_e64 s[40:41], v[6:7], v[31:32]
	v_mov_b32_e32 v7, v1
	v_mov_b32_e32 v6, v0
	s_and_saveexec_b64 s[50:51], s[40:41]
; %bb.9910:                             ;   in Loop: Header=BB6_9582 Depth=4
	v_bfe_u32 v1, v0, 21, 1
	v_add_co_u32_e64 v1, s[40:41], v0, v1
	v_add_co_u32_e64 v6, s[40:41], -1, v1
; %bb.9911:                             ;   in Loop: Header=BB6_9582 Depth=4
	s_or_b64 exec, exec, s[50:51]
	v_add_u32_e32 v1, 0xffffff81, v9
	v_mov_b32_e32 v7, 0xffffff82
	v_cndmask_b32_e32 v1, v1, v7, vcc
	v_lshrrev_b32_e32 v7, 23, v0
	v_add3_u32 v9, v24, v1, v7
	v_add_u32_e32 v7, 14, v9
	v_and_b32_e32 v1, 0x1fffff, v6
	v_add_u32_e32 v32, v1, v0
	v_cmp_ne_u32_e32 vcc, 0, v7
                                        ; implicit-def: $vgpr0_vgpr1
                                        ; implicit-def: $vgpr6
	s_and_saveexec_b64 s[40:41], vcc
	s_xor_b64 s[40:41], exec, s[40:41]
; %bb.9912:                             ;   in Loop: Header=BB6_9582 Depth=4
	v_cmp_lt_u64_e32 vcc, s[88:89], v[32:33]
	v_add_u32_e32 v0, 15, v9
	v_cndmask_b32_e32 v6, v7, v0, vcc
	v_cndmask_b32_e64 v0, 0, 1, vcc
	v_lshrrev_b64 v[0:1], v0, v[32:33]
; %bb.9913:                             ;   in Loop: Header=BB6_9582 Depth=4
	s_andn2_saveexec_b64 s[40:41], s[40:41]
; %bb.9914:                             ;   in Loop: Header=BB6_9582 Depth=4
	v_mov_b32_e32 v0, v32
	v_mov_b32_e32 v1, v33
	v_bfe_u32 v6, v32, 23, 1
; %bb.9915:                             ;   in Loop: Header=BB6_9582 Depth=4
	s_or_b64 exec, exec, s[40:41]
	v_lshrrev_b64 v[0:1], 21, v[0:1]
	v_cmp_gt_i32_e32 vcc, 32, v6
	v_cndmask_b32_e32 v1, 0, v1, vcc
	v_cndmask_b32_e32 v0, 3, v0, vcc
	v_cmp_eq_u64_e64 s[40:41], 0, v[0:1]
	v_min_i32_e32 v1, 31, v6
	v_lshlrev_b32_e32 v1, 2, v1
	v_cmp_eq_u32_e32 vcc, 0, v6
	v_and_b32_e32 v1, 0xfc, v1
	v_and_or_b32 v0, v0, 3, v1
	s_and_b64 s[40:41], vcc, s[40:41]
	v_cndmask_b32_e64 v0, v0, 0, s[40:41]
	v_or_b32_e32 v37, v0, v8
.LBB6_9916:                             ;   in Loop: Header=BB6_9582 Depth=4
	s_or_b64 exec, exec, s[48:49]
                                        ; implicit-def: $vgpr8
.LBB6_9917:                             ;   in Loop: Header=BB6_9582 Depth=4
	s_andn2_saveexec_b64 s[40:41], s[38:39]
; %bb.9918:                             ;   in Loop: Header=BB6_9582 Depth=4
	v_or_b32_e32 v37, 0x7b, v8
; %bb.9919:                             ;   in Loop: Header=BB6_9582 Depth=4
	s_or_b64 exec, exec, s[40:41]
                                        ; implicit-def: $vgpr0
.LBB6_9920:                             ;   in Loop: Header=BB6_9582 Depth=4
	s_andn2_saveexec_b64 s[40:41], s[42:43]
	s_cbranch_execz .LBB6_9926
; %bb.9921:                             ;   in Loop: Header=BB6_9582 Depth=4
	v_cmp_ne_u64_e32 vcc, 0, v[32:33]
                                        ; implicit-def: $vgpr37
	s_and_saveexec_b64 s[42:43], vcc
	s_xor_b64 s[42:43], exec, s[42:43]
; %bb.9922:                             ;   in Loop: Header=BB6_9582 Depth=4
	v_or_b32_sdwa v37, v0, s44 dst_sel:DWORD dst_unused:UNUSED_PAD src0_sel:BYTE_3 src1_sel:DWORD
                                        ; implicit-def: $vgpr0
; %bb.9923:                             ;   in Loop: Header=BB6_9582 Depth=4
	s_andn2_saveexec_b64 s[42:43], s[42:43]
; %bb.9924:                             ;   in Loop: Header=BB6_9582 Depth=4
	v_cmp_lt_i32_e32 vcc, -1, v0
	v_bfrev_b32_e32 v0, 0.5
	v_mov_b32_e32 v1, 0x7c
	v_cndmask_b32_e32 v37, v0, v1, vcc
; %bb.9925:                             ;   in Loop: Header=BB6_9582 Depth=4
	s_or_b64 exec, exec, s[42:43]
.LBB6_9926:                             ;   in Loop: Header=BB6_9582 Depth=4
	s_or_b64 exec, exec, s[40:41]
	v_mov_b32_e32 v32, v11
	v_cmp_ne_u16_sdwa s[42:43], v11, v33 src0_sel:BYTE_0 src1_sel:DWORD
	v_mov_b32_e32 v0, 0
	s_and_saveexec_b64 s[40:41], s[42:43]
	s_cbranch_execz .LBB6_9934
; %bb.9927:                             ;   in Loop: Header=BB6_9582 Depth=4
	v_cmp_ne_u16_sdwa s[62:63], v11, s97 src0_sel:BYTE_0 src1_sel:DWORD
	v_bfrev_b32_e32 v0, 1
	s_and_saveexec_b64 s[42:43], s[62:63]
	s_cbranch_execz .LBB6_9933
; %bb.9928:                             ;   in Loop: Header=BB6_9582 Depth=4
	v_and_b32_e32 v0, 0x7c, v11
	v_and_b32_e32 v1, 3, v11
	v_cmp_ne_u32_e32 vcc, s86, v0
                                        ; implicit-def: $vgpr0
	s_and_saveexec_b64 s[62:63], vcc
	s_xor_b64 s[38:39], exec, s[62:63]
	s_cbranch_execz .LBB6_9930
; %bb.9929:                             ;   in Loop: Header=BB6_9582 Depth=4
	v_ffbh_u32_e32 v6, v1
	v_min_u32_e32 v8, 32, v6
	v_subrev_u32_e32 v6, 29, v8
	v_lshlrev_b64 v[6:7], v6, v[32:33]
	v_bfe_u32 v0, v11, 2, 5
	v_and_b32_e32 v6, 3, v6
	v_cmp_eq_u32_e32 vcc, 0, v0
	v_sub_u32_e32 v7, 30, v8
	v_cndmask_b32_e32 v1, v1, v6, vcc
	v_lshlrev_b32_e32 v6, 24, v11
	v_cndmask_b32_e32 v0, v0, v7, vcc
	v_and_b32_e32 v6, 0x80000000, v6
	v_lshl_add_u32 v0, v0, 23, v6
	v_lshl_or_b32 v0, v1, 21, v0
	v_add_u32_e32 v0, 0x38000000, v0
                                        ; implicit-def: $vgpr1
.LBB6_9930:                             ;   in Loop: Header=BB6_9582 Depth=4
	s_andn2_saveexec_b64 s[38:39], s[38:39]
; %bb.9931:                             ;   in Loop: Header=BB6_9582 Depth=4
	v_mov_b32_e32 v0, -1
	v_cmp_gt_i16_sdwa vcc, sext(v11), v0 src0_sel:BYTE_0 src1_sel:DWORD
	v_mov_b32_e32 v0, 0xff800000
	v_mov_b32_e32 v6, 0x7f800000
	v_cndmask_b32_e32 v0, v0, v6, vcc
	v_cmp_eq_u32_e32 vcc, 0, v1
	v_mov_b32_e32 v1, 0x7f800001
	v_cndmask_b32_e32 v0, v1, v0, vcc
; %bb.9932:                             ;   in Loop: Header=BB6_9582 Depth=4
	s_or_b64 exec, exec, s[38:39]
.LBB6_9933:                             ;   in Loop: Header=BB6_9582 Depth=4
	s_or_b64 exec, exec, s[42:43]
.LBB6_9934:                             ;   in Loop: Header=BB6_9582 Depth=4
	s_or_b64 exec, exec, s[40:41]
	v_mul_f32_e32 v6, v23, v0
	v_and_b32_e32 v7, 0x7f800000, v6
	v_mov_b32_e32 v8, v33
	v_cmp_ne_u64_e32 vcc, s[76:77], v[7:8]
	v_and_b32_e32 v0, 0x7fffff, v6
	v_mov_b32_e32 v1, v33
                                        ; implicit-def: $vgpr24
	s_and_saveexec_b64 s[40:41], vcc
	s_xor_b64 s[42:43], exec, s[40:41]
	s_cbranch_execz .LBB6_9948
; %bb.9935:                             ;   in Loop: Header=BB6_9582 Depth=4
	v_and_b32_e32 v7, 0x7fffffff, v6
	v_mov_b32_e32 v8, v33
	v_cmp_gt_u64_e32 vcc, s[78:79], v[7:8]
	v_and_b32_sdwa v8, v6, s97 dst_sel:DWORD dst_unused:UNUSED_PAD src0_sel:BYTE_3 src1_sel:DWORD
                                        ; implicit-def: $vgpr24
	s_and_saveexec_b64 s[40:41], vcc
	s_xor_b64 s[38:39], exec, s[40:41]
	s_cbranch_execz .LBB6_9945
; %bb.9936:                             ;   in Loop: Header=BB6_9582 Depth=4
	v_mov_b32_e32 v24, 0
	v_cmp_ne_u32_e32 vcc, 0, v6
	s_and_saveexec_b64 s[48:49], vcc
	s_cbranch_execz .LBB6_9944
; %bb.9937:                             ;   in Loop: Header=BB6_9582 Depth=4
	v_bfe_u32 v9, v6, 23, 8
	v_cmp_gt_u32_e64 s[40:41], s47, v9
	v_sub_u32_e32 v6, 0x71, v9
	v_cmp_eq_u32_e32 vcc, 0, v9
	v_cndmask_b32_e64 v6, 0, v6, s[40:41]
	v_mov_b32_e32 v24, 0x70
	v_cndmask_b32_e32 v24, v6, v24, vcc
	v_or_b32_e32 v7, 0x800000, v0
	v_add_u32_e32 v6, 21, v24
	v_cndmask_b32_e32 v0, v7, v0, vcc
	v_lshlrev_b64 v[6:7], v6, -1
	v_add_u32_e32 v27, 20, v24
	v_bfi_b32 v6, v6, 0, v0
	v_lshlrev_b64 v[48:49], v27, 1
	v_lshrrev_b64 v[0:1], v24, v[0:1]
	v_bfi_b32 v7, v7, 0, 0
	v_cmp_eq_u64_e64 s[40:41], v[6:7], v[48:49]
	v_mov_b32_e32 v7, v1
	v_mov_b32_e32 v6, v0
	s_and_saveexec_b64 s[50:51], s[40:41]
; %bb.9938:                             ;   in Loop: Header=BB6_9582 Depth=4
	v_bfe_u32 v1, v0, 21, 1
	v_add_co_u32_e64 v1, s[40:41], v0, v1
	v_add_co_u32_e64 v6, s[40:41], -1, v1
; %bb.9939:                             ;   in Loop: Header=BB6_9582 Depth=4
	s_or_b64 exec, exec, s[50:51]
	v_add_u32_e32 v1, 0xffffff81, v9
	v_mov_b32_e32 v7, 0xffffff82
	v_cndmask_b32_e32 v1, v1, v7, vcc
	v_lshrrev_b32_e32 v7, 23, v0
	v_add3_u32 v9, v24, v1, v7
	v_add_u32_e32 v7, 14, v9
	v_and_b32_e32 v1, 0x1fffff, v6
	v_add_u32_e32 v0, v1, v0
	v_mov_b32_e32 v1, v33
	v_cmp_ne_u32_e32 vcc, 0, v7
                                        ; implicit-def: $vgpr6
	s_and_saveexec_b64 s[40:41], vcc
	s_xor_b64 s[40:41], exec, s[40:41]
; %bb.9940:                             ;   in Loop: Header=BB6_9582 Depth=4
	v_cmp_lt_u64_e32 vcc, s[88:89], v[0:1]
	v_add_u32_e32 v6, 15, v9
	v_cndmask_b32_e32 v6, v7, v6, vcc
	v_cndmask_b32_e64 v7, 0, 1, vcc
	v_lshrrev_b64 v[0:1], v7, v[0:1]
; %bb.9941:                             ;   in Loop: Header=BB6_9582 Depth=4
	s_andn2_saveexec_b64 s[40:41], s[40:41]
; %bb.9942:                             ;   in Loop: Header=BB6_9582 Depth=4
	v_bfe_u32 v6, v0, 23, 1
; %bb.9943:                             ;   in Loop: Header=BB6_9582 Depth=4
	s_or_b64 exec, exec, s[40:41]
	v_lshrrev_b64 v[0:1], 21, v[0:1]
	v_cmp_gt_i32_e32 vcc, 32, v6
	v_cndmask_b32_e32 v1, 0, v1, vcc
	v_cndmask_b32_e32 v0, 3, v0, vcc
	v_cmp_eq_u64_e64 s[40:41], 0, v[0:1]
	v_min_i32_e32 v1, 31, v6
	v_lshlrev_b32_e32 v1, 2, v1
	v_cmp_eq_u32_e32 vcc, 0, v6
	v_and_b32_e32 v1, 0xfc, v1
	v_and_or_b32 v0, v0, 3, v1
	s_and_b64 s[40:41], vcc, s[40:41]
	v_cndmask_b32_e64 v0, v0, 0, s[40:41]
	v_or_b32_e32 v24, v0, v8
.LBB6_9944:                             ;   in Loop: Header=BB6_9582 Depth=4
	s_or_b64 exec, exec, s[48:49]
                                        ; implicit-def: $vgpr8
.LBB6_9945:                             ;   in Loop: Header=BB6_9582 Depth=4
	s_andn2_saveexec_b64 s[40:41], s[38:39]
; %bb.9946:                             ;   in Loop: Header=BB6_9582 Depth=4
	v_or_b32_e32 v24, 0x7b, v8
; %bb.9947:                             ;   in Loop: Header=BB6_9582 Depth=4
	s_or_b64 exec, exec, s[40:41]
                                        ; implicit-def: $vgpr6
                                        ; implicit-def: $vgpr0_vgpr1
.LBB6_9948:                             ;   in Loop: Header=BB6_9582 Depth=4
	s_andn2_saveexec_b64 s[40:41], s[42:43]
	s_cbranch_execz .LBB6_9954
; %bb.9949:                             ;   in Loop: Header=BB6_9582 Depth=4
	v_cmp_ne_u64_e32 vcc, 0, v[0:1]
                                        ; implicit-def: $vgpr24
	s_and_saveexec_b64 s[42:43], vcc
	s_xor_b64 s[42:43], exec, s[42:43]
; %bb.9950:                             ;   in Loop: Header=BB6_9582 Depth=4
	v_or_b32_sdwa v24, v6, s44 dst_sel:DWORD dst_unused:UNUSED_PAD src0_sel:BYTE_3 src1_sel:DWORD
                                        ; implicit-def: $vgpr6
; %bb.9951:                             ;   in Loop: Header=BB6_9582 Depth=4
	s_andn2_saveexec_b64 s[42:43], s[42:43]
; %bb.9952:                             ;   in Loop: Header=BB6_9582 Depth=4
	v_cmp_lt_i32_e32 vcc, -1, v6
	v_bfrev_b32_e32 v0, 0.5
	v_mov_b32_e32 v1, 0x7c
	v_cndmask_b32_e32 v24, v0, v1, vcc
; %bb.9953:                             ;   in Loop: Header=BB6_9582 Depth=4
	s_or_b64 exec, exec, s[42:43]
.LBB6_9954:                             ;   in Loop: Header=BB6_9582 Depth=4
	s_or_b64 exec, exec, s[40:41]
	v_lshrrev_b16_e32 v0, 8, v32
	v_cmp_ne_u16_e32 vcc, 0, v0
	v_mov_b32_e32 v1, 0
	s_and_saveexec_b64 s[40:41], vcc
	s_cbranch_execz .LBB6_9962
; %bb.9955:                             ;   in Loop: Header=BB6_9582 Depth=4
	v_cmp_ne_u16_e32 vcc, s97, v0
	v_bfrev_b32_e32 v1, 1
	s_and_saveexec_b64 s[42:43], vcc
	s_cbranch_execz .LBB6_9961
; %bb.9956:                             ;   in Loop: Header=BB6_9582 Depth=4
	v_and_b32_e32 v1, 0x7c, v0
	v_and_b32_e32 v6, 3, v0
	v_cmp_ne_u32_e32 vcc, s86, v1
                                        ; implicit-def: $vgpr1
	s_and_saveexec_b64 s[62:63], vcc
	s_xor_b64 s[38:39], exec, s[62:63]
	s_cbranch_execz .LBB6_9958
; %bb.9957:                             ;   in Loop: Header=BB6_9582 Depth=4
	v_ffbh_u32_e32 v8, v6
	v_min_u32_e32 v8, 32, v8
	v_mov_b32_e32 v1, v33
	v_subrev_u32_e32 v9, 29, v8
	v_bfe_u32 v7, v0, 2, 5
	v_lshlrev_b64 v[0:1], v9, v[0:1]
	v_cmp_eq_u32_e32 vcc, 0, v7
	v_and_b32_e32 v0, 3, v0
	v_sub_u32_e32 v1, 30, v8
	v_cndmask_b32_e32 v0, v6, v0, vcc
	v_lshlrev_b32_e32 v6, 16, v32
	v_cndmask_b32_e32 v1, v7, v1, vcc
	v_and_b32_e32 v6, 0x80000000, v6
	v_lshl_add_u32 v1, v1, 23, v6
	v_lshl_or_b32 v0, v0, 21, v1
	v_add_u32_e32 v1, 0x38000000, v0
                                        ; implicit-def: $vgpr6
.LBB6_9958:                             ;   in Loop: Header=BB6_9582 Depth=4
	s_andn2_saveexec_b64 s[38:39], s[38:39]
; %bb.9959:                             ;   in Loop: Header=BB6_9582 Depth=4
	v_cmp_lt_i16_e32 vcc, -1, v32
	v_mov_b32_e32 v0, 0xff800000
	v_mov_b32_e32 v1, 0x7f800000
	v_cndmask_b32_e32 v0, v0, v1, vcc
	v_cmp_eq_u32_e32 vcc, 0, v6
	v_mov_b32_e32 v1, 0x7f800001
	v_cndmask_b32_e32 v1, v1, v0, vcc
; %bb.9960:                             ;   in Loop: Header=BB6_9582 Depth=4
	s_or_b64 exec, exec, s[38:39]
.LBB6_9961:                             ;   in Loop: Header=BB6_9582 Depth=4
	s_or_b64 exec, exec, s[42:43]
.LBB6_9962:                             ;   in Loop: Header=BB6_9582 Depth=4
	s_or_b64 exec, exec, s[40:41]
	v_mul_f32_e32 v0, v23, v1
	v_and_b32_e32 v6, 0x7f800000, v0
	v_mov_b32_e32 v7, v33
	v_cmp_ne_u64_e32 vcc, s[76:77], v[6:7]
	v_and_b32_e32 v32, 0x7fffff, v0
                                        ; implicit-def: $vgpr27
	s_and_saveexec_b64 s[40:41], vcc
	s_xor_b64 s[42:43], exec, s[40:41]
	s_cbranch_execz .LBB6_9976
; %bb.9963:                             ;   in Loop: Header=BB6_9582 Depth=4
	v_and_b32_e32 v6, 0x7fffffff, v0
	v_mov_b32_e32 v7, v33
	v_cmp_gt_u64_e32 vcc, s[78:79], v[6:7]
	v_and_b32_sdwa v8, v0, s97 dst_sel:DWORD dst_unused:UNUSED_PAD src0_sel:BYTE_3 src1_sel:DWORD
                                        ; implicit-def: $vgpr27
	s_and_saveexec_b64 s[40:41], vcc
	s_xor_b64 s[38:39], exec, s[40:41]
	s_cbranch_execz .LBB6_9973
; %bb.9964:                             ;   in Loop: Header=BB6_9582 Depth=4
	v_mov_b32_e32 v27, 0
	v_cmp_ne_u32_e32 vcc, 0, v0
	s_and_saveexec_b64 s[48:49], vcc
	s_cbranch_execz .LBB6_9972
; %bb.9965:                             ;   in Loop: Header=BB6_9582 Depth=4
	v_bfe_u32 v9, v0, 23, 8
	v_cmp_gt_u32_e64 s[40:41], s47, v9
	v_sub_u32_e32 v0, 0x71, v9
	v_cmp_eq_u32_e32 vcc, 0, v9
	v_cndmask_b32_e64 v0, 0, v0, s[40:41]
	v_mov_b32_e32 v6, 0x70
	v_cndmask_b32_e32 v27, v0, v6, vcc
	v_add_u32_e32 v6, 21, v27
	v_or_b32_e32 v1, 0x800000, v32
	v_lshlrev_b64 v[6:7], v6, -1
	v_cndmask_b32_e32 v0, v1, v32, vcc
	v_mov_b32_e32 v1, v33
	v_add_u32_e32 v29, 20, v27
	v_bfi_b32 v6, v6, 0, v0
	v_lshlrev_b64 v[31:32], v29, 1
	v_lshrrev_b64 v[0:1], v27, v[0:1]
	v_bfi_b32 v7, v7, 0, 0
	v_cmp_eq_u64_e64 s[40:41], v[6:7], v[31:32]
	v_mov_b32_e32 v7, v1
	v_mov_b32_e32 v6, v0
	s_and_saveexec_b64 s[50:51], s[40:41]
; %bb.9966:                             ;   in Loop: Header=BB6_9582 Depth=4
	v_bfe_u32 v1, v0, 21, 1
	v_add_co_u32_e64 v1, s[40:41], v0, v1
	v_add_co_u32_e64 v6, s[40:41], -1, v1
; %bb.9967:                             ;   in Loop: Header=BB6_9582 Depth=4
	s_or_b64 exec, exec, s[50:51]
	v_add_u32_e32 v1, 0xffffff81, v9
	v_mov_b32_e32 v7, 0xffffff82
	v_cndmask_b32_e32 v1, v1, v7, vcc
	v_lshrrev_b32_e32 v7, 23, v0
	v_add3_u32 v9, v27, v1, v7
	v_add_u32_e32 v7, 14, v9
	v_and_b32_e32 v1, 0x1fffff, v6
	v_add_u32_e32 v32, v1, v0
	v_cmp_ne_u32_e32 vcc, 0, v7
                                        ; implicit-def: $vgpr0_vgpr1
                                        ; implicit-def: $vgpr6
	s_and_saveexec_b64 s[40:41], vcc
	s_xor_b64 s[40:41], exec, s[40:41]
; %bb.9968:                             ;   in Loop: Header=BB6_9582 Depth=4
	v_cmp_lt_u64_e32 vcc, s[88:89], v[32:33]
	v_add_u32_e32 v0, 15, v9
	v_cndmask_b32_e32 v6, v7, v0, vcc
	v_cndmask_b32_e64 v0, 0, 1, vcc
	v_lshrrev_b64 v[0:1], v0, v[32:33]
; %bb.9969:                             ;   in Loop: Header=BB6_9582 Depth=4
	s_andn2_saveexec_b64 s[40:41], s[40:41]
; %bb.9970:                             ;   in Loop: Header=BB6_9582 Depth=4
	v_mov_b32_e32 v0, v32
	v_mov_b32_e32 v1, v33
	v_bfe_u32 v6, v32, 23, 1
; %bb.9971:                             ;   in Loop: Header=BB6_9582 Depth=4
	s_or_b64 exec, exec, s[40:41]
	v_lshrrev_b64 v[0:1], 21, v[0:1]
	v_cmp_gt_i32_e32 vcc, 32, v6
	v_cndmask_b32_e32 v1, 0, v1, vcc
	v_cndmask_b32_e32 v0, 3, v0, vcc
	v_cmp_eq_u64_e64 s[40:41], 0, v[0:1]
	v_min_i32_e32 v1, 31, v6
	v_lshlrev_b32_e32 v1, 2, v1
	v_cmp_eq_u32_e32 vcc, 0, v6
	v_and_b32_e32 v1, 0xfc, v1
	v_and_or_b32 v0, v0, 3, v1
	s_and_b64 s[40:41], vcc, s[40:41]
	v_cndmask_b32_e64 v0, v0, 0, s[40:41]
	v_or_b32_e32 v27, v0, v8
.LBB6_9972:                             ;   in Loop: Header=BB6_9582 Depth=4
	s_or_b64 exec, exec, s[48:49]
                                        ; implicit-def: $vgpr8
.LBB6_9973:                             ;   in Loop: Header=BB6_9582 Depth=4
	s_andn2_saveexec_b64 s[40:41], s[38:39]
; %bb.9974:                             ;   in Loop: Header=BB6_9582 Depth=4
	v_or_b32_e32 v27, 0x7b, v8
; %bb.9975:                             ;   in Loop: Header=BB6_9582 Depth=4
	s_or_b64 exec, exec, s[40:41]
                                        ; implicit-def: $vgpr0
.LBB6_9976:                             ;   in Loop: Header=BB6_9582 Depth=4
	s_andn2_saveexec_b64 s[40:41], s[42:43]
	s_cbranch_execz .LBB6_9982
; %bb.9977:                             ;   in Loop: Header=BB6_9582 Depth=4
	v_cmp_ne_u64_e32 vcc, 0, v[32:33]
                                        ; implicit-def: $vgpr27
	s_and_saveexec_b64 s[42:43], vcc
	s_xor_b64 s[42:43], exec, s[42:43]
; %bb.9978:                             ;   in Loop: Header=BB6_9582 Depth=4
	v_or_b32_sdwa v27, v0, s44 dst_sel:DWORD dst_unused:UNUSED_PAD src0_sel:BYTE_3 src1_sel:DWORD
                                        ; implicit-def: $vgpr0
; %bb.9979:                             ;   in Loop: Header=BB6_9582 Depth=4
	s_andn2_saveexec_b64 s[42:43], s[42:43]
; %bb.9980:                             ;   in Loop: Header=BB6_9582 Depth=4
	v_cmp_lt_i32_e32 vcc, -1, v0
	v_bfrev_b32_e32 v0, 0.5
	v_mov_b32_e32 v1, 0x7c
	v_cndmask_b32_e32 v27, v0, v1, vcc
; %bb.9981:                             ;   in Loop: Header=BB6_9582 Depth=4
	s_or_b64 exec, exec, s[42:43]
.LBB6_9982:                             ;   in Loop: Header=BB6_9582 Depth=4
	s_or_b64 exec, exec, s[40:41]
	v_lshrrev_b32_e32 v0, 16, v11
	v_cmp_ne_u16_sdwa s[42:43], v0, v33 src0_sel:BYTE_0 src1_sel:DWORD
	v_mov_b32_e32 v1, 0
	s_and_saveexec_b64 s[40:41], s[42:43]
	s_cbranch_execz .LBB6_9990
; %bb.9983:                             ;   in Loop: Header=BB6_9582 Depth=4
	v_cmp_ne_u16_sdwa s[62:63], v0, s97 src0_sel:BYTE_0 src1_sel:DWORD
	v_bfrev_b32_e32 v1, 1
	s_and_saveexec_b64 s[42:43], s[62:63]
	s_cbranch_execz .LBB6_9989
; %bb.9984:                             ;   in Loop: Header=BB6_9582 Depth=4
	v_and_b32_e32 v1, 0x7c0000, v11
	v_bfe_u32 v6, v11, 16, 2
	v_cmp_ne_u32_e32 vcc, s45, v1
                                        ; implicit-def: $vgpr1
	s_and_saveexec_b64 s[62:63], vcc
	s_xor_b64 s[38:39], exec, s[62:63]
	s_cbranch_execz .LBB6_9986
; %bb.9985:                             ;   in Loop: Header=BB6_9582 Depth=4
	v_ffbh_u32_e32 v1, v6
	v_min_u32_e32 v8, 32, v1
	v_subrev_u32_e32 v1, 29, v8
	v_lshlrev_b64 v[0:1], v1, v[0:1]
	v_bfe_u32 v7, v11, 18, 5
	v_and_b32_e32 v0, 3, v0
	v_cmp_eq_u32_e32 vcc, 0, v7
	v_sub_u32_e32 v1, 30, v8
	v_cndmask_b32_e32 v0, v6, v0, vcc
	v_lshlrev_b32_e32 v6, 8, v11
	v_cndmask_b32_e32 v1, v7, v1, vcc
	v_and_b32_e32 v6, 0x80000000, v6
	v_lshl_add_u32 v1, v1, 23, v6
	v_lshl_or_b32 v0, v0, 21, v1
	v_add_u32_e32 v1, 0x38000000, v0
                                        ; implicit-def: $vgpr6
                                        ; implicit-def: $vgpr0
.LBB6_9986:                             ;   in Loop: Header=BB6_9582 Depth=4
	s_andn2_saveexec_b64 s[38:39], s[38:39]
; %bb.9987:                             ;   in Loop: Header=BB6_9582 Depth=4
	v_mov_b32_e32 v1, -1
	v_cmp_gt_i16_sdwa vcc, sext(v0), v1 src0_sel:BYTE_0 src1_sel:DWORD
	v_mov_b32_e32 v0, 0xff800000
	v_mov_b32_e32 v1, 0x7f800000
	v_cndmask_b32_e32 v0, v0, v1, vcc
	v_cmp_eq_u32_e32 vcc, 0, v6
	v_mov_b32_e32 v1, 0x7f800001
	v_cndmask_b32_e32 v1, v1, v0, vcc
; %bb.9988:                             ;   in Loop: Header=BB6_9582 Depth=4
	s_or_b64 exec, exec, s[38:39]
.LBB6_9989:                             ;   in Loop: Header=BB6_9582 Depth=4
	s_or_b64 exec, exec, s[42:43]
.LBB6_9990:                             ;   in Loop: Header=BB6_9582 Depth=4
	s_or_b64 exec, exec, s[40:41]
	v_mul_f32_e32 v0, v23, v1
	v_and_b32_e32 v6, 0x7f800000, v0
	v_mov_b32_e32 v7, v33
	v_cmp_ne_u64_e32 vcc, s[76:77], v[6:7]
	v_and_b32_e32 v32, 0x7fffff, v0
                                        ; implicit-def: $vgpr29
	s_and_saveexec_b64 s[40:41], vcc
	s_xor_b64 s[42:43], exec, s[40:41]
	s_cbranch_execz .LBB6_10004
; %bb.9991:                             ;   in Loop: Header=BB6_9582 Depth=4
	v_and_b32_e32 v6, 0x7fffffff, v0
	v_mov_b32_e32 v7, v33
	v_cmp_gt_u64_e32 vcc, s[78:79], v[6:7]
	v_and_b32_sdwa v8, v0, s97 dst_sel:DWORD dst_unused:UNUSED_PAD src0_sel:BYTE_3 src1_sel:DWORD
                                        ; implicit-def: $vgpr29
	s_and_saveexec_b64 s[40:41], vcc
	s_xor_b64 s[38:39], exec, s[40:41]
	s_cbranch_execz .LBB6_10001
; %bb.9992:                             ;   in Loop: Header=BB6_9582 Depth=4
	v_mov_b32_e32 v29, 0
	v_cmp_ne_u32_e32 vcc, 0, v0
	s_and_saveexec_b64 s[48:49], vcc
	s_cbranch_execz .LBB6_10000
; %bb.9993:                             ;   in Loop: Header=BB6_9582 Depth=4
	v_bfe_u32 v9, v0, 23, 8
	v_cmp_gt_u32_e64 s[40:41], s47, v9
	v_sub_u32_e32 v0, 0x71, v9
	v_cmp_eq_u32_e32 vcc, 0, v9
	v_cndmask_b32_e64 v0, 0, v0, s[40:41]
	v_mov_b32_e32 v6, 0x70
	v_cndmask_b32_e32 v29, v0, v6, vcc
	v_add_u32_e32 v6, 21, v29
	v_or_b32_e32 v1, 0x800000, v32
	v_lshlrev_b64 v[6:7], v6, -1
	v_cndmask_b32_e32 v0, v1, v32, vcc
	v_mov_b32_e32 v1, v33
	v_add_u32_e32 v31, 20, v29
	v_bfi_b32 v6, v6, 0, v0
	v_lshlrev_b64 v[31:32], v31, 1
	v_lshrrev_b64 v[0:1], v29, v[0:1]
	v_bfi_b32 v7, v7, 0, 0
	v_cmp_eq_u64_e64 s[40:41], v[6:7], v[31:32]
	v_mov_b32_e32 v7, v1
	v_mov_b32_e32 v6, v0
	s_and_saveexec_b64 s[50:51], s[40:41]
; %bb.9994:                             ;   in Loop: Header=BB6_9582 Depth=4
	v_bfe_u32 v1, v0, 21, 1
	v_add_co_u32_e64 v1, s[40:41], v0, v1
	v_add_co_u32_e64 v6, s[40:41], -1, v1
; %bb.9995:                             ;   in Loop: Header=BB6_9582 Depth=4
	s_or_b64 exec, exec, s[50:51]
	v_add_u32_e32 v1, 0xffffff81, v9
	v_mov_b32_e32 v7, 0xffffff82
	v_cndmask_b32_e32 v1, v1, v7, vcc
	v_lshrrev_b32_e32 v7, 23, v0
	v_add3_u32 v9, v29, v1, v7
	v_add_u32_e32 v7, 14, v9
	v_and_b32_e32 v1, 0x1fffff, v6
	v_add_u32_e32 v32, v1, v0
	v_cmp_ne_u32_e32 vcc, 0, v7
                                        ; implicit-def: $vgpr0_vgpr1
                                        ; implicit-def: $vgpr6
	s_and_saveexec_b64 s[40:41], vcc
	s_xor_b64 s[40:41], exec, s[40:41]
; %bb.9996:                             ;   in Loop: Header=BB6_9582 Depth=4
	v_cmp_lt_u64_e32 vcc, s[88:89], v[32:33]
	v_add_u32_e32 v0, 15, v9
	v_cndmask_b32_e32 v6, v7, v0, vcc
	v_cndmask_b32_e64 v0, 0, 1, vcc
	v_lshrrev_b64 v[0:1], v0, v[32:33]
; %bb.9997:                             ;   in Loop: Header=BB6_9582 Depth=4
	s_andn2_saveexec_b64 s[40:41], s[40:41]
; %bb.9998:                             ;   in Loop: Header=BB6_9582 Depth=4
	v_mov_b32_e32 v0, v32
	v_mov_b32_e32 v1, v33
	v_bfe_u32 v6, v32, 23, 1
; %bb.9999:                             ;   in Loop: Header=BB6_9582 Depth=4
	s_or_b64 exec, exec, s[40:41]
	v_lshrrev_b64 v[0:1], 21, v[0:1]
	v_cmp_gt_i32_e32 vcc, 32, v6
	v_cndmask_b32_e32 v1, 0, v1, vcc
	v_cndmask_b32_e32 v0, 3, v0, vcc
	v_cmp_eq_u64_e64 s[40:41], 0, v[0:1]
	v_min_i32_e32 v1, 31, v6
	v_lshlrev_b32_e32 v1, 2, v1
	v_cmp_eq_u32_e32 vcc, 0, v6
	v_and_b32_e32 v1, 0xfc, v1
	v_and_or_b32 v0, v0, 3, v1
	s_and_b64 s[40:41], vcc, s[40:41]
	v_cndmask_b32_e64 v0, v0, 0, s[40:41]
	v_or_b32_e32 v29, v0, v8
.LBB6_10000:                            ;   in Loop: Header=BB6_9582 Depth=4
	s_or_b64 exec, exec, s[48:49]
                                        ; implicit-def: $vgpr8
.LBB6_10001:                            ;   in Loop: Header=BB6_9582 Depth=4
	s_andn2_saveexec_b64 s[40:41], s[38:39]
; %bb.10002:                            ;   in Loop: Header=BB6_9582 Depth=4
	v_or_b32_e32 v29, 0x7b, v8
; %bb.10003:                            ;   in Loop: Header=BB6_9582 Depth=4
	s_or_b64 exec, exec, s[40:41]
                                        ; implicit-def: $vgpr0
.LBB6_10004:                            ;   in Loop: Header=BB6_9582 Depth=4
	s_andn2_saveexec_b64 s[40:41], s[42:43]
	s_cbranch_execz .LBB6_10010
; %bb.10005:                            ;   in Loop: Header=BB6_9582 Depth=4
	v_cmp_ne_u64_e32 vcc, 0, v[32:33]
                                        ; implicit-def: $vgpr29
	s_and_saveexec_b64 s[42:43], vcc
	s_xor_b64 s[42:43], exec, s[42:43]
; %bb.10006:                            ;   in Loop: Header=BB6_9582 Depth=4
	v_or_b32_sdwa v29, v0, s44 dst_sel:DWORD dst_unused:UNUSED_PAD src0_sel:BYTE_3 src1_sel:DWORD
                                        ; implicit-def: $vgpr0
; %bb.10007:                            ;   in Loop: Header=BB6_9582 Depth=4
	s_andn2_saveexec_b64 s[42:43], s[42:43]
; %bb.10008:                            ;   in Loop: Header=BB6_9582 Depth=4
	v_cmp_lt_i32_e32 vcc, -1, v0
	v_bfrev_b32_e32 v0, 0.5
	v_mov_b32_e32 v1, 0x7c
	v_cndmask_b32_e32 v29, v0, v1, vcc
; %bb.10009:                            ;   in Loop: Header=BB6_9582 Depth=4
	s_or_b64 exec, exec, s[42:43]
.LBB6_10010:                            ;   in Loop: Header=BB6_9582 Depth=4
	s_or_b64 exec, exec, s[40:41]
	v_cmp_lt_u64_e32 vcc, s[56:57], v[10:11]
	v_mov_b32_e32 v1, 0
	s_and_saveexec_b64 s[40:41], vcc
	s_cbranch_execz .LBB6_10018
; %bb.10011:                            ;   in Loop: Header=BB6_9582 Depth=4
	v_lshrrev_b32_e32 v0, 24, v11
	v_cmp_ne_u32_e32 vcc, s97, v0
	v_bfrev_b32_e32 v1, 1
	s_and_saveexec_b64 s[42:43], vcc
	s_cbranch_execz .LBB6_10017
; %bb.10012:                            ;   in Loop: Header=BB6_9582 Depth=4
	v_and_b32_e32 v1, 0x7c000000, v11
	v_bfe_u32 v6, v11, 24, 2
	v_cmp_ne_u32_e32 vcc, s68, v1
                                        ; implicit-def: $vgpr1
	s_and_saveexec_b64 s[62:63], vcc
	s_xor_b64 s[38:39], exec, s[62:63]
	s_cbranch_execz .LBB6_10014
; %bb.10013:                            ;   in Loop: Header=BB6_9582 Depth=4
	v_ffbh_u32_e32 v1, v6
	v_min_u32_e32 v8, 32, v1
	v_subrev_u32_e32 v1, 29, v8
	v_lshlrev_b64 v[0:1], v1, v[0:1]
	v_bfe_u32 v7, v11, 26, 5
	v_sub_u32_e32 v1, 30, v8
	v_and_b32_e32 v0, 3, v0
	v_cmp_eq_u32_e32 vcc, 0, v7
	v_cndmask_b32_e32 v1, v7, v1, vcc
	v_cndmask_b32_e32 v0, v6, v0, vcc
	v_and_b32_e32 v6, 0x80000000, v11
	v_lshl_add_u32 v1, v1, 23, v6
	v_lshl_or_b32 v0, v0, 21, v1
	v_add_u32_e32 v1, 0x38000000, v0
                                        ; implicit-def: $vgpr6
                                        ; implicit-def: $vgpr10_vgpr11
.LBB6_10014:                            ;   in Loop: Header=BB6_9582 Depth=4
	s_andn2_saveexec_b64 s[38:39], s[38:39]
; %bb.10015:                            ;   in Loop: Header=BB6_9582 Depth=4
	v_cmp_lt_i64_e32 vcc, -1, v[10:11]
	v_mov_b32_e32 v0, 0xff800000
	v_mov_b32_e32 v1, 0x7f800000
	v_cndmask_b32_e32 v0, v0, v1, vcc
	v_cmp_eq_u32_e32 vcc, 0, v6
	v_mov_b32_e32 v1, 0x7f800001
	v_cndmask_b32_e32 v1, v1, v0, vcc
; %bb.10016:                            ;   in Loop: Header=BB6_9582 Depth=4
	s_or_b64 exec, exec, s[38:39]
.LBB6_10017:                            ;   in Loop: Header=BB6_9582 Depth=4
	s_or_b64 exec, exec, s[42:43]
.LBB6_10018:                            ;   in Loop: Header=BB6_9582 Depth=4
	s_or_b64 exec, exec, s[40:41]
	v_mul_f32_e32 v0, v23, v1
	v_and_b32_e32 v6, 0x7f800000, v0
	v_mov_b32_e32 v7, v33
	v_cmp_ne_u64_e32 vcc, s[76:77], v[6:7]
	v_and_b32_e32 v32, 0x7fffff, v0
                                        ; implicit-def: $vgpr31
	s_and_saveexec_b64 s[40:41], vcc
	s_xor_b64 s[42:43], exec, s[40:41]
	s_cbranch_execz .LBB6_10032
; %bb.10019:                            ;   in Loop: Header=BB6_9582 Depth=4
	v_and_b32_e32 v6, 0x7fffffff, v0
	v_mov_b32_e32 v7, v33
	v_cmp_gt_u64_e32 vcc, s[78:79], v[6:7]
	v_and_b32_sdwa v8, v0, s97 dst_sel:DWORD dst_unused:UNUSED_PAD src0_sel:BYTE_3 src1_sel:DWORD
                                        ; implicit-def: $vgpr31
	s_and_saveexec_b64 s[40:41], vcc
	s_xor_b64 s[38:39], exec, s[40:41]
	s_cbranch_execz .LBB6_10029
; %bb.10020:                            ;   in Loop: Header=BB6_9582 Depth=4
	v_mov_b32_e32 v31, 0
	v_cmp_ne_u32_e32 vcc, 0, v0
	s_and_saveexec_b64 s[48:49], vcc
	s_cbranch_execz .LBB6_10028
; %bb.10021:                            ;   in Loop: Header=BB6_9582 Depth=4
	v_bfe_u32 v9, v0, 23, 8
	v_cmp_gt_u32_e64 s[40:41], s47, v9
	v_sub_u32_e32 v0, 0x71, v9
	v_cmp_eq_u32_e32 vcc, 0, v9
	v_cndmask_b32_e64 v0, 0, v0, s[40:41]
	v_mov_b32_e32 v6, 0x70
	v_cndmask_b32_e32 v10, v0, v6, vcc
	v_add_u32_e32 v6, 21, v10
	v_or_b32_e32 v1, 0x800000, v32
	v_lshlrev_b64 v[6:7], v6, -1
	v_cndmask_b32_e32 v0, v1, v32, vcc
	v_mov_b32_e32 v1, v33
	v_add_u32_e32 v11, 20, v10
	v_bfi_b32 v6, v6, 0, v0
	v_lshlrev_b64 v[31:32], v11, 1
	v_lshrrev_b64 v[0:1], v10, v[0:1]
	v_bfi_b32 v7, v7, 0, 0
	v_cmp_eq_u64_e64 s[40:41], v[6:7], v[31:32]
	v_mov_b32_e32 v7, v1
	v_mov_b32_e32 v6, v0
	s_and_saveexec_b64 s[50:51], s[40:41]
; %bb.10022:                            ;   in Loop: Header=BB6_9582 Depth=4
	v_bfe_u32 v1, v0, 21, 1
	v_add_co_u32_e64 v1, s[40:41], v0, v1
	v_add_co_u32_e64 v6, s[40:41], -1, v1
; %bb.10023:                            ;   in Loop: Header=BB6_9582 Depth=4
	s_or_b64 exec, exec, s[50:51]
	v_add_u32_e32 v1, 0xffffff81, v9
	v_mov_b32_e32 v7, 0xffffff82
	v_cndmask_b32_e32 v1, v1, v7, vcc
	v_lshrrev_b32_e32 v7, 23, v0
	v_add3_u32 v9, v10, v1, v7
	v_add_u32_e32 v7, 14, v9
	v_and_b32_e32 v1, 0x1fffff, v6
	v_add_u32_e32 v32, v1, v0
	v_cmp_ne_u32_e32 vcc, 0, v7
                                        ; implicit-def: $vgpr0_vgpr1
                                        ; implicit-def: $vgpr6
	s_and_saveexec_b64 s[40:41], vcc
	s_xor_b64 s[40:41], exec, s[40:41]
; %bb.10024:                            ;   in Loop: Header=BB6_9582 Depth=4
	v_cmp_lt_u64_e32 vcc, s[88:89], v[32:33]
	v_add_u32_e32 v0, 15, v9
	v_cndmask_b32_e32 v6, v7, v0, vcc
	v_cndmask_b32_e64 v0, 0, 1, vcc
	v_lshrrev_b64 v[0:1], v0, v[32:33]
; %bb.10025:                            ;   in Loop: Header=BB6_9582 Depth=4
	s_andn2_saveexec_b64 s[40:41], s[40:41]
; %bb.10026:                            ;   in Loop: Header=BB6_9582 Depth=4
	v_mov_b32_e32 v0, v32
	v_mov_b32_e32 v1, v33
	v_bfe_u32 v6, v32, 23, 1
; %bb.10027:                            ;   in Loop: Header=BB6_9582 Depth=4
	s_or_b64 exec, exec, s[40:41]
	v_lshrrev_b64 v[0:1], 21, v[0:1]
	v_cmp_gt_i32_e32 vcc, 32, v6
	v_cndmask_b32_e32 v1, 0, v1, vcc
	v_cndmask_b32_e32 v0, 3, v0, vcc
	v_cmp_eq_u64_e64 s[40:41], 0, v[0:1]
	v_min_i32_e32 v1, 31, v6
	v_lshlrev_b32_e32 v1, 2, v1
	v_cmp_eq_u32_e32 vcc, 0, v6
	v_and_b32_e32 v1, 0xfc, v1
	v_and_or_b32 v0, v0, 3, v1
	s_and_b64 s[40:41], vcc, s[40:41]
	v_cndmask_b32_e64 v0, v0, 0, s[40:41]
	v_or_b32_e32 v31, v0, v8
.LBB6_10028:                            ;   in Loop: Header=BB6_9582 Depth=4
	s_or_b64 exec, exec, s[48:49]
                                        ; implicit-def: $vgpr8
.LBB6_10029:                            ;   in Loop: Header=BB6_9582 Depth=4
	s_andn2_saveexec_b64 s[40:41], s[38:39]
; %bb.10030:                            ;   in Loop: Header=BB6_9582 Depth=4
	v_or_b32_e32 v31, 0x7b, v8
; %bb.10031:                            ;   in Loop: Header=BB6_9582 Depth=4
	s_or_b64 exec, exec, s[40:41]
                                        ; implicit-def: $vgpr0
.LBB6_10032:                            ;   in Loop: Header=BB6_9582 Depth=4
	s_andn2_saveexec_b64 s[40:41], s[42:43]
	s_cbranch_execz .LBB6_10038
; %bb.10033:                            ;   in Loop: Header=BB6_9582 Depth=4
	v_cmp_ne_u64_e32 vcc, 0, v[32:33]
                                        ; implicit-def: $vgpr31
	s_and_saveexec_b64 s[42:43], vcc
	s_xor_b64 s[42:43], exec, s[42:43]
; %bb.10034:                            ;   in Loop: Header=BB6_9582 Depth=4
	v_or_b32_sdwa v31, v0, s44 dst_sel:DWORD dst_unused:UNUSED_PAD src0_sel:BYTE_3 src1_sel:DWORD
                                        ; implicit-def: $vgpr0
; %bb.10035:                            ;   in Loop: Header=BB6_9582 Depth=4
	s_andn2_saveexec_b64 s[42:43], s[42:43]
; %bb.10036:                            ;   in Loop: Header=BB6_9582 Depth=4
	v_cmp_lt_i32_e32 vcc, -1, v0
	v_bfrev_b32_e32 v0, 0.5
	v_mov_b32_e32 v1, 0x7c
	v_cndmask_b32_e32 v31, v0, v1, vcc
; %bb.10037:                            ;   in Loop: Header=BB6_9582 Depth=4
	s_or_b64 exec, exec, s[42:43]
.LBB6_10038:                            ;   in Loop: Header=BB6_9582 Depth=4
	s_or_b64 exec, exec, s[40:41]
	global_load_dwordx4 v[8:11], v[4:5], off glc slc
	v_lshl_or_b32 v25, v25, 8, v15
	v_lshlrev_b32_e32 v0, 16, v28
	v_lshlrev_b32_e32 v1, 24, v34
	v_or3_b32 v32, v0, v1, v25
	v_cmp_ne_u32_e32 vcc, 0, v15
	v_mov_b32_e32 v0, 0
	s_and_saveexec_b64 s[42:43], vcc
	s_cbranch_execz .LBB6_10046
; %bb.10039:                            ;   in Loop: Header=BB6_9582 Depth=4
	v_cmp_ne_u32_e32 vcc, s97, v15
	v_bfrev_b32_e32 v0, 1
	s_and_saveexec_b64 s[38:39], vcc
	s_cbranch_execz .LBB6_10045
; %bb.10040:                            ;   in Loop: Header=BB6_9582 Depth=4
	v_and_b32_e32 v0, 0x7c, v15
	v_and_b32_e32 v1, 3, v15
	v_cmp_ne_u32_e32 vcc, s86, v0
                                        ; implicit-def: $vgpr0
	s_and_saveexec_b64 s[40:41], vcc
	s_xor_b64 s[40:41], exec, s[40:41]
	s_cbranch_execz .LBB6_10042
; %bb.10041:                            ;   in Loop: Header=BB6_9582 Depth=4
	v_ffbh_u32_e32 v6, v1
	v_min_u32_e32 v23, 32, v6
	v_subrev_u32_e32 v6, 29, v23
	v_lshlrev_b64 v[6:7], v6, v[32:33]
	v_bfe_u32 v0, v15, 2, 5
	v_and_b32_e32 v6, 3, v6
	v_cmp_eq_u32_e32 vcc, 0, v0
	v_sub_u32_e32 v7, 30, v23
	v_cndmask_b32_e32 v1, v1, v6, vcc
	v_lshlrev_b32_e32 v6, 24, v15
	v_cndmask_b32_e32 v0, v0, v7, vcc
	v_and_b32_e32 v6, 0x80000000, v6
	v_lshl_add_u32 v0, v0, 23, v6
	v_lshl_or_b32 v0, v1, 21, v0
	v_add_u32_e32 v0, 0x38000000, v0
                                        ; implicit-def: $vgpr1
                                        ; implicit-def: $vgpr15
.LBB6_10042:                            ;   in Loop: Header=BB6_9582 Depth=4
	s_andn2_saveexec_b64 s[48:49], s[40:41]
; %bb.10043:                            ;   in Loop: Header=BB6_9582 Depth=4
	v_and_b32_e32 v0, 0x80, v15
	v_cmp_eq_u32_e32 vcc, 0, v1
	v_cmp_eq_u32_e64 s[40:41], 0, v0
	v_mov_b32_e32 v0, 0xff800000
	v_mov_b32_e32 v1, 0x7f800000
	v_cndmask_b32_e64 v0, v0, v1, s[40:41]
	v_mov_b32_e32 v1, 0x7f800001
	v_cndmask_b32_e32 v0, v1, v0, vcc
; %bb.10044:                            ;   in Loop: Header=BB6_9582 Depth=4
	s_or_b64 exec, exec, s[48:49]
.LBB6_10045:                            ;   in Loop: Header=BB6_9582 Depth=4
	s_or_b64 exec, exec, s[38:39]
.LBB6_10046:                            ;   in Loop: Header=BB6_9582 Depth=4
	s_or_b64 exec, exec, s[42:43]
	s_waitcnt vmcnt(0)
	v_cmp_gt_i16_sdwa s[42:43], v8, s44 src0_sel:BYTE_0 src1_sel:DWORD
	s_mov_b64 s[40:41], 0
	s_and_saveexec_b64 s[62:63], s[42:43]
	s_xor_b64 s[42:43], exec, s[62:63]
	s_cbranch_execz .LBB6_10561
; %bb.10047:                            ;   in Loop: Header=BB6_9582 Depth=4
	v_cmp_eq_u16_sdwa s[62:63], v8, s97 src0_sel:BYTE_0 src1_sel:DWORD
	s_mov_b64 s[40:41], -1
	s_and_saveexec_b64 vcc, s[62:63]
; %bb.10048:                            ;   in Loop: Header=BB6_9582 Depth=4
	s_xor_b64 s[40:41], exec, -1
; %bb.10049:                            ;   in Loop: Header=BB6_9582 Depth=4
	s_or_b64 exec, exec, vcc
	s_and_b64 s[40:41], s[40:41], exec
	s_or_saveexec_b64 s[42:43], s[42:43]
	v_bfrev_b32_e32 v1, 1
	s_xor_b64 exec, exec, s[42:43]
	s_cbranch_execnz .LBB6_10562
.LBB6_10050:                            ;   in Loop: Header=BB6_9582 Depth=4
	s_or_b64 exec, exec, s[42:43]
	s_and_saveexec_b64 s[38:39], s[40:41]
	s_cbranch_execz .LBB6_10052
.LBB6_10051:                            ;   in Loop: Header=BB6_9582 Depth=4
	v_and_b32_e32 v1, 3, v8
	v_and_b32_e32 v6, 0x7c, v8
	v_cmp_eq_u32_e32 vcc, s86, v6
	v_ffbh_u32_e32 v6, v1
	v_min_u32_e32 v23, 32, v6
	v_subrev_u32_e32 v6, 29, v23
	v_bfe_u32 v15, v8, 2, 5
	v_lshlrev_b64 v[6:7], v6, v[8:9]
	v_cmp_eq_u32_e64 s[40:41], 0, v15
	v_sub_u32_e32 v7, 30, v23
	v_cndmask_b32_e64 v7, v15, v7, s[40:41]
	v_lshlrev_b32_e32 v15, 24, v8
	v_and_b32_e32 v6, 3, v6
	v_and_b32_e32 v15, 0x80000000, v15
	v_cndmask_b32_e64 v6, v1, v6, s[40:41]
	v_lshl_add_u32 v7, v7, 23, v15
	v_cmp_eq_u32_e64 s[40:41], 0, v1
	v_mov_b32_e32 v1, -1
	v_lshl_or_b32 v6, v6, 21, v7
	v_cmp_gt_i16_sdwa s[42:43], sext(v8), v1 src0_sel:BYTE_0 src1_sel:DWORD
	v_mov_b32_e32 v1, 0xff800000
	v_mov_b32_e32 v7, 0x7f800000
	v_cndmask_b32_e64 v1, v1, v7, s[42:43]
	v_mov_b32_e32 v7, 0x7f800001
	v_add_u32_e32 v6, 0x38000000, v6
	v_cndmask_b32_e64 v1, v7, v1, s[40:41]
	v_cndmask_b32_e32 v1, v6, v1, vcc
.LBB6_10052:                            ;   in Loop: Header=BB6_9582 Depth=4
	s_or_b64 exec, exec, s[38:39]
	v_add_f32_e32 v6, v0, v1
	v_and_b32_e32 v48, 0x7f800000, v6
	v_mov_b32_e32 v49, v33
	v_cmp_ne_u64_e32 vcc, s[76:77], v[48:49]
	v_and_b32_e32 v0, 0x7fffff, v6
	v_mov_b32_e32 v1, v33
                                        ; implicit-def: $vgpr23
	s_and_saveexec_b64 s[40:41], vcc
	s_xor_b64 s[42:43], exec, s[40:41]
	s_cbranch_execz .LBB6_10066
; %bb.10053:                            ;   in Loop: Header=BB6_9582 Depth=4
	v_and_b32_e32 v48, 0x7fffffff, v6
	v_mov_b32_e32 v49, v33
	v_cmp_gt_u64_e32 vcc, s[78:79], v[48:49]
	v_and_b32_sdwa v15, v6, s97 dst_sel:DWORD dst_unused:UNUSED_PAD src0_sel:BYTE_3 src1_sel:DWORD
                                        ; implicit-def: $vgpr23
	s_and_saveexec_b64 s[40:41], vcc
	s_xor_b64 s[38:39], exec, s[40:41]
	s_cbranch_execz .LBB6_10063
; %bb.10054:                            ;   in Loop: Header=BB6_9582 Depth=4
	v_mov_b32_e32 v23, 0
	v_cmp_ne_u32_e32 vcc, 0, v6
	s_and_saveexec_b64 s[48:49], vcc
	s_cbranch_execz .LBB6_10062
; %bb.10055:                            ;   in Loop: Header=BB6_9582 Depth=4
	v_bfe_u32 v23, v6, 23, 8
	v_cmp_gt_u32_e64 s[40:41], s47, v23
	v_sub_u32_e32 v6, 0x71, v23
	v_cmp_eq_u32_e32 vcc, 0, v23
	v_cndmask_b32_e64 v6, 0, v6, s[40:41]
	v_mov_b32_e32 v28, 0x70
	v_cndmask_b32_e32 v28, v6, v28, vcc
	v_or_b32_e32 v7, 0x800000, v0
	v_add_u32_e32 v6, 21, v28
	v_cndmask_b32_e32 v0, v7, v0, vcc
	v_lshlrev_b64 v[6:7], v6, -1
	v_add_u32_e32 v34, 20, v28
	v_bfi_b32 v6, v6, 0, v0
	v_lshlrev_b64 v[48:49], v34, 1
	v_lshrrev_b64 v[0:1], v28, v[0:1]
	v_bfi_b32 v7, v7, 0, 0
	v_cmp_eq_u64_e64 s[40:41], v[6:7], v[48:49]
	v_mov_b32_e32 v7, v1
	v_mov_b32_e32 v6, v0
	s_and_saveexec_b64 s[50:51], s[40:41]
; %bb.10056:                            ;   in Loop: Header=BB6_9582 Depth=4
	v_bfe_u32 v1, v0, 21, 1
	v_add_co_u32_e64 v1, s[40:41], v0, v1
	v_add_co_u32_e64 v6, s[40:41], -1, v1
; %bb.10057:                            ;   in Loop: Header=BB6_9582 Depth=4
	s_or_b64 exec, exec, s[50:51]
	v_add_u32_e32 v1, 0xffffff81, v23
	v_mov_b32_e32 v7, 0xffffff82
	v_cndmask_b32_e32 v1, v1, v7, vcc
	v_lshrrev_b32_e32 v7, 23, v0
	v_add3_u32 v23, v28, v1, v7
	v_add_u32_e32 v7, 14, v23
	v_and_b32_e32 v1, 0x1fffff, v6
	v_add_u32_e32 v0, v1, v0
	v_mov_b32_e32 v1, v33
	v_cmp_ne_u32_e32 vcc, 0, v7
                                        ; implicit-def: $vgpr6
	s_and_saveexec_b64 s[40:41], vcc
	s_xor_b64 s[40:41], exec, s[40:41]
; %bb.10058:                            ;   in Loop: Header=BB6_9582 Depth=4
	v_cmp_lt_u64_e32 vcc, s[88:89], v[0:1]
	v_add_u32_e32 v6, 15, v23
	v_cndmask_b32_e32 v6, v7, v6, vcc
	v_cndmask_b32_e64 v7, 0, 1, vcc
	v_lshrrev_b64 v[0:1], v7, v[0:1]
; %bb.10059:                            ;   in Loop: Header=BB6_9582 Depth=4
	s_andn2_saveexec_b64 s[40:41], s[40:41]
; %bb.10060:                            ;   in Loop: Header=BB6_9582 Depth=4
	v_bfe_u32 v6, v0, 23, 1
; %bb.10061:                            ;   in Loop: Header=BB6_9582 Depth=4
	s_or_b64 exec, exec, s[40:41]
	v_lshrrev_b64 v[0:1], 21, v[0:1]
	v_cmp_gt_i32_e32 vcc, 32, v6
	v_cndmask_b32_e32 v1, 0, v1, vcc
	v_cndmask_b32_e32 v0, 3, v0, vcc
	v_cmp_eq_u64_e64 s[40:41], 0, v[0:1]
	v_min_i32_e32 v1, 31, v6
	v_lshlrev_b32_e32 v1, 2, v1
	v_cmp_eq_u32_e32 vcc, 0, v6
	v_and_b32_e32 v1, 0xfc, v1
	v_and_or_b32 v0, v0, 3, v1
	s_and_b64 s[40:41], vcc, s[40:41]
	v_cndmask_b32_e64 v0, v0, 0, s[40:41]
	v_or_b32_e32 v23, v0, v15
.LBB6_10062:                            ;   in Loop: Header=BB6_9582 Depth=4
	s_or_b64 exec, exec, s[48:49]
                                        ; implicit-def: $vgpr15
.LBB6_10063:                            ;   in Loop: Header=BB6_9582 Depth=4
	s_andn2_saveexec_b64 s[40:41], s[38:39]
; %bb.10064:                            ;   in Loop: Header=BB6_9582 Depth=4
	v_or_b32_e32 v23, 0x7b, v15
; %bb.10065:                            ;   in Loop: Header=BB6_9582 Depth=4
	s_or_b64 exec, exec, s[40:41]
                                        ; implicit-def: $vgpr6
                                        ; implicit-def: $vgpr0_vgpr1
.LBB6_10066:                            ;   in Loop: Header=BB6_9582 Depth=4
	s_andn2_saveexec_b64 s[40:41], s[42:43]
	s_cbranch_execz .LBB6_10072
; %bb.10067:                            ;   in Loop: Header=BB6_9582 Depth=4
	v_cmp_ne_u64_e32 vcc, 0, v[0:1]
                                        ; implicit-def: $vgpr23
	s_and_saveexec_b64 s[42:43], vcc
	s_xor_b64 s[42:43], exec, s[42:43]
; %bb.10068:                            ;   in Loop: Header=BB6_9582 Depth=4
	v_or_b32_sdwa v23, v6, s44 dst_sel:DWORD dst_unused:UNUSED_PAD src0_sel:BYTE_3 src1_sel:DWORD
                                        ; implicit-def: $vgpr6
; %bb.10069:                            ;   in Loop: Header=BB6_9582 Depth=4
	s_andn2_saveexec_b64 s[42:43], s[42:43]
; %bb.10070:                            ;   in Loop: Header=BB6_9582 Depth=4
	v_cmp_lt_i32_e32 vcc, -1, v6
	v_bfrev_b32_e32 v0, 0.5
	v_mov_b32_e32 v1, 0x7c
	v_cndmask_b32_e32 v23, v0, v1, vcc
; %bb.10071:                            ;   in Loop: Header=BB6_9582 Depth=4
	s_or_b64 exec, exec, s[42:43]
.LBB6_10072:                            ;   in Loop: Header=BB6_9582 Depth=4
	s_or_b64 exec, exec, s[40:41]
	v_lshrrev_b16_e32 v0, 8, v25
	v_cmp_ne_u16_e32 vcc, 0, v0
	v_mov_b32_e32 v6, 0
	s_and_saveexec_b64 s[40:41], vcc
	s_cbranch_execz .LBB6_10080
; %bb.10073:                            ;   in Loop: Header=BB6_9582 Depth=4
	v_cmp_ne_u16_e32 vcc, s97, v0
	v_bfrev_b32_e32 v6, 1
	s_and_saveexec_b64 s[42:43], vcc
	s_cbranch_execz .LBB6_10079
; %bb.10074:                            ;   in Loop: Header=BB6_9582 Depth=4
	v_and_b32_e32 v1, 0x7c, v0
	v_and_b32_e32 v7, 3, v0
	v_cmp_ne_u32_e32 vcc, s86, v1
                                        ; implicit-def: $vgpr6
	s_and_saveexec_b64 s[62:63], vcc
	s_xor_b64 s[38:39], exec, s[62:63]
	s_cbranch_execz .LBB6_10076
; %bb.10075:                            ;   in Loop: Header=BB6_9582 Depth=4
	v_ffbh_u32_e32 v15, v7
	v_min_u32_e32 v15, 32, v15
	v_mov_b32_e32 v1, v33
	v_subrev_u32_e32 v28, 29, v15
	v_bfe_u32 v6, v0, 2, 5
	v_lshlrev_b64 v[0:1], v28, v[0:1]
	v_sub_u32_e32 v1, 30, v15
	v_cmp_eq_u32_e32 vcc, 0, v6
	v_cndmask_b32_e32 v1, v6, v1, vcc
	v_lshlrev_b32_e32 v6, 16, v25
	v_and_b32_e32 v0, 3, v0
	v_and_b32_e32 v6, 0x80000000, v6
	v_cndmask_b32_e32 v0, v7, v0, vcc
	v_lshl_add_u32 v1, v1, 23, v6
	v_lshl_or_b32 v0, v0, 21, v1
	v_add_u32_e32 v6, 0x38000000, v0
                                        ; implicit-def: $vgpr7
                                        ; implicit-def: $vgpr25
.LBB6_10076:                            ;   in Loop: Header=BB6_9582 Depth=4
	s_andn2_saveexec_b64 s[38:39], s[38:39]
; %bb.10077:                            ;   in Loop: Header=BB6_9582 Depth=4
	v_cmp_lt_i16_e32 vcc, -1, v25
	v_mov_b32_e32 v0, 0xff800000
	v_mov_b32_e32 v1, 0x7f800000
	v_cndmask_b32_e32 v0, v0, v1, vcc
	v_cmp_eq_u32_e32 vcc, 0, v7
	v_mov_b32_e32 v1, 0x7f800001
	v_cndmask_b32_e32 v6, v1, v0, vcc
; %bb.10078:                            ;   in Loop: Header=BB6_9582 Depth=4
	s_or_b64 exec, exec, s[38:39]
.LBB6_10079:                            ;   in Loop: Header=BB6_9582 Depth=4
	s_or_b64 exec, exec, s[42:43]
.LBB6_10080:                            ;   in Loop: Header=BB6_9582 Depth=4
	s_or_b64 exec, exec, s[40:41]
	v_lshrrev_b16_e32 v0, 8, v8
	v_cmp_lt_i16_e32 vcc, s44, v0
	s_mov_b64 s[40:41], 0
	s_and_saveexec_b64 s[42:43], vcc
	s_xor_b64 s[42:43], exec, s[42:43]
	s_cbranch_execz .LBB6_10563
; %bb.10081:                            ;   in Loop: Header=BB6_9582 Depth=4
	v_cmp_eq_u16_e32 vcc, s97, v0
	s_mov_b64 s[40:41], -1
	s_and_saveexec_b64 s[38:39], vcc
; %bb.10082:                            ;   in Loop: Header=BB6_9582 Depth=4
	s_xor_b64 s[40:41], exec, -1
; %bb.10083:                            ;   in Loop: Header=BB6_9582 Depth=4
	s_or_b64 exec, exec, s[38:39]
	s_and_b64 s[40:41], s[40:41], exec
	s_or_saveexec_b64 s[42:43], s[42:43]
	v_bfrev_b32_e32 v1, 1
	s_xor_b64 exec, exec, s[42:43]
	s_cbranch_execnz .LBB6_10564
.LBB6_10084:                            ;   in Loop: Header=BB6_9582 Depth=4
	s_or_b64 exec, exec, s[42:43]
	s_and_saveexec_b64 s[38:39], s[40:41]
	s_cbranch_execz .LBB6_10086
.LBB6_10085:                            ;   in Loop: Header=BB6_9582 Depth=4
	v_and_b32_e32 v7, 3, v0
	v_and_b32_e32 v25, 0x7c, v0
	v_cmp_eq_u32_e32 vcc, s86, v25
	v_ffbh_u32_e32 v25, v7
	v_min_u32_e32 v25, 32, v25
	v_mov_b32_e32 v1, v33
	v_subrev_u32_e32 v28, 29, v25
	v_bfe_u32 v15, v0, 2, 5
	v_lshlrev_b64 v[48:49], v28, v[0:1]
	v_cmp_eq_u32_e64 s[40:41], 0, v15
	v_sub_u32_e32 v1, 30, v25
	v_lshlrev_b32_e32 v0, 24, v0
	v_and_b32_e32 v25, 3, v48
	v_cndmask_b32_e64 v1, v15, v1, s[40:41]
	v_and_b32_e32 v0, 0x80000000, v0
	v_cndmask_b32_e64 v15, v7, v25, s[40:41]
	v_lshl_add_u32 v0, v1, 23, v0
	v_cmp_eq_u32_e64 s[40:41], 0, v7
	v_cmp_lt_i16_e64 s[42:43], -1, v8
	v_mov_b32_e32 v1, 0xff800000
	v_mov_b32_e32 v7, 0x7f800000
	v_lshl_or_b32 v0, v15, 21, v0
	v_cndmask_b32_e64 v1, v1, v7, s[42:43]
	v_mov_b32_e32 v7, 0x7f800001
	v_add_u32_e32 v0, 0x38000000, v0
	v_cndmask_b32_e64 v1, v7, v1, s[40:41]
	v_cndmask_b32_e32 v1, v0, v1, vcc
.LBB6_10086:                            ;   in Loop: Header=BB6_9582 Depth=4
	s_or_b64 exec, exec, s[38:39]
	v_add_f32_e32 v6, v6, v1
	v_and_b32_e32 v48, 0x7f800000, v6
	v_mov_b32_e32 v49, v33
	v_cmp_ne_u64_e32 vcc, s[76:77], v[48:49]
	v_and_b32_e32 v0, 0x7fffff, v6
	v_mov_b32_e32 v1, v33
                                        ; implicit-def: $vgpr25
	s_and_saveexec_b64 s[40:41], vcc
	s_xor_b64 s[42:43], exec, s[40:41]
	s_cbranch_execz .LBB6_10100
; %bb.10087:                            ;   in Loop: Header=BB6_9582 Depth=4
	v_and_b32_e32 v48, 0x7fffffff, v6
	v_mov_b32_e32 v49, v33
	v_cmp_gt_u64_e32 vcc, s[78:79], v[48:49]
	v_and_b32_sdwa v15, v6, s97 dst_sel:DWORD dst_unused:UNUSED_PAD src0_sel:BYTE_3 src1_sel:DWORD
                                        ; implicit-def: $vgpr25
	s_and_saveexec_b64 s[40:41], vcc
	s_xor_b64 s[38:39], exec, s[40:41]
	s_cbranch_execz .LBB6_10097
; %bb.10088:                            ;   in Loop: Header=BB6_9582 Depth=4
	v_mov_b32_e32 v25, 0
	v_cmp_ne_u32_e32 vcc, 0, v6
	s_and_saveexec_b64 s[48:49], vcc
	s_cbranch_execz .LBB6_10096
; %bb.10089:                            ;   in Loop: Header=BB6_9582 Depth=4
	v_bfe_u32 v25, v6, 23, 8
	v_cmp_gt_u32_e64 s[40:41], s47, v25
	v_sub_u32_e32 v6, 0x71, v25
	v_cmp_eq_u32_e32 vcc, 0, v25
	v_cndmask_b32_e64 v6, 0, v6, s[40:41]
	v_mov_b32_e32 v28, 0x70
	v_cndmask_b32_e32 v28, v6, v28, vcc
	v_or_b32_e32 v7, 0x800000, v0
	v_add_u32_e32 v6, 21, v28
	v_cndmask_b32_e32 v0, v7, v0, vcc
	v_lshlrev_b64 v[6:7], v6, -1
	v_add_u32_e32 v34, 20, v28
	v_bfi_b32 v6, v6, 0, v0
	v_lshlrev_b64 v[48:49], v34, 1
	v_lshrrev_b64 v[0:1], v28, v[0:1]
	v_bfi_b32 v7, v7, 0, 0
	v_cmp_eq_u64_e64 s[40:41], v[6:7], v[48:49]
	v_mov_b32_e32 v7, v1
	v_mov_b32_e32 v6, v0
	s_and_saveexec_b64 s[50:51], s[40:41]
; %bb.10090:                            ;   in Loop: Header=BB6_9582 Depth=4
	v_bfe_u32 v1, v0, 21, 1
	v_add_co_u32_e64 v1, s[40:41], v0, v1
	v_add_co_u32_e64 v6, s[40:41], -1, v1
; %bb.10091:                            ;   in Loop: Header=BB6_9582 Depth=4
	s_or_b64 exec, exec, s[50:51]
	v_add_u32_e32 v1, 0xffffff81, v25
	v_mov_b32_e32 v7, 0xffffff82
	v_cndmask_b32_e32 v1, v1, v7, vcc
	v_lshrrev_b32_e32 v7, 23, v0
	v_add3_u32 v25, v28, v1, v7
	v_add_u32_e32 v7, 14, v25
	v_and_b32_e32 v1, 0x1fffff, v6
	v_add_u32_e32 v0, v1, v0
	v_mov_b32_e32 v1, v33
	v_cmp_ne_u32_e32 vcc, 0, v7
                                        ; implicit-def: $vgpr6
	s_and_saveexec_b64 s[40:41], vcc
	s_xor_b64 s[40:41], exec, s[40:41]
; %bb.10092:                            ;   in Loop: Header=BB6_9582 Depth=4
	v_cmp_lt_u64_e32 vcc, s[88:89], v[0:1]
	v_add_u32_e32 v6, 15, v25
	v_cndmask_b32_e32 v6, v7, v6, vcc
	v_cndmask_b32_e64 v7, 0, 1, vcc
	v_lshrrev_b64 v[0:1], v7, v[0:1]
; %bb.10093:                            ;   in Loop: Header=BB6_9582 Depth=4
	s_andn2_saveexec_b64 s[40:41], s[40:41]
; %bb.10094:                            ;   in Loop: Header=BB6_9582 Depth=4
	v_bfe_u32 v6, v0, 23, 1
; %bb.10095:                            ;   in Loop: Header=BB6_9582 Depth=4
	s_or_b64 exec, exec, s[40:41]
	v_lshrrev_b64 v[0:1], 21, v[0:1]
	v_cmp_gt_i32_e32 vcc, 32, v6
	v_cndmask_b32_e32 v1, 0, v1, vcc
	v_cndmask_b32_e32 v0, 3, v0, vcc
	v_cmp_eq_u64_e64 s[40:41], 0, v[0:1]
	v_min_i32_e32 v1, 31, v6
	v_lshlrev_b32_e32 v1, 2, v1
	v_cmp_eq_u32_e32 vcc, 0, v6
	v_and_b32_e32 v1, 0xfc, v1
	v_and_or_b32 v0, v0, 3, v1
	s_and_b64 s[40:41], vcc, s[40:41]
	v_cndmask_b32_e64 v0, v0, 0, s[40:41]
	v_or_b32_e32 v25, v0, v15
.LBB6_10096:                            ;   in Loop: Header=BB6_9582 Depth=4
	s_or_b64 exec, exec, s[48:49]
                                        ; implicit-def: $vgpr15
.LBB6_10097:                            ;   in Loop: Header=BB6_9582 Depth=4
	s_andn2_saveexec_b64 s[40:41], s[38:39]
; %bb.10098:                            ;   in Loop: Header=BB6_9582 Depth=4
	v_or_b32_e32 v25, 0x7b, v15
; %bb.10099:                            ;   in Loop: Header=BB6_9582 Depth=4
	s_or_b64 exec, exec, s[40:41]
                                        ; implicit-def: $vgpr6
                                        ; implicit-def: $vgpr0_vgpr1
.LBB6_10100:                            ;   in Loop: Header=BB6_9582 Depth=4
	s_andn2_saveexec_b64 s[40:41], s[42:43]
	s_cbranch_execz .LBB6_10106
; %bb.10101:                            ;   in Loop: Header=BB6_9582 Depth=4
	v_cmp_ne_u64_e32 vcc, 0, v[0:1]
                                        ; implicit-def: $vgpr25
	s_and_saveexec_b64 s[42:43], vcc
	s_xor_b64 s[42:43], exec, s[42:43]
; %bb.10102:                            ;   in Loop: Header=BB6_9582 Depth=4
	v_or_b32_sdwa v25, v6, s44 dst_sel:DWORD dst_unused:UNUSED_PAD src0_sel:BYTE_3 src1_sel:DWORD
                                        ; implicit-def: $vgpr6
; %bb.10103:                            ;   in Loop: Header=BB6_9582 Depth=4
	s_andn2_saveexec_b64 s[42:43], s[42:43]
; %bb.10104:                            ;   in Loop: Header=BB6_9582 Depth=4
	v_cmp_lt_i32_e32 vcc, -1, v6
	v_bfrev_b32_e32 v0, 0.5
	v_mov_b32_e32 v1, 0x7c
	v_cndmask_b32_e32 v25, v0, v1, vcc
; %bb.10105:                            ;   in Loop: Header=BB6_9582 Depth=4
	s_or_b64 exec, exec, s[42:43]
.LBB6_10106:                            ;   in Loop: Header=BB6_9582 Depth=4
	s_or_b64 exec, exec, s[40:41]
	v_and_b32_sdwa v6, v32, s96 dst_sel:DWORD dst_unused:UNUSED_PAD src0_sel:WORD_1 src1_sel:DWORD
	v_lshrrev_b32_e32 v0, 16, v32
	v_cmp_ne_u16_e32 vcc, 0, v6
	v_mov_b32_e32 v1, 0
	s_and_saveexec_b64 s[40:41], vcc
	s_cbranch_execz .LBB6_10114
; %bb.10107:                            ;   in Loop: Header=BB6_9582 Depth=4
	v_cmp_ne_u16_e32 vcc, s97, v6
	v_bfrev_b32_e32 v1, 1
	s_and_saveexec_b64 s[42:43], vcc
	s_cbranch_execz .LBB6_10113
; %bb.10108:                            ;   in Loop: Header=BB6_9582 Depth=4
	v_and_b32_e32 v1, 0x7c0000, v32
	v_bfe_u32 v6, v32, 16, 2
	v_cmp_ne_u32_e32 vcc, s45, v1
                                        ; implicit-def: $vgpr1
	s_and_saveexec_b64 s[62:63], vcc
	s_xor_b64 s[38:39], exec, s[62:63]
	s_cbranch_execz .LBB6_10110
; %bb.10109:                            ;   in Loop: Header=BB6_9582 Depth=4
	v_ffbh_u32_e32 v1, v6
	v_min_u32_e32 v15, 32, v1
	v_lshrrev_b32_e32 v0, 16, v32
	v_subrev_u32_e32 v1, 29, v15
	v_lshlrev_b64 v[0:1], v1, v[0:1]
	v_bfe_u32 v7, v32, 18, 5
	v_and_b32_e32 v0, 3, v0
	v_cmp_eq_u32_e32 vcc, 0, v7
	v_sub_u32_e32 v1, 30, v15
	v_cndmask_b32_e32 v0, v6, v0, vcc
	v_lshlrev_b32_e32 v6, 8, v32
	v_cndmask_b32_e32 v1, v7, v1, vcc
	v_and_b32_e32 v6, 0x80000000, v6
	v_lshl_add_u32 v1, v1, 23, v6
	v_lshl_or_b32 v0, v0, 21, v1
	v_add_u32_e32 v1, 0x38000000, v0
                                        ; implicit-def: $vgpr6
                                        ; implicit-def: $vgpr0
.LBB6_10110:                            ;   in Loop: Header=BB6_9582 Depth=4
	s_andn2_saveexec_b64 s[38:39], s[38:39]
; %bb.10111:                            ;   in Loop: Header=BB6_9582 Depth=4
	v_mov_b32_e32 v1, -1
	v_cmp_gt_i16_sdwa vcc, sext(v0), v1 src0_sel:BYTE_0 src1_sel:DWORD
	v_mov_b32_e32 v0, 0xff800000
	v_mov_b32_e32 v1, 0x7f800000
	v_cndmask_b32_e32 v0, v0, v1, vcc
	v_cmp_eq_u32_e32 vcc, 0, v6
	v_mov_b32_e32 v1, 0x7f800001
	v_cndmask_b32_e32 v1, v1, v0, vcc
; %bb.10112:                            ;   in Loop: Header=BB6_9582 Depth=4
	s_or_b64 exec, exec, s[38:39]
.LBB6_10113:                            ;   in Loop: Header=BB6_9582 Depth=4
	s_or_b64 exec, exec, s[42:43]
.LBB6_10114:                            ;   in Loop: Header=BB6_9582 Depth=4
	s_or_b64 exec, exec, s[40:41]
	v_lshrrev_b32_e32 v0, 16, v8
	v_cmp_gt_i16_sdwa s[42:43], v0, s44 src0_sel:BYTE_0 src1_sel:DWORD
	s_mov_b64 s[40:41], 0
	s_and_saveexec_b64 s[62:63], s[42:43]
	s_xor_b64 s[42:43], exec, s[62:63]
	s_cbranch_execz .LBB6_10565
; %bb.10115:                            ;   in Loop: Header=BB6_9582 Depth=4
	v_cmp_eq_u16_sdwa s[62:63], v0, s97 src0_sel:BYTE_0 src1_sel:DWORD
	s_mov_b64 s[40:41], -1
	s_and_saveexec_b64 vcc, s[62:63]
; %bb.10116:                            ;   in Loop: Header=BB6_9582 Depth=4
	s_xor_b64 s[40:41], exec, -1
; %bb.10117:                            ;   in Loop: Header=BB6_9582 Depth=4
	s_or_b64 exec, exec, vcc
	s_and_b64 s[40:41], s[40:41], exec
	s_or_saveexec_b64 s[42:43], s[42:43]
	v_bfrev_b32_e32 v6, 1
	s_xor_b64 exec, exec, s[42:43]
	s_cbranch_execnz .LBB6_10566
.LBB6_10118:                            ;   in Loop: Header=BB6_9582 Depth=4
	s_or_b64 exec, exec, s[42:43]
	s_and_saveexec_b64 s[38:39], s[40:41]
	s_cbranch_execz .LBB6_10120
.LBB6_10119:                            ;   in Loop: Header=BB6_9582 Depth=4
	v_and_b32_e32 v15, 3, v0
	v_and_b32_e32 v6, 0x7c0000, v8
	v_cmp_eq_u32_e32 vcc, s45, v6
	v_ffbh_u32_e32 v6, v15
	v_min_u32_e32 v34, 32, v6
	v_subrev_u32_e32 v6, 29, v34
	v_bfe_u32 v28, v8, 18, 5
	v_lshlrev_b64 v[6:7], v6, v[0:1]
	v_cmp_eq_u32_e64 s[40:41], 0, v28
	v_sub_u32_e32 v7, 30, v34
	v_cndmask_b32_e64 v7, v28, v7, s[40:41]
	v_lshlrev_b32_e32 v28, 24, v0
	v_and_b32_e32 v6, 3, v6
	v_and_b32_e32 v28, 0x80000000, v28
	v_cndmask_b32_e64 v6, v15, v6, s[40:41]
	v_lshl_add_u32 v7, v7, 23, v28
	v_lshl_or_b32 v6, v6, 21, v7
	v_mov_b32_e32 v7, -1
	v_cmp_gt_i16_sdwa s[42:43], sext(v0), v7 src0_sel:BYTE_0 src1_sel:DWORD
	v_mov_b32_e32 v0, 0xff800000
	v_mov_b32_e32 v7, 0x7f800000
	v_cmp_eq_u32_e64 s[40:41], 0, v15
	v_cndmask_b32_e64 v0, v0, v7, s[42:43]
	v_mov_b32_e32 v7, 0x7f800001
	v_add_u32_e32 v6, 0x38000000, v6
	v_cndmask_b32_e64 v0, v7, v0, s[40:41]
	v_cndmask_b32_e32 v6, v6, v0, vcc
.LBB6_10120:                            ;   in Loop: Header=BB6_9582 Depth=4
	s_or_b64 exec, exec, s[38:39]
	v_add_f32_e32 v6, v1, v6
	v_and_b32_e32 v48, 0x7f800000, v6
	v_mov_b32_e32 v49, v33
	v_cmp_ne_u64_e32 vcc, s[76:77], v[48:49]
	v_and_b32_e32 v0, 0x7fffff, v6
	v_mov_b32_e32 v1, v33
                                        ; implicit-def: $vgpr28
	s_and_saveexec_b64 s[40:41], vcc
	s_xor_b64 s[42:43], exec, s[40:41]
	s_cbranch_execz .LBB6_10134
; %bb.10121:                            ;   in Loop: Header=BB6_9582 Depth=4
	v_and_b32_e32 v48, 0x7fffffff, v6
	v_mov_b32_e32 v49, v33
	v_cmp_gt_u64_e32 vcc, s[78:79], v[48:49]
	v_and_b32_sdwa v15, v6, s97 dst_sel:DWORD dst_unused:UNUSED_PAD src0_sel:BYTE_3 src1_sel:DWORD
                                        ; implicit-def: $vgpr28
	s_and_saveexec_b64 s[40:41], vcc
	s_xor_b64 s[38:39], exec, s[40:41]
	s_cbranch_execz .LBB6_10131
; %bb.10122:                            ;   in Loop: Header=BB6_9582 Depth=4
	v_mov_b32_e32 v28, 0
	v_cmp_ne_u32_e32 vcc, 0, v6
	s_and_saveexec_b64 s[48:49], vcc
	s_cbranch_execz .LBB6_10130
; %bb.10123:                            ;   in Loop: Header=BB6_9582 Depth=4
	v_bfe_u32 v28, v6, 23, 8
	v_cmp_gt_u32_e64 s[40:41], s47, v28
	v_sub_u32_e32 v6, 0x71, v28
	v_cmp_eq_u32_e32 vcc, 0, v28
	v_cndmask_b32_e64 v6, 0, v6, s[40:41]
	v_mov_b32_e32 v34, 0x70
	v_cndmask_b32_e32 v34, v6, v34, vcc
	v_or_b32_e32 v7, 0x800000, v0
	v_add_u32_e32 v6, 21, v34
	v_cndmask_b32_e32 v0, v7, v0, vcc
	v_lshlrev_b64 v[6:7], v6, -1
	v_add_u32_e32 v48, 20, v34
	v_bfi_b32 v6, v6, 0, v0
	v_lshlrev_b64 v[48:49], v48, 1
	v_lshrrev_b64 v[0:1], v34, v[0:1]
	v_bfi_b32 v7, v7, 0, 0
	v_cmp_eq_u64_e64 s[40:41], v[6:7], v[48:49]
	v_mov_b32_e32 v7, v1
	v_mov_b32_e32 v6, v0
	s_and_saveexec_b64 s[50:51], s[40:41]
; %bb.10124:                            ;   in Loop: Header=BB6_9582 Depth=4
	v_bfe_u32 v1, v0, 21, 1
	v_add_co_u32_e64 v1, s[40:41], v0, v1
	v_add_co_u32_e64 v6, s[40:41], -1, v1
; %bb.10125:                            ;   in Loop: Header=BB6_9582 Depth=4
	s_or_b64 exec, exec, s[50:51]
	v_add_u32_e32 v1, 0xffffff81, v28
	v_mov_b32_e32 v7, 0xffffff82
	v_cndmask_b32_e32 v1, v1, v7, vcc
	v_lshrrev_b32_e32 v7, 23, v0
	v_add3_u32 v28, v34, v1, v7
	v_add_u32_e32 v7, 14, v28
	v_and_b32_e32 v1, 0x1fffff, v6
	v_add_u32_e32 v0, v1, v0
	v_mov_b32_e32 v1, v33
	v_cmp_ne_u32_e32 vcc, 0, v7
                                        ; implicit-def: $vgpr6
	s_and_saveexec_b64 s[40:41], vcc
	s_xor_b64 s[40:41], exec, s[40:41]
; %bb.10126:                            ;   in Loop: Header=BB6_9582 Depth=4
	v_cmp_lt_u64_e32 vcc, s[88:89], v[0:1]
	v_add_u32_e32 v6, 15, v28
	v_cndmask_b32_e32 v6, v7, v6, vcc
	v_cndmask_b32_e64 v7, 0, 1, vcc
	v_lshrrev_b64 v[0:1], v7, v[0:1]
; %bb.10127:                            ;   in Loop: Header=BB6_9582 Depth=4
	s_andn2_saveexec_b64 s[40:41], s[40:41]
; %bb.10128:                            ;   in Loop: Header=BB6_9582 Depth=4
	v_bfe_u32 v6, v0, 23, 1
; %bb.10129:                            ;   in Loop: Header=BB6_9582 Depth=4
	s_or_b64 exec, exec, s[40:41]
	v_lshrrev_b64 v[0:1], 21, v[0:1]
	v_cmp_gt_i32_e32 vcc, 32, v6
	v_cndmask_b32_e32 v1, 0, v1, vcc
	v_cndmask_b32_e32 v0, 3, v0, vcc
	v_cmp_eq_u64_e64 s[40:41], 0, v[0:1]
	v_min_i32_e32 v1, 31, v6
	v_lshlrev_b32_e32 v1, 2, v1
	v_cmp_eq_u32_e32 vcc, 0, v6
	v_and_b32_e32 v1, 0xfc, v1
	v_and_or_b32 v0, v0, 3, v1
	s_and_b64 s[40:41], vcc, s[40:41]
	v_cndmask_b32_e64 v0, v0, 0, s[40:41]
	v_or_b32_e32 v28, v0, v15
.LBB6_10130:                            ;   in Loop: Header=BB6_9582 Depth=4
	s_or_b64 exec, exec, s[48:49]
                                        ; implicit-def: $vgpr15
.LBB6_10131:                            ;   in Loop: Header=BB6_9582 Depth=4
	s_andn2_saveexec_b64 s[40:41], s[38:39]
; %bb.10132:                            ;   in Loop: Header=BB6_9582 Depth=4
	v_or_b32_e32 v28, 0x7b, v15
; %bb.10133:                            ;   in Loop: Header=BB6_9582 Depth=4
	s_or_b64 exec, exec, s[40:41]
                                        ; implicit-def: $vgpr6
                                        ; implicit-def: $vgpr0_vgpr1
.LBB6_10134:                            ;   in Loop: Header=BB6_9582 Depth=4
	s_andn2_saveexec_b64 s[40:41], s[42:43]
	s_cbranch_execz .LBB6_10140
; %bb.10135:                            ;   in Loop: Header=BB6_9582 Depth=4
	v_cmp_ne_u64_e32 vcc, 0, v[0:1]
                                        ; implicit-def: $vgpr28
	s_and_saveexec_b64 s[42:43], vcc
	s_xor_b64 s[42:43], exec, s[42:43]
; %bb.10136:                            ;   in Loop: Header=BB6_9582 Depth=4
	v_or_b32_sdwa v28, v6, s44 dst_sel:DWORD dst_unused:UNUSED_PAD src0_sel:BYTE_3 src1_sel:DWORD
                                        ; implicit-def: $vgpr6
; %bb.10137:                            ;   in Loop: Header=BB6_9582 Depth=4
	s_andn2_saveexec_b64 s[42:43], s[42:43]
; %bb.10138:                            ;   in Loop: Header=BB6_9582 Depth=4
	v_cmp_lt_i32_e32 vcc, -1, v6
	v_bfrev_b32_e32 v0, 0.5
	v_mov_b32_e32 v1, 0x7c
	v_cndmask_b32_e32 v28, v0, v1, vcc
; %bb.10139:                            ;   in Loop: Header=BB6_9582 Depth=4
	s_or_b64 exec, exec, s[42:43]
.LBB6_10140:                            ;   in Loop: Header=BB6_9582 Depth=4
	s_or_b64 exec, exec, s[40:41]
	v_cmp_lt_u32_e32 vcc, s57, v32
	v_mov_b32_e32 v1, 0
	s_and_saveexec_b64 s[40:41], vcc
	s_cbranch_execz .LBB6_10148
; %bb.10141:                            ;   in Loop: Header=BB6_9582 Depth=4
	v_lshrrev_b32_e32 v0, 24, v32
	v_cmp_ne_u32_e32 vcc, s97, v0
	v_bfrev_b32_e32 v1, 1
	s_and_saveexec_b64 s[42:43], vcc
	s_cbranch_execz .LBB6_10147
; %bb.10142:                            ;   in Loop: Header=BB6_9582 Depth=4
	v_and_b32_e32 v1, 0x7c000000, v32
	v_bfe_u32 v6, v32, 24, 2
	v_cmp_ne_u32_e32 vcc, s68, v1
                                        ; implicit-def: $vgpr1
	s_and_saveexec_b64 s[62:63], vcc
	s_xor_b64 s[38:39], exec, s[62:63]
	s_cbranch_execz .LBB6_10144
; %bb.10143:                            ;   in Loop: Header=BB6_9582 Depth=4
	v_ffbh_u32_e32 v1, v6
	v_min_u32_e32 v15, 32, v1
	v_subrev_u32_e32 v1, 29, v15
	v_lshlrev_b64 v[0:1], v1, v[0:1]
	v_bfe_u32 v7, v32, 26, 5
	v_sub_u32_e32 v1, 30, v15
	v_and_b32_e32 v0, 3, v0
	v_cmp_eq_u32_e32 vcc, 0, v7
	v_cndmask_b32_e32 v1, v7, v1, vcc
	v_cndmask_b32_e32 v0, v6, v0, vcc
	v_and_b32_e32 v6, 0x80000000, v32
	v_lshl_add_u32 v1, v1, 23, v6
	v_lshl_or_b32 v0, v0, 21, v1
	v_add_u32_e32 v1, 0x38000000, v0
                                        ; implicit-def: $vgpr6
.LBB6_10144:                            ;   in Loop: Header=BB6_9582 Depth=4
	s_andn2_saveexec_b64 s[38:39], s[38:39]
; %bb.10145:                            ;   in Loop: Header=BB6_9582 Depth=4
	v_cmp_lt_i32_e32 vcc, -1, v32
	v_mov_b32_e32 v0, 0xff800000
	v_mov_b32_e32 v1, 0x7f800000
	v_cndmask_b32_e32 v0, v0, v1, vcc
	v_cmp_eq_u32_e32 vcc, 0, v6
	v_mov_b32_e32 v1, 0x7f800001
	v_cndmask_b32_e32 v1, v1, v0, vcc
; %bb.10146:                            ;   in Loop: Header=BB6_9582 Depth=4
	s_or_b64 exec, exec, s[38:39]
.LBB6_10147:                            ;   in Loop: Header=BB6_9582 Depth=4
	s_or_b64 exec, exec, s[42:43]
.LBB6_10148:                            ;   in Loop: Header=BB6_9582 Depth=4
	s_or_b64 exec, exec, s[40:41]
	v_bfe_u32 v15, v8, 24, 2
	v_and_b32_e32 v6, 0x7c000000, v8
	v_cmp_eq_u32_e32 vcc, s68, v6
	v_ffbh_u32_e32 v6, v15
	v_min_u32_e32 v34, 32, v6
	v_lshrrev_b32_e32 v0, 24, v8
	v_subrev_u32_e32 v6, 29, v34
	v_bfe_u32 v32, v8, 26, 5
	v_lshlrev_b64 v[6:7], v6, v[0:1]
	v_cmp_eq_u32_e64 s[40:41], 0, v32
	v_sub_u32_e32 v7, 30, v34
	v_and_b32_e32 v6, 3, v6
	v_cndmask_b32_e64 v7, v32, v7, s[40:41]
	v_and_b32_e32 v32, 0x80000000, v8
	v_cndmask_b32_e64 v6, v15, v6, s[40:41]
	v_lshl_add_u32 v7, v7, 23, v32
	v_lshl_or_b32 v6, v6, 21, v7
	v_cmp_eq_u32_e64 s[40:41], 0, v15
	v_cmp_lt_i32_e64 s[42:43], -1, v8
	v_mov_b32_e32 v7, 0xff800000
	v_mov_b32_e32 v15, 0x7f800000
	v_cndmask_b32_e64 v7, v7, v15, s[42:43]
	v_mov_b32_e32 v15, 0x7f800001
	v_add_u32_e32 v6, 0x38000000, v6
	v_cndmask_b32_e64 v7, v15, v7, s[40:41]
	v_cndmask_b32_e32 v6, v6, v7, vcc
	v_cmp_ne_u32_e32 vcc, s97, v0
	v_bfrev_b32_e32 v0, 1
	v_cndmask_b32_e32 v0, v0, v6, vcc
	v_cmp_lt_u32_e32 vcc, s57, v8
	v_cndmask_b32_e32 v0, 0, v0, vcc
	v_add_f32_e32 v0, v0, v1
	v_and_b32_e32 v6, 0x7f800000, v0
	v_mov_b32_e32 v7, v33
	v_cmp_ne_u64_e32 vcc, s[76:77], v[6:7]
	v_and_b32_e32 v32, 0x7fffff, v0
                                        ; implicit-def: $vgpr34
	s_and_saveexec_b64 s[40:41], vcc
	s_xor_b64 s[42:43], exec, s[40:41]
	s_cbranch_execz .LBB6_10162
; %bb.10149:                            ;   in Loop: Header=BB6_9582 Depth=4
	v_and_b32_e32 v6, 0x7fffffff, v0
	v_mov_b32_e32 v7, v33
	v_cmp_gt_u64_e32 vcc, s[78:79], v[6:7]
	v_and_b32_sdwa v15, v0, s97 dst_sel:DWORD dst_unused:UNUSED_PAD src0_sel:BYTE_3 src1_sel:DWORD
                                        ; implicit-def: $vgpr34
	s_and_saveexec_b64 s[40:41], vcc
	s_xor_b64 s[38:39], exec, s[40:41]
	s_cbranch_execz .LBB6_10159
; %bb.10150:                            ;   in Loop: Header=BB6_9582 Depth=4
	v_mov_b32_e32 v34, 0
	v_cmp_ne_u32_e32 vcc, 0, v0
	s_and_saveexec_b64 s[48:49], vcc
	s_cbranch_execz .LBB6_10158
; %bb.10151:                            ;   in Loop: Header=BB6_9582 Depth=4
	v_bfe_u32 v34, v0, 23, 8
	v_cmp_gt_u32_e64 s[40:41], s47, v34
	v_sub_u32_e32 v0, 0x71, v34
	v_cmp_eq_u32_e32 vcc, 0, v34
	v_cndmask_b32_e64 v0, 0, v0, s[40:41]
	v_mov_b32_e32 v6, 0x70
	v_cndmask_b32_e32 v48, v0, v6, vcc
	v_add_u32_e32 v6, 21, v48
	v_or_b32_e32 v1, 0x800000, v32
	v_lshlrev_b64 v[6:7], v6, -1
	v_cndmask_b32_e32 v0, v1, v32, vcc
	v_mov_b32_e32 v1, v33
	v_add_u32_e32 v32, 20, v48
	v_bfi_b32 v6, v6, 0, v0
	v_lshlrev_b64 v[49:50], v32, 1
	v_lshrrev_b64 v[0:1], v48, v[0:1]
	v_bfi_b32 v7, v7, 0, 0
	v_cmp_eq_u64_e64 s[40:41], v[6:7], v[49:50]
	v_mov_b32_e32 v7, v1
	v_mov_b32_e32 v6, v0
	s_and_saveexec_b64 s[50:51], s[40:41]
; %bb.10152:                            ;   in Loop: Header=BB6_9582 Depth=4
	v_bfe_u32 v1, v0, 21, 1
	v_add_co_u32_e64 v1, s[40:41], v0, v1
	v_add_co_u32_e64 v6, s[40:41], -1, v1
; %bb.10153:                            ;   in Loop: Header=BB6_9582 Depth=4
	s_or_b64 exec, exec, s[50:51]
	v_add_u32_e32 v1, 0xffffff81, v34
	v_mov_b32_e32 v7, 0xffffff82
	v_cndmask_b32_e32 v1, v1, v7, vcc
	v_lshrrev_b32_e32 v7, 23, v0
	v_add3_u32 v34, v48, v1, v7
	v_add_u32_e32 v7, 14, v34
	v_and_b32_e32 v1, 0x1fffff, v6
	v_add_u32_e32 v32, v1, v0
	v_cmp_ne_u32_e32 vcc, 0, v7
                                        ; implicit-def: $vgpr0_vgpr1
                                        ; implicit-def: $vgpr6
	s_and_saveexec_b64 s[40:41], vcc
	s_xor_b64 s[40:41], exec, s[40:41]
; %bb.10154:                            ;   in Loop: Header=BB6_9582 Depth=4
	v_cmp_lt_u64_e32 vcc, s[88:89], v[32:33]
	v_add_u32_e32 v0, 15, v34
	v_cndmask_b32_e32 v6, v7, v0, vcc
	v_cndmask_b32_e64 v0, 0, 1, vcc
	v_lshrrev_b64 v[0:1], v0, v[32:33]
; %bb.10155:                            ;   in Loop: Header=BB6_9582 Depth=4
	s_andn2_saveexec_b64 s[40:41], s[40:41]
; %bb.10156:                            ;   in Loop: Header=BB6_9582 Depth=4
	v_mov_b32_e32 v0, v32
	v_mov_b32_e32 v1, v33
	v_bfe_u32 v6, v32, 23, 1
; %bb.10157:                            ;   in Loop: Header=BB6_9582 Depth=4
	s_or_b64 exec, exec, s[40:41]
	v_lshrrev_b64 v[0:1], 21, v[0:1]
	v_cmp_gt_i32_e32 vcc, 32, v6
	v_cndmask_b32_e32 v1, 0, v1, vcc
	v_cndmask_b32_e32 v0, 3, v0, vcc
	v_cmp_eq_u64_e64 s[40:41], 0, v[0:1]
	v_min_i32_e32 v1, 31, v6
	v_lshlrev_b32_e32 v1, 2, v1
	v_cmp_eq_u32_e32 vcc, 0, v6
	v_and_b32_e32 v1, 0xfc, v1
	v_and_or_b32 v0, v0, 3, v1
	s_and_b64 s[40:41], vcc, s[40:41]
	v_cndmask_b32_e64 v0, v0, 0, s[40:41]
	v_or_b32_e32 v34, v0, v15
.LBB6_10158:                            ;   in Loop: Header=BB6_9582 Depth=4
	s_or_b64 exec, exec, s[48:49]
                                        ; implicit-def: $vgpr15
.LBB6_10159:                            ;   in Loop: Header=BB6_9582 Depth=4
	s_andn2_saveexec_b64 s[40:41], s[38:39]
; %bb.10160:                            ;   in Loop: Header=BB6_9582 Depth=4
	v_or_b32_e32 v34, 0x7b, v15
; %bb.10161:                            ;   in Loop: Header=BB6_9582 Depth=4
	s_or_b64 exec, exec, s[40:41]
                                        ; implicit-def: $vgpr0
.LBB6_10162:                            ;   in Loop: Header=BB6_9582 Depth=4
	s_andn2_saveexec_b64 s[40:41], s[42:43]
	s_cbranch_execz .LBB6_10168
; %bb.10163:                            ;   in Loop: Header=BB6_9582 Depth=4
	v_cmp_ne_u64_e32 vcc, 0, v[32:33]
                                        ; implicit-def: $vgpr34
	s_and_saveexec_b64 s[42:43], vcc
	s_xor_b64 s[42:43], exec, s[42:43]
; %bb.10164:                            ;   in Loop: Header=BB6_9582 Depth=4
	v_or_b32_sdwa v34, v0, s44 dst_sel:DWORD dst_unused:UNUSED_PAD src0_sel:BYTE_3 src1_sel:DWORD
                                        ; implicit-def: $vgpr0
; %bb.10165:                            ;   in Loop: Header=BB6_9582 Depth=4
	s_andn2_saveexec_b64 s[42:43], s[42:43]
; %bb.10166:                            ;   in Loop: Header=BB6_9582 Depth=4
	v_cmp_lt_i32_e32 vcc, -1, v0
	v_bfrev_b32_e32 v0, 0.5
	v_mov_b32_e32 v1, 0x7c
	v_cndmask_b32_e32 v34, v0, v1, vcc
; %bb.10167:                            ;   in Loop: Header=BB6_9582 Depth=4
	s_or_b64 exec, exec, s[42:43]
.LBB6_10168:                            ;   in Loop: Header=BB6_9582 Depth=4
	s_or_b64 exec, exec, s[40:41]
	v_lshl_or_b32 v36, v36, 8, v14
	v_lshlrev_b32_e32 v0, 16, v38
	v_lshlrev_b32_e32 v1, 24, v39
	v_or3_b32 v32, v0, v1, v36
	v_cmp_ne_u32_e32 vcc, 0, v14
	v_mov_b32_e32 v6, 0
	s_and_saveexec_b64 s[42:43], vcc
	s_cbranch_execz .LBB6_10176
; %bb.10169:                            ;   in Loop: Header=BB6_9582 Depth=4
	v_cmp_ne_u32_e32 vcc, s97, v14
	v_bfrev_b32_e32 v6, 1
	s_and_saveexec_b64 s[38:39], vcc
	s_cbranch_execz .LBB6_10175
; %bb.10170:                            ;   in Loop: Header=BB6_9582 Depth=4
	v_and_b32_e32 v1, 0x7c, v14
	v_and_b32_e32 v0, 3, v14
	v_cmp_ne_u32_e32 vcc, s86, v1
                                        ; implicit-def: $vgpr6
	s_and_saveexec_b64 s[40:41], vcc
	s_xor_b64 s[40:41], exec, s[40:41]
	s_cbranch_execz .LBB6_10172
; %bb.10171:                            ;   in Loop: Header=BB6_9582 Depth=4
	v_ffbh_u32_e32 v6, v0
	v_min_u32_e32 v15, 32, v6
	v_subrev_u32_e32 v6, 29, v15
	v_lshlrev_b64 v[6:7], v6, v[32:33]
	v_bfe_u32 v1, v14, 2, 5
	v_and_b32_e32 v6, 3, v6
	v_cmp_eq_u32_e32 vcc, 0, v1
	v_sub_u32_e32 v7, 30, v15
	v_cndmask_b32_e32 v0, v0, v6, vcc
	v_lshlrev_b32_e32 v6, 24, v14
	v_cndmask_b32_e32 v1, v1, v7, vcc
	v_and_b32_e32 v6, 0x80000000, v6
	v_lshl_add_u32 v1, v1, 23, v6
	v_lshl_or_b32 v0, v0, 21, v1
	v_add_u32_e32 v6, 0x38000000, v0
                                        ; implicit-def: $vgpr0
                                        ; implicit-def: $vgpr14
.LBB6_10172:                            ;   in Loop: Header=BB6_9582 Depth=4
	s_andn2_saveexec_b64 s[48:49], s[40:41]
; %bb.10173:                            ;   in Loop: Header=BB6_9582 Depth=4
	v_cmp_eq_u32_e32 vcc, 0, v0
	v_and_b32_e32 v0, 0x80, v14
	v_cmp_eq_u32_e64 s[40:41], 0, v0
	v_mov_b32_e32 v0, 0xff800000
	v_mov_b32_e32 v1, 0x7f800000
	v_cndmask_b32_e64 v0, v0, v1, s[40:41]
	v_mov_b32_e32 v1, 0x7f800001
	v_cndmask_b32_e32 v6, v1, v0, vcc
; %bb.10174:                            ;   in Loop: Header=BB6_9582 Depth=4
	s_or_b64 exec, exec, s[48:49]
.LBB6_10175:                            ;   in Loop: Header=BB6_9582 Depth=4
	s_or_b64 exec, exec, s[38:39]
.LBB6_10176:                            ;   in Loop: Header=BB6_9582 Depth=4
	s_or_b64 exec, exec, s[42:43]
	v_cmp_gt_i16_sdwa s[42:43], v9, s44 src0_sel:BYTE_0 src1_sel:DWORD
	s_mov_b64 s[40:41], 0
	s_and_saveexec_b64 s[62:63], s[42:43]
	s_xor_b64 s[42:43], exec, s[62:63]
	s_cbranch_execz .LBB6_10180
; %bb.10177:                            ;   in Loop: Header=BB6_9582 Depth=4
	v_cmp_eq_u16_sdwa s[62:63], v9, s97 src0_sel:BYTE_0 src1_sel:DWORD
	s_mov_b64 s[40:41], -1
	s_and_saveexec_b64 vcc, s[62:63]
; %bb.10178:                            ;   in Loop: Header=BB6_9582 Depth=4
	s_xor_b64 s[40:41], exec, -1
; %bb.10179:                            ;   in Loop: Header=BB6_9582 Depth=4
	s_or_b64 exec, exec, vcc
	s_and_b64 s[40:41], s[40:41], exec
.LBB6_10180:                            ;   in Loop: Header=BB6_9582 Depth=4
	s_or_saveexec_b64 s[42:43], s[42:43]
	v_bfrev_b32_e32 v7, 1
	s_xor_b64 exec, exec, s[42:43]
; %bb.10181:                            ;   in Loop: Header=BB6_9582 Depth=4
	v_cmp_ne_u16_sdwa s[62:63], v9, v33 src0_sel:BYTE_0 src1_sel:DWORD
	s_andn2_b64 s[40:41], s[40:41], exec
	s_and_b64 s[62:63], s[62:63], exec
	v_mov_b32_e32 v7, 0
	s_or_b64 s[40:41], s[40:41], s[62:63]
; %bb.10182:                            ;   in Loop: Header=BB6_9582 Depth=4
	s_or_b64 exec, exec, s[42:43]
	v_mov_b32_e32 v0, v9
	v_mov_b32_e32 v1, v33
	s_and_saveexec_b64 s[38:39], s[40:41]
	s_cbranch_execz .LBB6_10184
; %bb.10183:                            ;   in Loop: Header=BB6_9582 Depth=4
	v_and_b32_e32 v7, 3, v9
	v_and_b32_e32 v14, 0x7c, v9
	v_cmp_eq_u32_e32 vcc, s86, v14
	v_ffbh_u32_e32 v14, v7
	v_min_u32_e32 v39, 32, v14
	v_subrev_u32_e32 v14, 29, v39
	v_bfe_u32 v38, v9, 2, 5
	v_lshlrev_b64 v[14:15], v14, v[0:1]
	v_cmp_eq_u32_e64 s[40:41], 0, v38
	v_sub_u32_e32 v1, 30, v39
	v_lshlrev_b32_e32 v15, 24, v9
	v_and_b32_e32 v14, 3, v14
	v_cndmask_b32_e64 v1, v38, v1, s[40:41]
	v_and_b32_e32 v15, 0x80000000, v15
	v_cndmask_b32_e64 v14, v7, v14, s[40:41]
	v_lshl_add_u32 v1, v1, 23, v15
	v_cmp_eq_u32_e64 s[40:41], 0, v7
	v_mov_b32_e32 v7, -1
	v_lshl_or_b32 v1, v14, 21, v1
	v_cmp_gt_i16_sdwa s[42:43], sext(v9), v7 src0_sel:BYTE_0 src1_sel:DWORD
	v_mov_b32_e32 v7, 0xff800000
	v_mov_b32_e32 v14, 0x7f800000
	v_cndmask_b32_e64 v7, v7, v14, s[42:43]
	v_mov_b32_e32 v14, 0x7f800001
	v_add_u32_e32 v1, 0x38000000, v1
	v_cndmask_b32_e64 v7, v14, v7, s[40:41]
	v_cndmask_b32_e32 v7, v1, v7, vcc
.LBB6_10184:                            ;   in Loop: Header=BB6_9582 Depth=4
	s_or_b64 exec, exec, s[38:39]
	v_add_f32_e32 v15, v6, v7
	v_and_b32_e32 v38, 0x7f800000, v15
	v_mov_b32_e32 v39, v33
	v_cmp_ne_u64_e32 vcc, s[76:77], v[38:39]
	v_and_b32_e32 v6, 0x7fffff, v15
	v_mov_b32_e32 v7, v33
                                        ; implicit-def: $vgpr14
	s_and_saveexec_b64 s[40:41], vcc
	s_xor_b64 s[42:43], exec, s[40:41]
	s_cbranch_execz .LBB6_10198
; %bb.10185:                            ;   in Loop: Header=BB6_9582 Depth=4
	v_and_b32_e32 v38, 0x7fffffff, v15
	v_mov_b32_e32 v39, v33
	v_cmp_gt_u64_e32 vcc, s[78:79], v[38:39]
	v_and_b32_sdwa v1, v15, s97 dst_sel:DWORD dst_unused:UNUSED_PAD src0_sel:BYTE_3 src1_sel:DWORD
                                        ; implicit-def: $vgpr14
	s_and_saveexec_b64 s[40:41], vcc
	s_xor_b64 s[38:39], exec, s[40:41]
	s_cbranch_execz .LBB6_10195
; %bb.10186:                            ;   in Loop: Header=BB6_9582 Depth=4
	v_mov_b32_e32 v14, 0
	v_cmp_ne_u32_e32 vcc, 0, v15
	s_and_saveexec_b64 s[48:49], vcc
	s_cbranch_execz .LBB6_10194
; %bb.10187:                            ;   in Loop: Header=BB6_9582 Depth=4
	v_bfe_u32 v38, v15, 23, 8
	v_cmp_gt_u32_e64 s[40:41], s47, v38
	v_sub_u32_e32 v14, 0x71, v38
	v_cmp_eq_u32_e32 vcc, 0, v38
	v_cndmask_b32_e64 v14, 0, v14, s[40:41]
	v_mov_b32_e32 v39, 0x70
	v_cndmask_b32_e32 v39, v14, v39, vcc
	v_or_b32_e32 v15, 0x800000, v6
	v_add_u32_e32 v14, 21, v39
	v_cndmask_b32_e32 v6, v15, v6, vcc
	v_lshlrev_b64 v[14:15], v14, -1
	v_add_u32_e32 v48, 20, v39
	v_bfi_b32 v14, v14, 0, v6
	v_lshlrev_b64 v[48:49], v48, 1
	v_lshrrev_b64 v[6:7], v39, v[6:7]
	v_bfi_b32 v15, v15, 0, 0
	v_cmp_eq_u64_e64 s[40:41], v[14:15], v[48:49]
	v_mov_b32_e32 v15, v7
	v_mov_b32_e32 v14, v6
	s_and_saveexec_b64 s[50:51], s[40:41]
; %bb.10188:                            ;   in Loop: Header=BB6_9582 Depth=4
	v_bfe_u32 v7, v6, 21, 1
	v_add_co_u32_e64 v7, s[40:41], v6, v7
	v_add_co_u32_e64 v14, s[40:41], -1, v7
; %bb.10189:                            ;   in Loop: Header=BB6_9582 Depth=4
	s_or_b64 exec, exec, s[50:51]
	v_add_u32_e32 v7, 0xffffff81, v38
	v_mov_b32_e32 v15, 0xffffff82
	v_cndmask_b32_e32 v7, v7, v15, vcc
	v_lshrrev_b32_e32 v15, 23, v6
	v_add3_u32 v38, v39, v7, v15
	v_add_u32_e32 v15, 14, v38
	v_and_b32_e32 v7, 0x1fffff, v14
	v_add_u32_e32 v6, v7, v6
	v_mov_b32_e32 v7, v33
	v_cmp_ne_u32_e32 vcc, 0, v15
                                        ; implicit-def: $vgpr14
	s_and_saveexec_b64 s[40:41], vcc
	s_xor_b64 s[40:41], exec, s[40:41]
; %bb.10190:                            ;   in Loop: Header=BB6_9582 Depth=4
	v_cmp_lt_u64_e32 vcc, s[88:89], v[6:7]
	v_add_u32_e32 v14, 15, v38
	v_cndmask_b32_e32 v14, v15, v14, vcc
	v_cndmask_b32_e64 v15, 0, 1, vcc
	v_lshrrev_b64 v[6:7], v15, v[6:7]
; %bb.10191:                            ;   in Loop: Header=BB6_9582 Depth=4
	s_andn2_saveexec_b64 s[40:41], s[40:41]
; %bb.10192:                            ;   in Loop: Header=BB6_9582 Depth=4
	v_bfe_u32 v14, v6, 23, 1
; %bb.10193:                            ;   in Loop: Header=BB6_9582 Depth=4
	s_or_b64 exec, exec, s[40:41]
	v_lshrrev_b64 v[6:7], 21, v[6:7]
	v_cmp_gt_i32_e32 vcc, 32, v14
	v_cndmask_b32_e32 v7, 0, v7, vcc
	v_cndmask_b32_e32 v6, 3, v6, vcc
	v_cmp_eq_u64_e64 s[40:41], 0, v[6:7]
	v_min_i32_e32 v7, 31, v14
	v_lshlrev_b32_e32 v7, 2, v7
	v_cmp_eq_u32_e32 vcc, 0, v14
	v_and_b32_e32 v7, 0xfc, v7
	v_and_or_b32 v6, v6, 3, v7
	s_and_b64 s[40:41], vcc, s[40:41]
	v_cndmask_b32_e64 v6, v6, 0, s[40:41]
	v_or_b32_e32 v14, v6, v1
.LBB6_10194:                            ;   in Loop: Header=BB6_9582 Depth=4
	s_or_b64 exec, exec, s[48:49]
                                        ; implicit-def: $vgpr1
.LBB6_10195:                            ;   in Loop: Header=BB6_9582 Depth=4
	s_andn2_saveexec_b64 s[40:41], s[38:39]
; %bb.10196:                            ;   in Loop: Header=BB6_9582 Depth=4
	v_or_b32_e32 v14, 0x7b, v1
; %bb.10197:                            ;   in Loop: Header=BB6_9582 Depth=4
	s_or_b64 exec, exec, s[40:41]
                                        ; implicit-def: $vgpr15
                                        ; implicit-def: $vgpr6_vgpr7
.LBB6_10198:                            ;   in Loop: Header=BB6_9582 Depth=4
	s_andn2_saveexec_b64 s[40:41], s[42:43]
	s_cbranch_execz .LBB6_10204
; %bb.10199:                            ;   in Loop: Header=BB6_9582 Depth=4
	v_cmp_ne_u64_e32 vcc, 0, v[6:7]
                                        ; implicit-def: $vgpr14
	s_and_saveexec_b64 s[42:43], vcc
	s_xor_b64 s[42:43], exec, s[42:43]
; %bb.10200:                            ;   in Loop: Header=BB6_9582 Depth=4
	v_or_b32_sdwa v14, v15, s44 dst_sel:DWORD dst_unused:UNUSED_PAD src0_sel:BYTE_3 src1_sel:DWORD
                                        ; implicit-def: $vgpr15
; %bb.10201:                            ;   in Loop: Header=BB6_9582 Depth=4
	s_andn2_saveexec_b64 s[42:43], s[42:43]
; %bb.10202:                            ;   in Loop: Header=BB6_9582 Depth=4
	v_cmp_lt_i32_e32 vcc, -1, v15
	v_bfrev_b32_e32 v1, 0.5
	v_mov_b32_e32 v6, 0x7c
	v_cndmask_b32_e32 v14, v1, v6, vcc
; %bb.10203:                            ;   in Loop: Header=BB6_9582 Depth=4
	s_or_b64 exec, exec, s[42:43]
.LBB6_10204:                            ;   in Loop: Header=BB6_9582 Depth=4
	s_or_b64 exec, exec, s[40:41]
	v_lshrrev_b16_e32 v6, 8, v36
	v_cmp_ne_u16_e32 vcc, 0, v6
	v_mov_b32_e32 v1, 0
	s_and_saveexec_b64 s[40:41], vcc
	s_cbranch_execz .LBB6_10212
; %bb.10205:                            ;   in Loop: Header=BB6_9582 Depth=4
	v_cmp_ne_u16_e32 vcc, s97, v6
	v_bfrev_b32_e32 v1, 1
	s_and_saveexec_b64 s[42:43], vcc
	s_cbranch_execz .LBB6_10211
; %bb.10206:                            ;   in Loop: Header=BB6_9582 Depth=4
	v_and_b32_e32 v1, 0x7c, v6
	v_and_b32_e32 v15, 3, v6
	v_cmp_ne_u32_e32 vcc, s86, v1
                                        ; implicit-def: $vgpr1
	s_and_saveexec_b64 s[62:63], vcc
	s_xor_b64 s[38:39], exec, s[62:63]
	s_cbranch_execz .LBB6_10208
; %bb.10207:                            ;   in Loop: Header=BB6_9582 Depth=4
	v_ffbh_u32_e32 v38, v15
	v_min_u32_e32 v38, 32, v38
	v_mov_b32_e32 v7, v33
	v_subrev_u32_e32 v39, 29, v38
	v_bfe_u32 v1, v6, 2, 5
	v_lshlrev_b64 v[6:7], v39, v[6:7]
	v_sub_u32_e32 v7, 30, v38
	v_cmp_eq_u32_e32 vcc, 0, v1
	v_cndmask_b32_e32 v1, v1, v7, vcc
	v_lshlrev_b32_e32 v7, 16, v36
	v_and_b32_e32 v6, 3, v6
	v_and_b32_e32 v7, 0x80000000, v7
	v_cndmask_b32_e32 v6, v15, v6, vcc
	v_lshl_add_u32 v1, v1, 23, v7
	v_lshl_or_b32 v1, v6, 21, v1
	v_add_u32_e32 v1, 0x38000000, v1
                                        ; implicit-def: $vgpr15
                                        ; implicit-def: $vgpr36
.LBB6_10208:                            ;   in Loop: Header=BB6_9582 Depth=4
	s_andn2_saveexec_b64 s[38:39], s[38:39]
; %bb.10209:                            ;   in Loop: Header=BB6_9582 Depth=4
	v_cmp_lt_i16_e32 vcc, -1, v36
	v_mov_b32_e32 v1, 0xff800000
	v_mov_b32_e32 v6, 0x7f800000
	v_cndmask_b32_e32 v1, v1, v6, vcc
	v_cmp_eq_u32_e32 vcc, 0, v15
	v_mov_b32_e32 v6, 0x7f800001
	v_cndmask_b32_e32 v1, v6, v1, vcc
; %bb.10210:                            ;   in Loop: Header=BB6_9582 Depth=4
	s_or_b64 exec, exec, s[38:39]
.LBB6_10211:                            ;   in Loop: Header=BB6_9582 Depth=4
	s_or_b64 exec, exec, s[42:43]
.LBB6_10212:                            ;   in Loop: Header=BB6_9582 Depth=4
	s_or_b64 exec, exec, s[40:41]
	v_lshrrev_b16_e32 v6, 8, v0
	v_cmp_lt_i16_e32 vcc, s44, v6
	s_mov_b64 s[40:41], 0
	s_and_saveexec_b64 s[42:43], vcc
	s_xor_b64 s[42:43], exec, s[42:43]
	s_cbranch_execz .LBB6_10567
; %bb.10213:                            ;   in Loop: Header=BB6_9582 Depth=4
	v_cmp_eq_u16_e32 vcc, s97, v6
	s_mov_b64 s[40:41], -1
	s_and_saveexec_b64 s[38:39], vcc
; %bb.10214:                            ;   in Loop: Header=BB6_9582 Depth=4
	s_xor_b64 s[40:41], exec, -1
; %bb.10215:                            ;   in Loop: Header=BB6_9582 Depth=4
	s_or_b64 exec, exec, s[38:39]
	s_and_b64 s[40:41], s[40:41], exec
	s_or_saveexec_b64 s[42:43], s[42:43]
	v_bfrev_b32_e32 v7, 1
	s_xor_b64 exec, exec, s[42:43]
	s_cbranch_execnz .LBB6_10568
.LBB6_10216:                            ;   in Loop: Header=BB6_9582 Depth=4
	s_or_b64 exec, exec, s[42:43]
	s_and_saveexec_b64 s[38:39], s[40:41]
	s_cbranch_execz .LBB6_10218
.LBB6_10217:                            ;   in Loop: Header=BB6_9582 Depth=4
	v_and_b32_e32 v15, 3, v6
	v_and_b32_e32 v38, 0x7c, v6
	v_cmp_eq_u32_e32 vcc, s86, v38
	v_ffbh_u32_e32 v38, v15
	v_min_u32_e32 v48, 32, v38
	v_mov_b32_e32 v7, v33
	v_subrev_u32_e32 v38, 29, v48
	v_bfe_u32 v36, v6, 2, 5
	v_lshlrev_b64 v[38:39], v38, v[6:7]
	v_cmp_eq_u32_e64 s[40:41], 0, v36
	v_sub_u32_e32 v7, 30, v48
	v_lshlrev_b32_e32 v6, 24, v6
	v_and_b32_e32 v38, 3, v38
	v_cndmask_b32_e64 v7, v36, v7, s[40:41]
	v_and_b32_e32 v6, 0x80000000, v6
	v_cndmask_b32_e64 v36, v15, v38, s[40:41]
	v_lshl_add_u32 v6, v7, 23, v6
	v_cmp_lt_i16_e64 s[42:43], -1, v0
	v_mov_b32_e32 v0, 0xff800000
	v_mov_b32_e32 v7, 0x7f800000
	v_lshl_or_b32 v6, v36, 21, v6
	v_cmp_eq_u32_e64 s[40:41], 0, v15
	v_cndmask_b32_e64 v0, v0, v7, s[42:43]
	v_mov_b32_e32 v7, 0x7f800001
	v_add_u32_e32 v6, 0x38000000, v6
	v_cndmask_b32_e64 v0, v7, v0, s[40:41]
	v_cndmask_b32_e32 v7, v6, v0, vcc
.LBB6_10218:                            ;   in Loop: Header=BB6_9582 Depth=4
	s_or_b64 exec, exec, s[38:39]
	v_add_f32_e32 v6, v1, v7
	v_and_b32_e32 v38, 0x7f800000, v6
	v_mov_b32_e32 v39, v33
	v_cmp_ne_u64_e32 vcc, s[76:77], v[38:39]
	v_and_b32_e32 v0, 0x7fffff, v6
	v_mov_b32_e32 v1, v33
                                        ; implicit-def: $vgpr15
	s_and_saveexec_b64 s[40:41], vcc
	s_xor_b64 s[42:43], exec, s[40:41]
	s_cbranch_execz .LBB6_10232
; %bb.10219:                            ;   in Loop: Header=BB6_9582 Depth=4
	v_and_b32_e32 v38, 0x7fffffff, v6
	v_mov_b32_e32 v39, v33
	v_cmp_gt_u64_e32 vcc, s[78:79], v[38:39]
	v_and_b32_sdwa v36, v6, s97 dst_sel:DWORD dst_unused:UNUSED_PAD src0_sel:BYTE_3 src1_sel:DWORD
                                        ; implicit-def: $vgpr15
	s_and_saveexec_b64 s[40:41], vcc
	s_xor_b64 s[38:39], exec, s[40:41]
	s_cbranch_execz .LBB6_10229
; %bb.10220:                            ;   in Loop: Header=BB6_9582 Depth=4
	v_mov_b32_e32 v15, 0
	v_cmp_ne_u32_e32 vcc, 0, v6
	s_and_saveexec_b64 s[48:49], vcc
	s_cbranch_execz .LBB6_10228
; %bb.10221:                            ;   in Loop: Header=BB6_9582 Depth=4
	v_bfe_u32 v15, v6, 23, 8
	v_cmp_gt_u32_e64 s[40:41], s47, v15
	v_sub_u32_e32 v6, 0x71, v15
	v_cmp_eq_u32_e32 vcc, 0, v15
	v_cndmask_b32_e64 v6, 0, v6, s[40:41]
	v_mov_b32_e32 v38, 0x70
	v_cndmask_b32_e32 v38, v6, v38, vcc
	v_or_b32_e32 v7, 0x800000, v0
	v_add_u32_e32 v6, 21, v38
	v_cndmask_b32_e32 v0, v7, v0, vcc
	v_lshlrev_b64 v[6:7], v6, -1
	v_add_u32_e32 v39, 20, v38
	v_bfi_b32 v6, v6, 0, v0
	v_lshlrev_b64 v[48:49], v39, 1
	v_lshrrev_b64 v[0:1], v38, v[0:1]
	v_bfi_b32 v7, v7, 0, 0
	v_cmp_eq_u64_e64 s[40:41], v[6:7], v[48:49]
	v_mov_b32_e32 v7, v1
	v_mov_b32_e32 v6, v0
	s_and_saveexec_b64 s[50:51], s[40:41]
; %bb.10222:                            ;   in Loop: Header=BB6_9582 Depth=4
	v_bfe_u32 v1, v0, 21, 1
	v_add_co_u32_e64 v1, s[40:41], v0, v1
	v_add_co_u32_e64 v6, s[40:41], -1, v1
; %bb.10223:                            ;   in Loop: Header=BB6_9582 Depth=4
	s_or_b64 exec, exec, s[50:51]
	v_add_u32_e32 v1, 0xffffff81, v15
	v_mov_b32_e32 v7, 0xffffff82
	v_cndmask_b32_e32 v1, v1, v7, vcc
	v_lshrrev_b32_e32 v7, 23, v0
	v_add3_u32 v15, v38, v1, v7
	v_add_u32_e32 v7, 14, v15
	v_and_b32_e32 v1, 0x1fffff, v6
	v_add_u32_e32 v0, v1, v0
	v_mov_b32_e32 v1, v33
	v_cmp_ne_u32_e32 vcc, 0, v7
                                        ; implicit-def: $vgpr6
	s_and_saveexec_b64 s[40:41], vcc
	s_xor_b64 s[40:41], exec, s[40:41]
; %bb.10224:                            ;   in Loop: Header=BB6_9582 Depth=4
	v_cmp_lt_u64_e32 vcc, s[88:89], v[0:1]
	v_add_u32_e32 v6, 15, v15
	v_cndmask_b32_e32 v6, v7, v6, vcc
	v_cndmask_b32_e64 v7, 0, 1, vcc
	v_lshrrev_b64 v[0:1], v7, v[0:1]
; %bb.10225:                            ;   in Loop: Header=BB6_9582 Depth=4
	s_andn2_saveexec_b64 s[40:41], s[40:41]
; %bb.10226:                            ;   in Loop: Header=BB6_9582 Depth=4
	v_bfe_u32 v6, v0, 23, 1
; %bb.10227:                            ;   in Loop: Header=BB6_9582 Depth=4
	s_or_b64 exec, exec, s[40:41]
	v_lshrrev_b64 v[0:1], 21, v[0:1]
	v_cmp_gt_i32_e32 vcc, 32, v6
	v_cndmask_b32_e32 v1, 0, v1, vcc
	v_cndmask_b32_e32 v0, 3, v0, vcc
	v_cmp_eq_u64_e64 s[40:41], 0, v[0:1]
	v_min_i32_e32 v1, 31, v6
	v_lshlrev_b32_e32 v1, 2, v1
	v_cmp_eq_u32_e32 vcc, 0, v6
	v_and_b32_e32 v1, 0xfc, v1
	v_and_or_b32 v0, v0, 3, v1
	s_and_b64 s[40:41], vcc, s[40:41]
	v_cndmask_b32_e64 v0, v0, 0, s[40:41]
	v_or_b32_e32 v15, v0, v36
.LBB6_10228:                            ;   in Loop: Header=BB6_9582 Depth=4
	s_or_b64 exec, exec, s[48:49]
                                        ; implicit-def: $vgpr36
.LBB6_10229:                            ;   in Loop: Header=BB6_9582 Depth=4
	s_andn2_saveexec_b64 s[40:41], s[38:39]
; %bb.10230:                            ;   in Loop: Header=BB6_9582 Depth=4
	v_or_b32_e32 v15, 0x7b, v36
; %bb.10231:                            ;   in Loop: Header=BB6_9582 Depth=4
	s_or_b64 exec, exec, s[40:41]
                                        ; implicit-def: $vgpr6
                                        ; implicit-def: $vgpr0_vgpr1
.LBB6_10232:                            ;   in Loop: Header=BB6_9582 Depth=4
	s_andn2_saveexec_b64 s[40:41], s[42:43]
	s_cbranch_execz .LBB6_10238
; %bb.10233:                            ;   in Loop: Header=BB6_9582 Depth=4
	v_cmp_ne_u64_e32 vcc, 0, v[0:1]
                                        ; implicit-def: $vgpr15
	s_and_saveexec_b64 s[42:43], vcc
	s_xor_b64 s[42:43], exec, s[42:43]
; %bb.10234:                            ;   in Loop: Header=BB6_9582 Depth=4
	v_or_b32_sdwa v15, v6, s44 dst_sel:DWORD dst_unused:UNUSED_PAD src0_sel:BYTE_3 src1_sel:DWORD
                                        ; implicit-def: $vgpr6
; %bb.10235:                            ;   in Loop: Header=BB6_9582 Depth=4
	s_andn2_saveexec_b64 s[42:43], s[42:43]
; %bb.10236:                            ;   in Loop: Header=BB6_9582 Depth=4
	v_cmp_lt_i32_e32 vcc, -1, v6
	v_bfrev_b32_e32 v0, 0.5
	v_mov_b32_e32 v1, 0x7c
	v_cndmask_b32_e32 v15, v0, v1, vcc
; %bb.10237:                            ;   in Loop: Header=BB6_9582 Depth=4
	s_or_b64 exec, exec, s[42:43]
.LBB6_10238:                            ;   in Loop: Header=BB6_9582 Depth=4
	s_or_b64 exec, exec, s[40:41]
	v_and_b32_sdwa v6, v32, s96 dst_sel:DWORD dst_unused:UNUSED_PAD src0_sel:WORD_1 src1_sel:DWORD
	v_lshrrev_b32_e32 v0, 16, v32
	v_cmp_ne_u16_e32 vcc, 0, v6
	v_mov_b32_e32 v1, 0
	s_and_saveexec_b64 s[40:41], vcc
	s_cbranch_execz .LBB6_10246
; %bb.10239:                            ;   in Loop: Header=BB6_9582 Depth=4
	v_cmp_ne_u16_e32 vcc, s97, v6
	v_bfrev_b32_e32 v1, 1
	s_and_saveexec_b64 s[42:43], vcc
	s_cbranch_execz .LBB6_10245
; %bb.10240:                            ;   in Loop: Header=BB6_9582 Depth=4
	v_and_b32_e32 v1, 0x7c0000, v32
	v_bfe_u32 v6, v32, 16, 2
	v_cmp_ne_u32_e32 vcc, s45, v1
                                        ; implicit-def: $vgpr1
	s_and_saveexec_b64 s[62:63], vcc
	s_xor_b64 s[38:39], exec, s[62:63]
	s_cbranch_execz .LBB6_10242
; %bb.10241:                            ;   in Loop: Header=BB6_9582 Depth=4
	v_ffbh_u32_e32 v1, v6
	v_min_u32_e32 v36, 32, v1
	v_subrev_u32_e32 v1, 29, v36
	v_lshlrev_b64 v[0:1], v1, v[0:1]
	v_bfe_u32 v7, v32, 18, 5
	v_and_b32_e32 v0, 3, v0
	v_cmp_eq_u32_e32 vcc, 0, v7
	v_sub_u32_e32 v1, 30, v36
	v_cndmask_b32_e32 v0, v6, v0, vcc
	v_lshlrev_b32_e32 v6, 8, v32
	v_cndmask_b32_e32 v1, v7, v1, vcc
	v_and_b32_e32 v6, 0x80000000, v6
	v_lshl_add_u32 v1, v1, 23, v6
	v_lshl_or_b32 v0, v0, 21, v1
	v_add_u32_e32 v1, 0x38000000, v0
                                        ; implicit-def: $vgpr6
                                        ; implicit-def: $vgpr0
.LBB6_10242:                            ;   in Loop: Header=BB6_9582 Depth=4
	s_andn2_saveexec_b64 s[38:39], s[38:39]
; %bb.10243:                            ;   in Loop: Header=BB6_9582 Depth=4
	v_mov_b32_e32 v1, -1
	v_cmp_gt_i16_sdwa vcc, sext(v0), v1 src0_sel:BYTE_0 src1_sel:DWORD
	v_mov_b32_e32 v0, 0xff800000
	v_mov_b32_e32 v1, 0x7f800000
	v_cndmask_b32_e32 v0, v0, v1, vcc
	v_cmp_eq_u32_e32 vcc, 0, v6
	v_mov_b32_e32 v1, 0x7f800001
	v_cndmask_b32_e32 v1, v1, v0, vcc
; %bb.10244:                            ;   in Loop: Header=BB6_9582 Depth=4
	s_or_b64 exec, exec, s[38:39]
.LBB6_10245:                            ;   in Loop: Header=BB6_9582 Depth=4
	s_or_b64 exec, exec, s[42:43]
.LBB6_10246:                            ;   in Loop: Header=BB6_9582 Depth=4
	s_or_b64 exec, exec, s[40:41]
	v_lshrrev_b32_e32 v0, 16, v9
	v_cmp_gt_i16_sdwa s[42:43], v0, s44 src0_sel:BYTE_0 src1_sel:DWORD
	s_mov_b64 s[40:41], 0
	s_and_saveexec_b64 s[62:63], s[42:43]
	s_xor_b64 s[42:43], exec, s[62:63]
	s_cbranch_execz .LBB6_10569
; %bb.10247:                            ;   in Loop: Header=BB6_9582 Depth=4
	v_cmp_eq_u16_sdwa s[62:63], v0, s97 src0_sel:BYTE_0 src1_sel:DWORD
	s_mov_b64 s[40:41], -1
	s_and_saveexec_b64 vcc, s[62:63]
; %bb.10248:                            ;   in Loop: Header=BB6_9582 Depth=4
	s_xor_b64 s[40:41], exec, -1
; %bb.10249:                            ;   in Loop: Header=BB6_9582 Depth=4
	s_or_b64 exec, exec, vcc
	s_and_b64 s[40:41], s[40:41], exec
	s_or_saveexec_b64 s[42:43], s[42:43]
	v_bfrev_b32_e32 v6, 1
	s_xor_b64 exec, exec, s[42:43]
	s_cbranch_execnz .LBB6_10570
.LBB6_10250:                            ;   in Loop: Header=BB6_9582 Depth=4
	s_or_b64 exec, exec, s[42:43]
	s_and_saveexec_b64 s[38:39], s[40:41]
	s_cbranch_execz .LBB6_10252
.LBB6_10251:                            ;   in Loop: Header=BB6_9582 Depth=4
	v_and_b32_e32 v36, 3, v0
	v_and_b32_e32 v6, 0x7c0000, v9
	v_cmp_eq_u32_e32 vcc, s45, v6
	v_ffbh_u32_e32 v6, v36
	v_min_u32_e32 v39, 32, v6
	v_subrev_u32_e32 v6, 29, v39
	v_bfe_u32 v38, v9, 18, 5
	v_lshlrev_b64 v[6:7], v6, v[0:1]
	v_cmp_eq_u32_e64 s[40:41], 0, v38
	v_sub_u32_e32 v7, 30, v39
	v_cndmask_b32_e64 v7, v38, v7, s[40:41]
	v_lshlrev_b32_e32 v38, 24, v0
	v_and_b32_e32 v6, 3, v6
	v_and_b32_e32 v38, 0x80000000, v38
	v_cndmask_b32_e64 v6, v36, v6, s[40:41]
	v_lshl_add_u32 v7, v7, 23, v38
	v_lshl_or_b32 v6, v6, 21, v7
	v_mov_b32_e32 v7, -1
	v_cmp_gt_i16_sdwa s[42:43], sext(v0), v7 src0_sel:BYTE_0 src1_sel:DWORD
	v_mov_b32_e32 v0, 0xff800000
	v_mov_b32_e32 v7, 0x7f800000
	v_cmp_eq_u32_e64 s[40:41], 0, v36
	v_cndmask_b32_e64 v0, v0, v7, s[42:43]
	v_mov_b32_e32 v7, 0x7f800001
	v_add_u32_e32 v6, 0x38000000, v6
	v_cndmask_b32_e64 v0, v7, v0, s[40:41]
	v_cndmask_b32_e32 v6, v6, v0, vcc
.LBB6_10252:                            ;   in Loop: Header=BB6_9582 Depth=4
	s_or_b64 exec, exec, s[38:39]
	v_add_f32_e32 v6, v1, v6
	v_and_b32_e32 v38, 0x7f800000, v6
	v_mov_b32_e32 v39, v33
	v_cmp_ne_u64_e32 vcc, s[76:77], v[38:39]
	v_and_b32_e32 v0, 0x7fffff, v6
	v_mov_b32_e32 v1, v33
                                        ; implicit-def: $vgpr36
	s_and_saveexec_b64 s[40:41], vcc
	s_xor_b64 s[42:43], exec, s[40:41]
	s_cbranch_execz .LBB6_10266
; %bb.10253:                            ;   in Loop: Header=BB6_9582 Depth=4
	v_and_b32_e32 v38, 0x7fffffff, v6
	v_mov_b32_e32 v39, v33
	v_cmp_gt_u64_e32 vcc, s[78:79], v[38:39]
	v_and_b32_sdwa v38, v6, s97 dst_sel:DWORD dst_unused:UNUSED_PAD src0_sel:BYTE_3 src1_sel:DWORD
                                        ; implicit-def: $vgpr36
	s_and_saveexec_b64 s[40:41], vcc
	s_xor_b64 s[38:39], exec, s[40:41]
	s_cbranch_execz .LBB6_10263
; %bb.10254:                            ;   in Loop: Header=BB6_9582 Depth=4
	v_mov_b32_e32 v36, 0
	v_cmp_ne_u32_e32 vcc, 0, v6
	s_and_saveexec_b64 s[48:49], vcc
	s_cbranch_execz .LBB6_10262
; %bb.10255:                            ;   in Loop: Header=BB6_9582 Depth=4
	v_bfe_u32 v36, v6, 23, 8
	v_cmp_gt_u32_e64 s[40:41], s47, v36
	v_sub_u32_e32 v6, 0x71, v36
	v_cmp_eq_u32_e32 vcc, 0, v36
	v_cndmask_b32_e64 v6, 0, v6, s[40:41]
	v_mov_b32_e32 v39, 0x70
	v_cndmask_b32_e32 v39, v6, v39, vcc
	v_or_b32_e32 v7, 0x800000, v0
	v_add_u32_e32 v6, 21, v39
	v_cndmask_b32_e32 v0, v7, v0, vcc
	v_lshlrev_b64 v[6:7], v6, -1
	v_add_u32_e32 v48, 20, v39
	v_bfi_b32 v6, v6, 0, v0
	v_lshlrev_b64 v[48:49], v48, 1
	v_lshrrev_b64 v[0:1], v39, v[0:1]
	v_bfi_b32 v7, v7, 0, 0
	v_cmp_eq_u64_e64 s[40:41], v[6:7], v[48:49]
	v_mov_b32_e32 v7, v1
	v_mov_b32_e32 v6, v0
	s_and_saveexec_b64 s[50:51], s[40:41]
; %bb.10256:                            ;   in Loop: Header=BB6_9582 Depth=4
	v_bfe_u32 v1, v0, 21, 1
	v_add_co_u32_e64 v1, s[40:41], v0, v1
	v_add_co_u32_e64 v6, s[40:41], -1, v1
; %bb.10257:                            ;   in Loop: Header=BB6_9582 Depth=4
	s_or_b64 exec, exec, s[50:51]
	v_add_u32_e32 v1, 0xffffff81, v36
	v_mov_b32_e32 v7, 0xffffff82
	v_cndmask_b32_e32 v1, v1, v7, vcc
	v_lshrrev_b32_e32 v7, 23, v0
	v_add3_u32 v36, v39, v1, v7
	v_add_u32_e32 v7, 14, v36
	v_and_b32_e32 v1, 0x1fffff, v6
	v_add_u32_e32 v0, v1, v0
	v_mov_b32_e32 v1, v33
	v_cmp_ne_u32_e32 vcc, 0, v7
                                        ; implicit-def: $vgpr6
	s_and_saveexec_b64 s[40:41], vcc
	s_xor_b64 s[40:41], exec, s[40:41]
; %bb.10258:                            ;   in Loop: Header=BB6_9582 Depth=4
	v_cmp_lt_u64_e32 vcc, s[88:89], v[0:1]
	v_add_u32_e32 v6, 15, v36
	v_cndmask_b32_e32 v6, v7, v6, vcc
	v_cndmask_b32_e64 v7, 0, 1, vcc
	v_lshrrev_b64 v[0:1], v7, v[0:1]
; %bb.10259:                            ;   in Loop: Header=BB6_9582 Depth=4
	s_andn2_saveexec_b64 s[40:41], s[40:41]
; %bb.10260:                            ;   in Loop: Header=BB6_9582 Depth=4
	v_bfe_u32 v6, v0, 23, 1
; %bb.10261:                            ;   in Loop: Header=BB6_9582 Depth=4
	s_or_b64 exec, exec, s[40:41]
	v_lshrrev_b64 v[0:1], 21, v[0:1]
	v_cmp_gt_i32_e32 vcc, 32, v6
	v_cndmask_b32_e32 v1, 0, v1, vcc
	v_cndmask_b32_e32 v0, 3, v0, vcc
	v_cmp_eq_u64_e64 s[40:41], 0, v[0:1]
	v_min_i32_e32 v1, 31, v6
	v_lshlrev_b32_e32 v1, 2, v1
	v_cmp_eq_u32_e32 vcc, 0, v6
	v_and_b32_e32 v1, 0xfc, v1
	v_and_or_b32 v0, v0, 3, v1
	s_and_b64 s[40:41], vcc, s[40:41]
	v_cndmask_b32_e64 v0, v0, 0, s[40:41]
	v_or_b32_e32 v36, v0, v38
.LBB6_10262:                            ;   in Loop: Header=BB6_9582 Depth=4
	s_or_b64 exec, exec, s[48:49]
                                        ; implicit-def: $vgpr38
.LBB6_10263:                            ;   in Loop: Header=BB6_9582 Depth=4
	s_andn2_saveexec_b64 s[40:41], s[38:39]
; %bb.10264:                            ;   in Loop: Header=BB6_9582 Depth=4
	v_or_b32_e32 v36, 0x7b, v38
; %bb.10265:                            ;   in Loop: Header=BB6_9582 Depth=4
	s_or_b64 exec, exec, s[40:41]
                                        ; implicit-def: $vgpr6
                                        ; implicit-def: $vgpr0_vgpr1
.LBB6_10266:                            ;   in Loop: Header=BB6_9582 Depth=4
	s_andn2_saveexec_b64 s[40:41], s[42:43]
	s_cbranch_execz .LBB6_10272
; %bb.10267:                            ;   in Loop: Header=BB6_9582 Depth=4
	v_cmp_ne_u64_e32 vcc, 0, v[0:1]
                                        ; implicit-def: $vgpr36
	s_and_saveexec_b64 s[42:43], vcc
	s_xor_b64 s[42:43], exec, s[42:43]
; %bb.10268:                            ;   in Loop: Header=BB6_9582 Depth=4
	v_or_b32_sdwa v36, v6, s44 dst_sel:DWORD dst_unused:UNUSED_PAD src0_sel:BYTE_3 src1_sel:DWORD
                                        ; implicit-def: $vgpr6
; %bb.10269:                            ;   in Loop: Header=BB6_9582 Depth=4
	s_andn2_saveexec_b64 s[42:43], s[42:43]
; %bb.10270:                            ;   in Loop: Header=BB6_9582 Depth=4
	v_cmp_lt_i32_e32 vcc, -1, v6
	v_bfrev_b32_e32 v0, 0.5
	v_mov_b32_e32 v1, 0x7c
	v_cndmask_b32_e32 v36, v0, v1, vcc
; %bb.10271:                            ;   in Loop: Header=BB6_9582 Depth=4
	s_or_b64 exec, exec, s[42:43]
.LBB6_10272:                            ;   in Loop: Header=BB6_9582 Depth=4
	s_or_b64 exec, exec, s[40:41]
	v_cmp_lt_u32_e32 vcc, s57, v32
	v_mov_b32_e32 v1, 0
	s_and_saveexec_b64 s[40:41], vcc
	s_cbranch_execz .LBB6_10280
; %bb.10273:                            ;   in Loop: Header=BB6_9582 Depth=4
	v_lshrrev_b32_e32 v0, 24, v32
	v_cmp_ne_u32_e32 vcc, s97, v0
	v_bfrev_b32_e32 v1, 1
	s_and_saveexec_b64 s[42:43], vcc
	s_cbranch_execz .LBB6_10279
; %bb.10274:                            ;   in Loop: Header=BB6_9582 Depth=4
	v_and_b32_e32 v1, 0x7c000000, v32
	v_bfe_u32 v6, v32, 24, 2
	v_cmp_ne_u32_e32 vcc, s68, v1
                                        ; implicit-def: $vgpr1
	s_and_saveexec_b64 s[62:63], vcc
	s_xor_b64 s[38:39], exec, s[62:63]
	s_cbranch_execz .LBB6_10276
; %bb.10275:                            ;   in Loop: Header=BB6_9582 Depth=4
	v_ffbh_u32_e32 v1, v6
	v_min_u32_e32 v38, 32, v1
	v_subrev_u32_e32 v1, 29, v38
	v_lshlrev_b64 v[0:1], v1, v[0:1]
	v_bfe_u32 v7, v32, 26, 5
	v_sub_u32_e32 v1, 30, v38
	v_and_b32_e32 v0, 3, v0
	v_cmp_eq_u32_e32 vcc, 0, v7
	v_cndmask_b32_e32 v1, v7, v1, vcc
	v_cndmask_b32_e32 v0, v6, v0, vcc
	v_and_b32_e32 v6, 0x80000000, v32
	v_lshl_add_u32 v1, v1, 23, v6
	v_lshl_or_b32 v0, v0, 21, v1
	v_add_u32_e32 v1, 0x38000000, v0
                                        ; implicit-def: $vgpr6
.LBB6_10276:                            ;   in Loop: Header=BB6_9582 Depth=4
	s_andn2_saveexec_b64 s[38:39], s[38:39]
; %bb.10277:                            ;   in Loop: Header=BB6_9582 Depth=4
	v_cmp_lt_i32_e32 vcc, -1, v32
	v_mov_b32_e32 v0, 0xff800000
	v_mov_b32_e32 v1, 0x7f800000
	v_cndmask_b32_e32 v0, v0, v1, vcc
	v_cmp_eq_u32_e32 vcc, 0, v6
	v_mov_b32_e32 v1, 0x7f800001
	v_cndmask_b32_e32 v1, v1, v0, vcc
; %bb.10278:                            ;   in Loop: Header=BB6_9582 Depth=4
	s_or_b64 exec, exec, s[38:39]
.LBB6_10279:                            ;   in Loop: Header=BB6_9582 Depth=4
	s_or_b64 exec, exec, s[42:43]
.LBB6_10280:                            ;   in Loop: Header=BB6_9582 Depth=4
	s_or_b64 exec, exec, s[40:41]
	v_bfe_u32 v32, v9, 24, 2
	v_and_b32_e32 v6, 0x7c000000, v9
	v_cmp_eq_u32_e32 vcc, s68, v6
	v_ffbh_u32_e32 v6, v32
	v_min_u32_e32 v39, 32, v6
	v_lshrrev_b32_e32 v0, 24, v9
	v_subrev_u32_e32 v6, 29, v39
	v_bfe_u32 v38, v9, 26, 5
	v_lshlrev_b64 v[6:7], v6, v[0:1]
	v_cmp_eq_u32_e64 s[40:41], 0, v38
	v_sub_u32_e32 v7, 30, v39
	v_and_b32_e32 v6, 3, v6
	v_cndmask_b32_e64 v7, v38, v7, s[40:41]
	v_and_b32_e32 v38, 0x80000000, v9
	v_cndmask_b32_e64 v6, v32, v6, s[40:41]
	v_lshl_add_u32 v7, v7, 23, v38
	v_cmp_lt_i64_e64 s[42:43], -1, v[8:9]
	v_lshl_or_b32 v6, v6, 21, v7
	v_cmp_eq_u32_e64 s[40:41], 0, v32
	v_mov_b32_e32 v7, 0xff800000
	v_mov_b32_e32 v32, 0x7f800000
	v_cndmask_b32_e64 v7, v7, v32, s[42:43]
	v_mov_b32_e32 v32, 0x7f800001
	v_add_u32_e32 v6, 0x38000000, v6
	v_cndmask_b32_e64 v7, v32, v7, s[40:41]
	v_cndmask_b32_e32 v6, v6, v7, vcc
	v_cmp_ne_u32_e32 vcc, s97, v0
	v_bfrev_b32_e32 v0, 1
	v_cndmask_b32_e32 v0, v0, v6, vcc
	v_cmp_lt_u64_e32 vcc, s[56:57], v[8:9]
	v_mov_b32_e32 v7, v33
	v_cndmask_b32_e32 v0, 0, v0, vcc
	v_add_f32_e32 v0, v0, v1
	v_and_b32_e32 v6, 0x7f800000, v0
	v_cmp_ne_u64_e32 vcc, s[76:77], v[6:7]
	v_and_b32_e32 v32, 0x7fffff, v0
                                        ; implicit-def: $vgpr9
	s_and_saveexec_b64 s[40:41], vcc
	s_xor_b64 s[42:43], exec, s[40:41]
	s_cbranch_execz .LBB6_10294
; %bb.10281:                            ;   in Loop: Header=BB6_9582 Depth=4
	v_and_b32_e32 v6, 0x7fffffff, v0
	v_mov_b32_e32 v7, v33
	v_cmp_gt_u64_e32 vcc, s[78:79], v[6:7]
	v_and_b32_sdwa v8, v0, s97 dst_sel:DWORD dst_unused:UNUSED_PAD src0_sel:BYTE_3 src1_sel:DWORD
                                        ; implicit-def: $vgpr9
	s_and_saveexec_b64 s[40:41], vcc
	s_xor_b64 s[38:39], exec, s[40:41]
	s_cbranch_execz .LBB6_10291
; %bb.10282:                            ;   in Loop: Header=BB6_9582 Depth=4
	v_mov_b32_e32 v9, 0
	v_cmp_ne_u32_e32 vcc, 0, v0
	s_and_saveexec_b64 s[48:49], vcc
	s_cbranch_execz .LBB6_10290
; %bb.10283:                            ;   in Loop: Header=BB6_9582 Depth=4
	v_bfe_u32 v9, v0, 23, 8
	v_cmp_gt_u32_e64 s[40:41], s47, v9
	v_sub_u32_e32 v0, 0x71, v9
	v_cmp_eq_u32_e32 vcc, 0, v9
	v_cndmask_b32_e64 v0, 0, v0, s[40:41]
	v_mov_b32_e32 v6, 0x70
	v_cndmask_b32_e32 v38, v0, v6, vcc
	v_add_u32_e32 v6, 21, v38
	v_or_b32_e32 v1, 0x800000, v32
	v_lshlrev_b64 v[6:7], v6, -1
	v_cndmask_b32_e32 v0, v1, v32, vcc
	v_mov_b32_e32 v1, v33
	v_add_u32_e32 v32, 20, v38
	v_bfi_b32 v6, v6, 0, v0
	v_lshlrev_b64 v[48:49], v32, 1
	v_lshrrev_b64 v[0:1], v38, v[0:1]
	v_bfi_b32 v7, v7, 0, 0
	v_cmp_eq_u64_e64 s[40:41], v[6:7], v[48:49]
	v_mov_b32_e32 v7, v1
	v_mov_b32_e32 v6, v0
	s_and_saveexec_b64 s[50:51], s[40:41]
; %bb.10284:                            ;   in Loop: Header=BB6_9582 Depth=4
	v_bfe_u32 v1, v0, 21, 1
	v_add_co_u32_e64 v1, s[40:41], v0, v1
	v_add_co_u32_e64 v6, s[40:41], -1, v1
; %bb.10285:                            ;   in Loop: Header=BB6_9582 Depth=4
	s_or_b64 exec, exec, s[50:51]
	v_add_u32_e32 v1, 0xffffff81, v9
	v_mov_b32_e32 v7, 0xffffff82
	v_cndmask_b32_e32 v1, v1, v7, vcc
	v_lshrrev_b32_e32 v7, 23, v0
	v_add3_u32 v9, v38, v1, v7
	v_add_u32_e32 v7, 14, v9
	v_and_b32_e32 v1, 0x1fffff, v6
	v_add_u32_e32 v32, v1, v0
	v_cmp_ne_u32_e32 vcc, 0, v7
                                        ; implicit-def: $vgpr0_vgpr1
                                        ; implicit-def: $vgpr6
	s_and_saveexec_b64 s[40:41], vcc
	s_xor_b64 s[40:41], exec, s[40:41]
; %bb.10286:                            ;   in Loop: Header=BB6_9582 Depth=4
	v_cmp_lt_u64_e32 vcc, s[88:89], v[32:33]
	v_add_u32_e32 v0, 15, v9
	v_cndmask_b32_e32 v6, v7, v0, vcc
	v_cndmask_b32_e64 v0, 0, 1, vcc
	v_lshrrev_b64 v[0:1], v0, v[32:33]
; %bb.10287:                            ;   in Loop: Header=BB6_9582 Depth=4
	s_andn2_saveexec_b64 s[40:41], s[40:41]
; %bb.10288:                            ;   in Loop: Header=BB6_9582 Depth=4
	v_mov_b32_e32 v0, v32
	v_mov_b32_e32 v1, v33
	v_bfe_u32 v6, v32, 23, 1
; %bb.10289:                            ;   in Loop: Header=BB6_9582 Depth=4
	s_or_b64 exec, exec, s[40:41]
	v_lshrrev_b64 v[0:1], 21, v[0:1]
	v_cmp_gt_i32_e32 vcc, 32, v6
	v_cndmask_b32_e32 v1, 0, v1, vcc
	v_cndmask_b32_e32 v0, 3, v0, vcc
	v_cmp_eq_u64_e64 s[40:41], 0, v[0:1]
	v_min_i32_e32 v1, 31, v6
	v_lshlrev_b32_e32 v1, 2, v1
	v_cmp_eq_u32_e32 vcc, 0, v6
	v_and_b32_e32 v1, 0xfc, v1
	v_and_or_b32 v0, v0, 3, v1
	s_and_b64 s[40:41], vcc, s[40:41]
	v_cndmask_b32_e64 v0, v0, 0, s[40:41]
	v_or_b32_e32 v9, v0, v8
.LBB6_10290:                            ;   in Loop: Header=BB6_9582 Depth=4
	s_or_b64 exec, exec, s[48:49]
                                        ; implicit-def: $vgpr8
.LBB6_10291:                            ;   in Loop: Header=BB6_9582 Depth=4
	s_andn2_saveexec_b64 s[40:41], s[38:39]
; %bb.10292:                            ;   in Loop: Header=BB6_9582 Depth=4
	v_or_b32_e32 v9, 0x7b, v8
; %bb.10293:                            ;   in Loop: Header=BB6_9582 Depth=4
	s_or_b64 exec, exec, s[40:41]
                                        ; implicit-def: $vgpr0
.LBB6_10294:                            ;   in Loop: Header=BB6_9582 Depth=4
	s_andn2_saveexec_b64 s[40:41], s[42:43]
	s_cbranch_execz .LBB6_10300
; %bb.10295:                            ;   in Loop: Header=BB6_9582 Depth=4
	v_cmp_ne_u64_e32 vcc, 0, v[32:33]
                                        ; implicit-def: $vgpr9
	s_and_saveexec_b64 s[42:43], vcc
	s_xor_b64 s[42:43], exec, s[42:43]
; %bb.10296:                            ;   in Loop: Header=BB6_9582 Depth=4
	v_or_b32_sdwa v9, v0, s44 dst_sel:DWORD dst_unused:UNUSED_PAD src0_sel:BYTE_3 src1_sel:DWORD
                                        ; implicit-def: $vgpr0
; %bb.10297:                            ;   in Loop: Header=BB6_9582 Depth=4
	s_andn2_saveexec_b64 s[42:43], s[42:43]
; %bb.10298:                            ;   in Loop: Header=BB6_9582 Depth=4
	v_cmp_lt_i32_e32 vcc, -1, v0
	v_bfrev_b32_e32 v0, 0.5
	v_mov_b32_e32 v1, 0x7c
	v_cndmask_b32_e32 v9, v0, v1, vcc
; %bb.10299:                            ;   in Loop: Header=BB6_9582 Depth=4
	s_or_b64 exec, exec, s[42:43]
.LBB6_10300:                            ;   in Loop: Header=BB6_9582 Depth=4
	s_or_b64 exec, exec, s[40:41]
	v_lshl_or_b32 v8, v30, 8, v26
	v_lshlrev_b32_e32 v0, 16, v35
	v_lshlrev_b32_e32 v1, 24, v37
	v_or3_b32 v32, v0, v1, v8
	v_cmp_ne_u32_e32 vcc, 0, v26
	v_mov_b32_e32 v0, 0
	s_and_saveexec_b64 s[42:43], vcc
	s_cbranch_execz .LBB6_10308
; %bb.10301:                            ;   in Loop: Header=BB6_9582 Depth=4
	v_cmp_ne_u32_e32 vcc, s97, v26
	v_bfrev_b32_e32 v0, 1
	s_and_saveexec_b64 s[38:39], vcc
	s_cbranch_execz .LBB6_10307
; %bb.10302:                            ;   in Loop: Header=BB6_9582 Depth=4
	v_and_b32_e32 v0, 0x7c, v26
	v_and_b32_e32 v1, 3, v26
	v_cmp_ne_u32_e32 vcc, s86, v0
                                        ; implicit-def: $vgpr0
	s_and_saveexec_b64 s[40:41], vcc
	s_xor_b64 s[40:41], exec, s[40:41]
	s_cbranch_execz .LBB6_10304
; %bb.10303:                            ;   in Loop: Header=BB6_9582 Depth=4
	v_ffbh_u32_e32 v6, v1
	v_min_u32_e32 v30, 32, v6
	v_subrev_u32_e32 v6, 29, v30
	v_lshlrev_b64 v[6:7], v6, v[32:33]
	v_bfe_u32 v0, v26, 2, 5
	v_and_b32_e32 v6, 3, v6
	v_cmp_eq_u32_e32 vcc, 0, v0
	v_sub_u32_e32 v7, 30, v30
	v_cndmask_b32_e32 v1, v1, v6, vcc
	v_lshlrev_b32_e32 v6, 24, v26
	v_cndmask_b32_e32 v0, v0, v7, vcc
	v_and_b32_e32 v6, 0x80000000, v6
	v_lshl_add_u32 v0, v0, 23, v6
	v_lshl_or_b32 v0, v1, 21, v0
	v_add_u32_e32 v0, 0x38000000, v0
                                        ; implicit-def: $vgpr1
                                        ; implicit-def: $vgpr26
.LBB6_10304:                            ;   in Loop: Header=BB6_9582 Depth=4
	s_andn2_saveexec_b64 s[48:49], s[40:41]
; %bb.10305:                            ;   in Loop: Header=BB6_9582 Depth=4
	v_and_b32_e32 v0, 0x80, v26
	v_cmp_eq_u32_e32 vcc, 0, v1
	v_cmp_eq_u32_e64 s[40:41], 0, v0
	v_mov_b32_e32 v0, 0xff800000
	v_mov_b32_e32 v1, 0x7f800000
	v_cndmask_b32_e64 v0, v0, v1, s[40:41]
	v_mov_b32_e32 v1, 0x7f800001
	v_cndmask_b32_e32 v0, v1, v0, vcc
; %bb.10306:                            ;   in Loop: Header=BB6_9582 Depth=4
	s_or_b64 exec, exec, s[48:49]
.LBB6_10307:                            ;   in Loop: Header=BB6_9582 Depth=4
	s_or_b64 exec, exec, s[38:39]
.LBB6_10308:                            ;   in Loop: Header=BB6_9582 Depth=4
	s_or_b64 exec, exec, s[42:43]
	v_cmp_gt_i16_sdwa s[42:43], v10, s44 src0_sel:BYTE_0 src1_sel:DWORD
	s_mov_b64 s[40:41], 0
	s_and_saveexec_b64 s[62:63], s[42:43]
	s_xor_b64 s[42:43], exec, s[62:63]
	s_cbranch_execz .LBB6_10571
; %bb.10309:                            ;   in Loop: Header=BB6_9582 Depth=4
	v_cmp_eq_u16_sdwa s[62:63], v10, s97 src0_sel:BYTE_0 src1_sel:DWORD
	s_mov_b64 s[40:41], -1
	s_and_saveexec_b64 vcc, s[62:63]
; %bb.10310:                            ;   in Loop: Header=BB6_9582 Depth=4
	s_xor_b64 s[40:41], exec, -1
; %bb.10311:                            ;   in Loop: Header=BB6_9582 Depth=4
	s_or_b64 exec, exec, vcc
	s_and_b64 s[40:41], s[40:41], exec
	s_or_saveexec_b64 s[42:43], s[42:43]
	v_bfrev_b32_e32 v1, 1
	s_xor_b64 exec, exec, s[42:43]
	s_cbranch_execnz .LBB6_10572
.LBB6_10312:                            ;   in Loop: Header=BB6_9582 Depth=4
	s_or_b64 exec, exec, s[42:43]
	s_and_saveexec_b64 s[38:39], s[40:41]
	s_cbranch_execz .LBB6_10314
.LBB6_10313:                            ;   in Loop: Header=BB6_9582 Depth=4
	v_and_b32_e32 v1, 3, v10
	v_and_b32_e32 v6, 0x7c, v10
	v_cmp_eq_u32_e32 vcc, s86, v6
	v_ffbh_u32_e32 v6, v1
	v_min_u32_e32 v30, 32, v6
	v_subrev_u32_e32 v6, 29, v30
	v_bfe_u32 v26, v10, 2, 5
	v_lshlrev_b64 v[6:7], v6, v[10:11]
	v_cmp_eq_u32_e64 s[40:41], 0, v26
	v_sub_u32_e32 v7, 30, v30
	v_cndmask_b32_e64 v7, v26, v7, s[40:41]
	v_lshlrev_b32_e32 v26, 24, v10
	v_and_b32_e32 v6, 3, v6
	v_and_b32_e32 v26, 0x80000000, v26
	v_cndmask_b32_e64 v6, v1, v6, s[40:41]
	v_lshl_add_u32 v7, v7, 23, v26
	v_cmp_eq_u32_e64 s[40:41], 0, v1
	v_mov_b32_e32 v1, -1
	v_lshl_or_b32 v6, v6, 21, v7
	v_cmp_gt_i16_sdwa s[42:43], sext(v10), v1 src0_sel:BYTE_0 src1_sel:DWORD
	v_mov_b32_e32 v1, 0xff800000
	v_mov_b32_e32 v7, 0x7f800000
	v_cndmask_b32_e64 v1, v1, v7, s[42:43]
	v_mov_b32_e32 v7, 0x7f800001
	v_add_u32_e32 v6, 0x38000000, v6
	v_cndmask_b32_e64 v1, v7, v1, s[40:41]
	v_cndmask_b32_e32 v1, v6, v1, vcc
.LBB6_10314:                            ;   in Loop: Header=BB6_9582 Depth=4
	s_or_b64 exec, exec, s[38:39]
	v_add_f32_e32 v6, v0, v1
	v_and_b32_e32 v37, 0x7f800000, v6
	v_mov_b32_e32 v38, v33
	v_cmp_ne_u64_e32 vcc, s[76:77], v[37:38]
	v_and_b32_e32 v0, 0x7fffff, v6
	v_mov_b32_e32 v1, v33
                                        ; implicit-def: $vgpr26
	s_and_saveexec_b64 s[40:41], vcc
	s_xor_b64 s[42:43], exec, s[40:41]
	s_cbranch_execz .LBB6_10328
; %bb.10315:                            ;   in Loop: Header=BB6_9582 Depth=4
	v_and_b32_e32 v37, 0x7fffffff, v6
	v_mov_b32_e32 v38, v33
	v_cmp_gt_u64_e32 vcc, s[78:79], v[37:38]
	v_and_b32_sdwa v30, v6, s97 dst_sel:DWORD dst_unused:UNUSED_PAD src0_sel:BYTE_3 src1_sel:DWORD
                                        ; implicit-def: $vgpr26
	s_and_saveexec_b64 s[40:41], vcc
	s_xor_b64 s[38:39], exec, s[40:41]
	s_cbranch_execz .LBB6_10325
; %bb.10316:                            ;   in Loop: Header=BB6_9582 Depth=4
	v_mov_b32_e32 v26, 0
	v_cmp_ne_u32_e32 vcc, 0, v6
	s_and_saveexec_b64 s[48:49], vcc
	s_cbranch_execz .LBB6_10324
; %bb.10317:                            ;   in Loop: Header=BB6_9582 Depth=4
	v_bfe_u32 v26, v6, 23, 8
	v_cmp_gt_u32_e64 s[40:41], s47, v26
	v_sub_u32_e32 v6, 0x71, v26
	v_cmp_eq_u32_e32 vcc, 0, v26
	v_cndmask_b32_e64 v6, 0, v6, s[40:41]
	v_mov_b32_e32 v35, 0x70
	v_cndmask_b32_e32 v35, v6, v35, vcc
	v_or_b32_e32 v7, 0x800000, v0
	v_add_u32_e32 v6, 21, v35
	v_cndmask_b32_e32 v0, v7, v0, vcc
	v_lshlrev_b64 v[6:7], v6, -1
	v_add_u32_e32 v37, 20, v35
	v_bfi_b32 v6, v6, 0, v0
	v_lshlrev_b64 v[37:38], v37, 1
	v_lshrrev_b64 v[0:1], v35, v[0:1]
	v_bfi_b32 v7, v7, 0, 0
	v_cmp_eq_u64_e64 s[40:41], v[6:7], v[37:38]
	v_mov_b32_e32 v7, v1
	v_mov_b32_e32 v6, v0
	s_and_saveexec_b64 s[50:51], s[40:41]
; %bb.10318:                            ;   in Loop: Header=BB6_9582 Depth=4
	v_bfe_u32 v1, v0, 21, 1
	v_add_co_u32_e64 v1, s[40:41], v0, v1
	v_add_co_u32_e64 v6, s[40:41], -1, v1
; %bb.10319:                            ;   in Loop: Header=BB6_9582 Depth=4
	s_or_b64 exec, exec, s[50:51]
	v_add_u32_e32 v1, 0xffffff81, v26
	v_mov_b32_e32 v7, 0xffffff82
	v_cndmask_b32_e32 v1, v1, v7, vcc
	v_lshrrev_b32_e32 v7, 23, v0
	v_add3_u32 v26, v35, v1, v7
	v_add_u32_e32 v7, 14, v26
	v_and_b32_e32 v1, 0x1fffff, v6
	v_add_u32_e32 v0, v1, v0
	v_mov_b32_e32 v1, v33
	v_cmp_ne_u32_e32 vcc, 0, v7
                                        ; implicit-def: $vgpr6
	s_and_saveexec_b64 s[40:41], vcc
	s_xor_b64 s[40:41], exec, s[40:41]
; %bb.10320:                            ;   in Loop: Header=BB6_9582 Depth=4
	v_cmp_lt_u64_e32 vcc, s[88:89], v[0:1]
	v_add_u32_e32 v6, 15, v26
	v_cndmask_b32_e32 v6, v7, v6, vcc
	v_cndmask_b32_e64 v7, 0, 1, vcc
	v_lshrrev_b64 v[0:1], v7, v[0:1]
; %bb.10321:                            ;   in Loop: Header=BB6_9582 Depth=4
	s_andn2_saveexec_b64 s[40:41], s[40:41]
; %bb.10322:                            ;   in Loop: Header=BB6_9582 Depth=4
	v_bfe_u32 v6, v0, 23, 1
; %bb.10323:                            ;   in Loop: Header=BB6_9582 Depth=4
	s_or_b64 exec, exec, s[40:41]
	v_lshrrev_b64 v[0:1], 21, v[0:1]
	v_cmp_gt_i32_e32 vcc, 32, v6
	v_cndmask_b32_e32 v1, 0, v1, vcc
	v_cndmask_b32_e32 v0, 3, v0, vcc
	v_cmp_eq_u64_e64 s[40:41], 0, v[0:1]
	v_min_i32_e32 v1, 31, v6
	v_lshlrev_b32_e32 v1, 2, v1
	v_cmp_eq_u32_e32 vcc, 0, v6
	v_and_b32_e32 v1, 0xfc, v1
	v_and_or_b32 v0, v0, 3, v1
	s_and_b64 s[40:41], vcc, s[40:41]
	v_cndmask_b32_e64 v0, v0, 0, s[40:41]
	v_or_b32_e32 v26, v0, v30
.LBB6_10324:                            ;   in Loop: Header=BB6_9582 Depth=4
	s_or_b64 exec, exec, s[48:49]
                                        ; implicit-def: $vgpr30
.LBB6_10325:                            ;   in Loop: Header=BB6_9582 Depth=4
	s_andn2_saveexec_b64 s[40:41], s[38:39]
; %bb.10326:                            ;   in Loop: Header=BB6_9582 Depth=4
	v_or_b32_e32 v26, 0x7b, v30
; %bb.10327:                            ;   in Loop: Header=BB6_9582 Depth=4
	s_or_b64 exec, exec, s[40:41]
                                        ; implicit-def: $vgpr6
                                        ; implicit-def: $vgpr0_vgpr1
.LBB6_10328:                            ;   in Loop: Header=BB6_9582 Depth=4
	s_andn2_saveexec_b64 s[40:41], s[42:43]
	s_cbranch_execz .LBB6_10334
; %bb.10329:                            ;   in Loop: Header=BB6_9582 Depth=4
	v_cmp_ne_u64_e32 vcc, 0, v[0:1]
                                        ; implicit-def: $vgpr26
	s_and_saveexec_b64 s[42:43], vcc
	s_xor_b64 s[42:43], exec, s[42:43]
; %bb.10330:                            ;   in Loop: Header=BB6_9582 Depth=4
	v_or_b32_sdwa v26, v6, s44 dst_sel:DWORD dst_unused:UNUSED_PAD src0_sel:BYTE_3 src1_sel:DWORD
                                        ; implicit-def: $vgpr6
; %bb.10331:                            ;   in Loop: Header=BB6_9582 Depth=4
	s_andn2_saveexec_b64 s[42:43], s[42:43]
; %bb.10332:                            ;   in Loop: Header=BB6_9582 Depth=4
	v_cmp_lt_i32_e32 vcc, -1, v6
	v_bfrev_b32_e32 v0, 0.5
	v_mov_b32_e32 v1, 0x7c
	v_cndmask_b32_e32 v26, v0, v1, vcc
; %bb.10333:                            ;   in Loop: Header=BB6_9582 Depth=4
	s_or_b64 exec, exec, s[42:43]
.LBB6_10334:                            ;   in Loop: Header=BB6_9582 Depth=4
	s_or_b64 exec, exec, s[40:41]
	v_lshrrev_b16_e32 v0, 8, v8
	v_cmp_ne_u16_e32 vcc, 0, v0
	v_mov_b32_e32 v6, 0
	s_and_saveexec_b64 s[40:41], vcc
	s_cbranch_execz .LBB6_10342
; %bb.10335:                            ;   in Loop: Header=BB6_9582 Depth=4
	v_cmp_ne_u16_e32 vcc, s97, v0
	v_bfrev_b32_e32 v6, 1
	s_and_saveexec_b64 s[42:43], vcc
	s_cbranch_execz .LBB6_10341
; %bb.10336:                            ;   in Loop: Header=BB6_9582 Depth=4
	v_and_b32_e32 v1, 0x7c, v0
	v_and_b32_e32 v7, 3, v0
	v_cmp_ne_u32_e32 vcc, s86, v1
                                        ; implicit-def: $vgpr6
	s_and_saveexec_b64 s[62:63], vcc
	s_xor_b64 s[38:39], exec, s[62:63]
	s_cbranch_execz .LBB6_10338
; %bb.10337:                            ;   in Loop: Header=BB6_9582 Depth=4
	v_ffbh_u32_e32 v30, v7
	v_min_u32_e32 v30, 32, v30
	v_mov_b32_e32 v1, v33
	v_subrev_u32_e32 v35, 29, v30
	v_bfe_u32 v6, v0, 2, 5
	v_lshlrev_b64 v[0:1], v35, v[0:1]
	v_sub_u32_e32 v1, 30, v30
	v_cmp_eq_u32_e32 vcc, 0, v6
	v_cndmask_b32_e32 v1, v6, v1, vcc
	v_lshlrev_b32_e32 v6, 16, v8
	v_and_b32_e32 v0, 3, v0
	v_and_b32_e32 v6, 0x80000000, v6
	v_cndmask_b32_e32 v0, v7, v0, vcc
	v_lshl_add_u32 v1, v1, 23, v6
	v_lshl_or_b32 v0, v0, 21, v1
	v_add_u32_e32 v6, 0x38000000, v0
                                        ; implicit-def: $vgpr7
                                        ; implicit-def: $vgpr8
.LBB6_10338:                            ;   in Loop: Header=BB6_9582 Depth=4
	s_andn2_saveexec_b64 s[38:39], s[38:39]
; %bb.10339:                            ;   in Loop: Header=BB6_9582 Depth=4
	v_cmp_lt_i16_e32 vcc, -1, v8
	v_mov_b32_e32 v0, 0xff800000
	v_mov_b32_e32 v1, 0x7f800000
	v_cndmask_b32_e32 v0, v0, v1, vcc
	v_cmp_eq_u32_e32 vcc, 0, v7
	v_mov_b32_e32 v1, 0x7f800001
	v_cndmask_b32_e32 v6, v1, v0, vcc
; %bb.10340:                            ;   in Loop: Header=BB6_9582 Depth=4
	s_or_b64 exec, exec, s[38:39]
.LBB6_10341:                            ;   in Loop: Header=BB6_9582 Depth=4
	s_or_b64 exec, exec, s[42:43]
.LBB6_10342:                            ;   in Loop: Header=BB6_9582 Depth=4
	s_or_b64 exec, exec, s[40:41]
	v_lshrrev_b16_e32 v0, 8, v10
	v_cmp_lt_i16_e32 vcc, s44, v0
	s_mov_b64 s[40:41], 0
	s_and_saveexec_b64 s[42:43], vcc
	s_xor_b64 s[42:43], exec, s[42:43]
	s_cbranch_execz .LBB6_10573
; %bb.10343:                            ;   in Loop: Header=BB6_9582 Depth=4
	v_cmp_eq_u16_e32 vcc, s97, v0
	s_mov_b64 s[40:41], -1
	s_and_saveexec_b64 s[38:39], vcc
; %bb.10344:                            ;   in Loop: Header=BB6_9582 Depth=4
	s_xor_b64 s[40:41], exec, -1
; %bb.10345:                            ;   in Loop: Header=BB6_9582 Depth=4
	s_or_b64 exec, exec, s[38:39]
	s_and_b64 s[40:41], s[40:41], exec
	s_or_saveexec_b64 s[42:43], s[42:43]
	v_bfrev_b32_e32 v1, 1
	s_xor_b64 exec, exec, s[42:43]
	s_cbranch_execnz .LBB6_10574
.LBB6_10346:                            ;   in Loop: Header=BB6_9582 Depth=4
	s_or_b64 exec, exec, s[42:43]
	s_and_saveexec_b64 s[38:39], s[40:41]
	s_cbranch_execz .LBB6_10348
.LBB6_10347:                            ;   in Loop: Header=BB6_9582 Depth=4
	v_and_b32_e32 v30, 3, v0
	v_and_b32_e32 v7, 0x7c, v0
	v_cmp_eq_u32_e32 vcc, s86, v7
	v_ffbh_u32_e32 v7, v30
	v_min_u32_e32 v37, 32, v7
	v_mov_b32_e32 v1, v33
	v_subrev_u32_e32 v7, 29, v37
	v_bfe_u32 v35, v0, 2, 5
	v_lshlrev_b64 v[7:8], v7, v[0:1]
	v_cmp_eq_u32_e64 s[40:41], 0, v35
	v_sub_u32_e32 v1, 30, v37
	v_lshlrev_b32_e32 v0, 24, v0
	v_and_b32_e32 v7, 3, v7
	v_cndmask_b32_e64 v1, v35, v1, s[40:41]
	v_and_b32_e32 v0, 0x80000000, v0
	v_cndmask_b32_e64 v7, v30, v7, s[40:41]
	v_lshl_add_u32 v0, v1, 23, v0
	v_lshl_or_b32 v0, v7, 21, v0
	v_cmp_lt_i16_e64 s[42:43], -1, v10
	v_mov_b32_e32 v1, 0xff800000
	v_mov_b32_e32 v7, 0x7f800000
	v_cmp_eq_u32_e64 s[40:41], 0, v30
	v_cndmask_b32_e64 v1, v1, v7, s[42:43]
	v_mov_b32_e32 v7, 0x7f800001
	v_add_u32_e32 v0, 0x38000000, v0
	v_cndmask_b32_e64 v1, v7, v1, s[40:41]
	v_cndmask_b32_e32 v1, v0, v1, vcc
.LBB6_10348:                            ;   in Loop: Header=BB6_9582 Depth=4
	s_or_b64 exec, exec, s[38:39]
	v_add_f32_e32 v6, v6, v1
	v_and_b32_e32 v7, 0x7f800000, v6
	v_mov_b32_e32 v8, v33
	v_cmp_ne_u64_e32 vcc, s[76:77], v[7:8]
	v_and_b32_e32 v0, 0x7fffff, v6
	v_mov_b32_e32 v1, v33
                                        ; implicit-def: $vgpr30
	s_and_saveexec_b64 s[40:41], vcc
	s_xor_b64 s[42:43], exec, s[40:41]
	s_cbranch_execz .LBB6_10362
; %bb.10349:                            ;   in Loop: Header=BB6_9582 Depth=4
	v_and_b32_e32 v7, 0x7fffffff, v6
	v_mov_b32_e32 v8, v33
	v_cmp_gt_u64_e32 vcc, s[78:79], v[7:8]
	v_and_b32_sdwa v8, v6, s97 dst_sel:DWORD dst_unused:UNUSED_PAD src0_sel:BYTE_3 src1_sel:DWORD
                                        ; implicit-def: $vgpr30
	s_and_saveexec_b64 s[40:41], vcc
	s_xor_b64 s[38:39], exec, s[40:41]
	s_cbranch_execz .LBB6_10359
; %bb.10350:                            ;   in Loop: Header=BB6_9582 Depth=4
	v_mov_b32_e32 v30, 0
	v_cmp_ne_u32_e32 vcc, 0, v6
	s_and_saveexec_b64 s[48:49], vcc
	s_cbranch_execz .LBB6_10358
; %bb.10351:                            ;   in Loop: Header=BB6_9582 Depth=4
	v_bfe_u32 v30, v6, 23, 8
	v_cmp_gt_u32_e64 s[40:41], s47, v30
	v_sub_u32_e32 v6, 0x71, v30
	v_cmp_eq_u32_e32 vcc, 0, v30
	v_cndmask_b32_e64 v6, 0, v6, s[40:41]
	v_mov_b32_e32 v35, 0x70
	v_cndmask_b32_e32 v35, v6, v35, vcc
	v_or_b32_e32 v7, 0x800000, v0
	v_add_u32_e32 v6, 21, v35
	v_cndmask_b32_e32 v0, v7, v0, vcc
	v_lshlrev_b64 v[6:7], v6, -1
	v_add_u32_e32 v37, 20, v35
	v_bfi_b32 v6, v6, 0, v0
	v_lshlrev_b64 v[37:38], v37, 1
	v_lshrrev_b64 v[0:1], v35, v[0:1]
	v_bfi_b32 v7, v7, 0, 0
	v_cmp_eq_u64_e64 s[40:41], v[6:7], v[37:38]
	v_mov_b32_e32 v7, v1
	v_mov_b32_e32 v6, v0
	s_and_saveexec_b64 s[50:51], s[40:41]
; %bb.10352:                            ;   in Loop: Header=BB6_9582 Depth=4
	v_bfe_u32 v1, v0, 21, 1
	v_add_co_u32_e64 v1, s[40:41], v0, v1
	v_add_co_u32_e64 v6, s[40:41], -1, v1
; %bb.10353:                            ;   in Loop: Header=BB6_9582 Depth=4
	s_or_b64 exec, exec, s[50:51]
	v_add_u32_e32 v1, 0xffffff81, v30
	v_mov_b32_e32 v7, 0xffffff82
	v_cndmask_b32_e32 v1, v1, v7, vcc
	v_lshrrev_b32_e32 v7, 23, v0
	v_add3_u32 v30, v35, v1, v7
	v_add_u32_e32 v7, 14, v30
	v_and_b32_e32 v1, 0x1fffff, v6
	v_add_u32_e32 v0, v1, v0
	v_mov_b32_e32 v1, v33
	v_cmp_ne_u32_e32 vcc, 0, v7
                                        ; implicit-def: $vgpr6
	s_and_saveexec_b64 s[40:41], vcc
	s_xor_b64 s[40:41], exec, s[40:41]
; %bb.10354:                            ;   in Loop: Header=BB6_9582 Depth=4
	v_cmp_lt_u64_e32 vcc, s[88:89], v[0:1]
	v_add_u32_e32 v6, 15, v30
	v_cndmask_b32_e32 v6, v7, v6, vcc
	v_cndmask_b32_e64 v7, 0, 1, vcc
	v_lshrrev_b64 v[0:1], v7, v[0:1]
; %bb.10355:                            ;   in Loop: Header=BB6_9582 Depth=4
	s_andn2_saveexec_b64 s[40:41], s[40:41]
; %bb.10356:                            ;   in Loop: Header=BB6_9582 Depth=4
	v_bfe_u32 v6, v0, 23, 1
; %bb.10357:                            ;   in Loop: Header=BB6_9582 Depth=4
	s_or_b64 exec, exec, s[40:41]
	v_lshrrev_b64 v[0:1], 21, v[0:1]
	v_cmp_gt_i32_e32 vcc, 32, v6
	v_cndmask_b32_e32 v1, 0, v1, vcc
	v_cndmask_b32_e32 v0, 3, v0, vcc
	v_cmp_eq_u64_e64 s[40:41], 0, v[0:1]
	v_min_i32_e32 v1, 31, v6
	v_lshlrev_b32_e32 v1, 2, v1
	v_cmp_eq_u32_e32 vcc, 0, v6
	v_and_b32_e32 v1, 0xfc, v1
	v_and_or_b32 v0, v0, 3, v1
	s_and_b64 s[40:41], vcc, s[40:41]
	v_cndmask_b32_e64 v0, v0, 0, s[40:41]
	v_or_b32_e32 v30, v0, v8
.LBB6_10358:                            ;   in Loop: Header=BB6_9582 Depth=4
	s_or_b64 exec, exec, s[48:49]
                                        ; implicit-def: $vgpr8
.LBB6_10359:                            ;   in Loop: Header=BB6_9582 Depth=4
	s_andn2_saveexec_b64 s[40:41], s[38:39]
; %bb.10360:                            ;   in Loop: Header=BB6_9582 Depth=4
	v_or_b32_e32 v30, 0x7b, v8
; %bb.10361:                            ;   in Loop: Header=BB6_9582 Depth=4
	s_or_b64 exec, exec, s[40:41]
                                        ; implicit-def: $vgpr6
                                        ; implicit-def: $vgpr0_vgpr1
.LBB6_10362:                            ;   in Loop: Header=BB6_9582 Depth=4
	s_andn2_saveexec_b64 s[40:41], s[42:43]
	s_cbranch_execz .LBB6_10368
; %bb.10363:                            ;   in Loop: Header=BB6_9582 Depth=4
	v_cmp_ne_u64_e32 vcc, 0, v[0:1]
                                        ; implicit-def: $vgpr30
	s_and_saveexec_b64 s[42:43], vcc
	s_xor_b64 s[42:43], exec, s[42:43]
; %bb.10364:                            ;   in Loop: Header=BB6_9582 Depth=4
	v_or_b32_sdwa v30, v6, s44 dst_sel:DWORD dst_unused:UNUSED_PAD src0_sel:BYTE_3 src1_sel:DWORD
                                        ; implicit-def: $vgpr6
; %bb.10365:                            ;   in Loop: Header=BB6_9582 Depth=4
	s_andn2_saveexec_b64 s[42:43], s[42:43]
; %bb.10366:                            ;   in Loop: Header=BB6_9582 Depth=4
	v_cmp_lt_i32_e32 vcc, -1, v6
	v_bfrev_b32_e32 v0, 0.5
	v_mov_b32_e32 v1, 0x7c
	v_cndmask_b32_e32 v30, v0, v1, vcc
; %bb.10367:                            ;   in Loop: Header=BB6_9582 Depth=4
	s_or_b64 exec, exec, s[42:43]
.LBB6_10368:                            ;   in Loop: Header=BB6_9582 Depth=4
	s_or_b64 exec, exec, s[40:41]
	v_and_b32_sdwa v6, v32, s96 dst_sel:DWORD dst_unused:UNUSED_PAD src0_sel:WORD_1 src1_sel:DWORD
	v_lshrrev_b32_e32 v0, 16, v32
	v_cmp_ne_u16_e32 vcc, 0, v6
	v_mov_b32_e32 v1, 0
	s_and_saveexec_b64 s[40:41], vcc
	s_cbranch_execz .LBB6_10376
; %bb.10369:                            ;   in Loop: Header=BB6_9582 Depth=4
	v_cmp_ne_u16_e32 vcc, s97, v6
	v_bfrev_b32_e32 v1, 1
	s_and_saveexec_b64 s[42:43], vcc
	s_cbranch_execz .LBB6_10375
; %bb.10370:                            ;   in Loop: Header=BB6_9582 Depth=4
	v_and_b32_e32 v1, 0x7c0000, v32
	v_bfe_u32 v6, v32, 16, 2
	v_cmp_ne_u32_e32 vcc, s45, v1
                                        ; implicit-def: $vgpr1
	s_and_saveexec_b64 s[62:63], vcc
	s_xor_b64 s[38:39], exec, s[62:63]
	s_cbranch_execz .LBB6_10372
; %bb.10371:                            ;   in Loop: Header=BB6_9582 Depth=4
	v_ffbh_u32_e32 v1, v6
	v_min_u32_e32 v8, 32, v1
	v_subrev_u32_e32 v1, 29, v8
	v_lshlrev_b64 v[0:1], v1, v[0:1]
	v_bfe_u32 v7, v32, 18, 5
	v_and_b32_e32 v0, 3, v0
	v_cmp_eq_u32_e32 vcc, 0, v7
	v_sub_u32_e32 v1, 30, v8
	v_cndmask_b32_e32 v0, v6, v0, vcc
	v_lshlrev_b32_e32 v6, 8, v32
	v_cndmask_b32_e32 v1, v7, v1, vcc
	v_and_b32_e32 v6, 0x80000000, v6
	v_lshl_add_u32 v1, v1, 23, v6
	v_lshl_or_b32 v0, v0, 21, v1
	v_add_u32_e32 v1, 0x38000000, v0
                                        ; implicit-def: $vgpr6
                                        ; implicit-def: $vgpr0
.LBB6_10372:                            ;   in Loop: Header=BB6_9582 Depth=4
	s_andn2_saveexec_b64 s[38:39], s[38:39]
; %bb.10373:                            ;   in Loop: Header=BB6_9582 Depth=4
	v_mov_b32_e32 v1, -1
	v_cmp_gt_i16_sdwa vcc, sext(v0), v1 src0_sel:BYTE_0 src1_sel:DWORD
	v_mov_b32_e32 v0, 0xff800000
	v_mov_b32_e32 v1, 0x7f800000
	v_cndmask_b32_e32 v0, v0, v1, vcc
	v_cmp_eq_u32_e32 vcc, 0, v6
	v_mov_b32_e32 v1, 0x7f800001
	v_cndmask_b32_e32 v1, v1, v0, vcc
; %bb.10374:                            ;   in Loop: Header=BB6_9582 Depth=4
	s_or_b64 exec, exec, s[38:39]
.LBB6_10375:                            ;   in Loop: Header=BB6_9582 Depth=4
	s_or_b64 exec, exec, s[42:43]
.LBB6_10376:                            ;   in Loop: Header=BB6_9582 Depth=4
	s_or_b64 exec, exec, s[40:41]
	v_lshrrev_b32_e32 v0, 16, v10
	v_cmp_gt_i16_sdwa s[42:43], v0, s44 src0_sel:BYTE_0 src1_sel:DWORD
	s_mov_b64 s[40:41], 0
	s_and_saveexec_b64 s[62:63], s[42:43]
	s_xor_b64 s[42:43], exec, s[62:63]
	s_cbranch_execz .LBB6_10575
; %bb.10377:                            ;   in Loop: Header=BB6_9582 Depth=4
	v_cmp_eq_u16_sdwa s[62:63], v0, s97 src0_sel:BYTE_0 src1_sel:DWORD
	s_mov_b64 s[40:41], -1
	s_and_saveexec_b64 vcc, s[62:63]
; %bb.10378:                            ;   in Loop: Header=BB6_9582 Depth=4
	s_xor_b64 s[40:41], exec, -1
; %bb.10379:                            ;   in Loop: Header=BB6_9582 Depth=4
	s_or_b64 exec, exec, vcc
	s_and_b64 s[40:41], s[40:41], exec
	s_or_saveexec_b64 s[42:43], s[42:43]
	v_bfrev_b32_e32 v6, 1
	s_xor_b64 exec, exec, s[42:43]
	s_cbranch_execnz .LBB6_10576
.LBB6_10380:                            ;   in Loop: Header=BB6_9582 Depth=4
	s_or_b64 exec, exec, s[42:43]
	s_and_saveexec_b64 s[38:39], s[40:41]
	s_cbranch_execz .LBB6_10382
.LBB6_10381:                            ;   in Loop: Header=BB6_9582 Depth=4
	v_and_b32_e32 v8, 3, v0
	v_and_b32_e32 v6, 0x7c0000, v10
	v_cmp_eq_u32_e32 vcc, s45, v6
	v_ffbh_u32_e32 v6, v8
	v_min_u32_e32 v37, 32, v6
	v_subrev_u32_e32 v6, 29, v37
	v_bfe_u32 v35, v10, 18, 5
	v_lshlrev_b64 v[6:7], v6, v[0:1]
	v_cmp_eq_u32_e64 s[40:41], 0, v35
	v_sub_u32_e32 v7, 30, v37
	v_cndmask_b32_e64 v7, v35, v7, s[40:41]
	v_lshlrev_b32_e32 v35, 24, v0
	v_and_b32_e32 v6, 3, v6
	v_and_b32_e32 v35, 0x80000000, v35
	v_cndmask_b32_e64 v6, v8, v6, s[40:41]
	v_lshl_add_u32 v7, v7, 23, v35
	v_lshl_or_b32 v6, v6, 21, v7
	v_mov_b32_e32 v7, -1
	v_cmp_gt_i16_sdwa s[42:43], sext(v0), v7 src0_sel:BYTE_0 src1_sel:DWORD
	v_mov_b32_e32 v0, 0xff800000
	v_mov_b32_e32 v7, 0x7f800000
	v_cmp_eq_u32_e64 s[40:41], 0, v8
	v_cndmask_b32_e64 v0, v0, v7, s[42:43]
	v_mov_b32_e32 v7, 0x7f800001
	v_add_u32_e32 v6, 0x38000000, v6
	v_cndmask_b32_e64 v0, v7, v0, s[40:41]
	v_cndmask_b32_e32 v6, v6, v0, vcc
.LBB6_10382:                            ;   in Loop: Header=BB6_9582 Depth=4
	s_or_b64 exec, exec, s[38:39]
	v_add_f32_e32 v6, v1, v6
	v_and_b32_e32 v7, 0x7f800000, v6
	v_mov_b32_e32 v8, v33
	v_cmp_ne_u64_e32 vcc, s[76:77], v[7:8]
	v_and_b32_e32 v0, 0x7fffff, v6
	v_mov_b32_e32 v1, v33
                                        ; implicit-def: $vgpr35
	s_and_saveexec_b64 s[40:41], vcc
	s_xor_b64 s[42:43], exec, s[40:41]
	s_cbranch_execz .LBB6_10396
; %bb.10383:                            ;   in Loop: Header=BB6_9582 Depth=4
	v_and_b32_e32 v7, 0x7fffffff, v6
	v_mov_b32_e32 v8, v33
	v_cmp_gt_u64_e32 vcc, s[78:79], v[7:8]
	v_and_b32_sdwa v8, v6, s97 dst_sel:DWORD dst_unused:UNUSED_PAD src0_sel:BYTE_3 src1_sel:DWORD
                                        ; implicit-def: $vgpr35
	s_and_saveexec_b64 s[40:41], vcc
	s_xor_b64 s[38:39], exec, s[40:41]
	s_cbranch_execz .LBB6_10393
; %bb.10384:                            ;   in Loop: Header=BB6_9582 Depth=4
	v_mov_b32_e32 v35, 0
	v_cmp_ne_u32_e32 vcc, 0, v6
	s_and_saveexec_b64 s[48:49], vcc
	s_cbranch_execz .LBB6_10392
; %bb.10385:                            ;   in Loop: Header=BB6_9582 Depth=4
	v_bfe_u32 v35, v6, 23, 8
	v_cmp_gt_u32_e64 s[40:41], s47, v35
	v_sub_u32_e32 v6, 0x71, v35
	v_cmp_eq_u32_e32 vcc, 0, v35
	v_cndmask_b32_e64 v6, 0, v6, s[40:41]
	v_mov_b32_e32 v37, 0x70
	v_cndmask_b32_e32 v37, v6, v37, vcc
	v_or_b32_e32 v7, 0x800000, v0
	v_add_u32_e32 v6, 21, v37
	v_cndmask_b32_e32 v0, v7, v0, vcc
	v_lshlrev_b64 v[6:7], v6, -1
	v_add_u32_e32 v38, 20, v37
	v_bfi_b32 v6, v6, 0, v0
	v_lshlrev_b64 v[38:39], v38, 1
	v_lshrrev_b64 v[0:1], v37, v[0:1]
	v_bfi_b32 v7, v7, 0, 0
	v_cmp_eq_u64_e64 s[40:41], v[6:7], v[38:39]
	v_mov_b32_e32 v7, v1
	v_mov_b32_e32 v6, v0
	s_and_saveexec_b64 s[50:51], s[40:41]
; %bb.10386:                            ;   in Loop: Header=BB6_9582 Depth=4
	v_bfe_u32 v1, v0, 21, 1
	v_add_co_u32_e64 v1, s[40:41], v0, v1
	v_add_co_u32_e64 v6, s[40:41], -1, v1
; %bb.10387:                            ;   in Loop: Header=BB6_9582 Depth=4
	s_or_b64 exec, exec, s[50:51]
	v_add_u32_e32 v1, 0xffffff81, v35
	v_mov_b32_e32 v7, 0xffffff82
	v_cndmask_b32_e32 v1, v1, v7, vcc
	v_lshrrev_b32_e32 v7, 23, v0
	v_add3_u32 v35, v37, v1, v7
	v_add_u32_e32 v7, 14, v35
	v_and_b32_e32 v1, 0x1fffff, v6
	v_add_u32_e32 v0, v1, v0
	v_mov_b32_e32 v1, v33
	v_cmp_ne_u32_e32 vcc, 0, v7
                                        ; implicit-def: $vgpr6
	s_and_saveexec_b64 s[40:41], vcc
	s_xor_b64 s[40:41], exec, s[40:41]
; %bb.10388:                            ;   in Loop: Header=BB6_9582 Depth=4
	v_cmp_lt_u64_e32 vcc, s[88:89], v[0:1]
	v_add_u32_e32 v6, 15, v35
	v_cndmask_b32_e32 v6, v7, v6, vcc
	v_cndmask_b32_e64 v7, 0, 1, vcc
	v_lshrrev_b64 v[0:1], v7, v[0:1]
; %bb.10389:                            ;   in Loop: Header=BB6_9582 Depth=4
	s_andn2_saveexec_b64 s[40:41], s[40:41]
; %bb.10390:                            ;   in Loop: Header=BB6_9582 Depth=4
	v_bfe_u32 v6, v0, 23, 1
; %bb.10391:                            ;   in Loop: Header=BB6_9582 Depth=4
	s_or_b64 exec, exec, s[40:41]
	v_lshrrev_b64 v[0:1], 21, v[0:1]
	v_cmp_gt_i32_e32 vcc, 32, v6
	v_cndmask_b32_e32 v1, 0, v1, vcc
	v_cndmask_b32_e32 v0, 3, v0, vcc
	v_cmp_eq_u64_e64 s[40:41], 0, v[0:1]
	v_min_i32_e32 v1, 31, v6
	v_lshlrev_b32_e32 v1, 2, v1
	v_cmp_eq_u32_e32 vcc, 0, v6
	v_and_b32_e32 v1, 0xfc, v1
	v_and_or_b32 v0, v0, 3, v1
	s_and_b64 s[40:41], vcc, s[40:41]
	v_cndmask_b32_e64 v0, v0, 0, s[40:41]
	v_or_b32_e32 v35, v0, v8
.LBB6_10392:                            ;   in Loop: Header=BB6_9582 Depth=4
	s_or_b64 exec, exec, s[48:49]
                                        ; implicit-def: $vgpr8
.LBB6_10393:                            ;   in Loop: Header=BB6_9582 Depth=4
	s_andn2_saveexec_b64 s[40:41], s[38:39]
; %bb.10394:                            ;   in Loop: Header=BB6_9582 Depth=4
	v_or_b32_e32 v35, 0x7b, v8
; %bb.10395:                            ;   in Loop: Header=BB6_9582 Depth=4
	s_or_b64 exec, exec, s[40:41]
                                        ; implicit-def: $vgpr6
                                        ; implicit-def: $vgpr0_vgpr1
.LBB6_10396:                            ;   in Loop: Header=BB6_9582 Depth=4
	s_andn2_saveexec_b64 s[40:41], s[42:43]
	s_cbranch_execz .LBB6_10402
; %bb.10397:                            ;   in Loop: Header=BB6_9582 Depth=4
	v_cmp_ne_u64_e32 vcc, 0, v[0:1]
                                        ; implicit-def: $vgpr35
	s_and_saveexec_b64 s[42:43], vcc
	s_xor_b64 s[42:43], exec, s[42:43]
; %bb.10398:                            ;   in Loop: Header=BB6_9582 Depth=4
	v_or_b32_sdwa v35, v6, s44 dst_sel:DWORD dst_unused:UNUSED_PAD src0_sel:BYTE_3 src1_sel:DWORD
                                        ; implicit-def: $vgpr6
; %bb.10399:                            ;   in Loop: Header=BB6_9582 Depth=4
	s_andn2_saveexec_b64 s[42:43], s[42:43]
; %bb.10400:                            ;   in Loop: Header=BB6_9582 Depth=4
	v_cmp_lt_i32_e32 vcc, -1, v6
	v_bfrev_b32_e32 v0, 0.5
	v_mov_b32_e32 v1, 0x7c
	v_cndmask_b32_e32 v35, v0, v1, vcc
; %bb.10401:                            ;   in Loop: Header=BB6_9582 Depth=4
	s_or_b64 exec, exec, s[42:43]
.LBB6_10402:                            ;   in Loop: Header=BB6_9582 Depth=4
	s_or_b64 exec, exec, s[40:41]
	v_cmp_lt_u32_e32 vcc, s57, v32
	v_mov_b32_e32 v1, 0
	s_and_saveexec_b64 s[40:41], vcc
	s_cbranch_execz .LBB6_10410
; %bb.10403:                            ;   in Loop: Header=BB6_9582 Depth=4
	v_lshrrev_b32_e32 v0, 24, v32
	v_cmp_ne_u32_e32 vcc, s97, v0
	v_bfrev_b32_e32 v1, 1
	s_and_saveexec_b64 s[42:43], vcc
	s_cbranch_execz .LBB6_10409
; %bb.10404:                            ;   in Loop: Header=BB6_9582 Depth=4
	v_and_b32_e32 v1, 0x7c000000, v32
	v_bfe_u32 v6, v32, 24, 2
	v_cmp_ne_u32_e32 vcc, s68, v1
                                        ; implicit-def: $vgpr1
	s_and_saveexec_b64 s[62:63], vcc
	s_xor_b64 s[38:39], exec, s[62:63]
	s_cbranch_execz .LBB6_10406
; %bb.10405:                            ;   in Loop: Header=BB6_9582 Depth=4
	v_ffbh_u32_e32 v1, v6
	v_min_u32_e32 v8, 32, v1
	v_subrev_u32_e32 v1, 29, v8
	v_lshlrev_b64 v[0:1], v1, v[0:1]
	v_bfe_u32 v7, v32, 26, 5
	v_sub_u32_e32 v1, 30, v8
	v_and_b32_e32 v0, 3, v0
	v_cmp_eq_u32_e32 vcc, 0, v7
	v_cndmask_b32_e32 v1, v7, v1, vcc
	v_cndmask_b32_e32 v0, v6, v0, vcc
	v_and_b32_e32 v6, 0x80000000, v32
	v_lshl_add_u32 v1, v1, 23, v6
	v_lshl_or_b32 v0, v0, 21, v1
	v_add_u32_e32 v1, 0x38000000, v0
                                        ; implicit-def: $vgpr6
.LBB6_10406:                            ;   in Loop: Header=BB6_9582 Depth=4
	s_andn2_saveexec_b64 s[38:39], s[38:39]
; %bb.10407:                            ;   in Loop: Header=BB6_9582 Depth=4
	v_cmp_lt_i32_e32 vcc, -1, v32
	v_mov_b32_e32 v0, 0xff800000
	v_mov_b32_e32 v1, 0x7f800000
	v_cndmask_b32_e32 v0, v0, v1, vcc
	v_cmp_eq_u32_e32 vcc, 0, v6
	v_mov_b32_e32 v1, 0x7f800001
	v_cndmask_b32_e32 v1, v1, v0, vcc
; %bb.10408:                            ;   in Loop: Header=BB6_9582 Depth=4
	s_or_b64 exec, exec, s[38:39]
.LBB6_10409:                            ;   in Loop: Header=BB6_9582 Depth=4
	s_or_b64 exec, exec, s[42:43]
.LBB6_10410:                            ;   in Loop: Header=BB6_9582 Depth=4
	s_or_b64 exec, exec, s[40:41]
	v_bfe_u32 v8, v10, 24, 2
	v_and_b32_e32 v6, 0x7c000000, v10
	v_cmp_eq_u32_e32 vcc, s68, v6
	v_ffbh_u32_e32 v6, v8
	v_min_u32_e32 v37, 32, v6
	v_lshrrev_b32_e32 v0, 24, v10
	v_subrev_u32_e32 v6, 29, v37
	v_bfe_u32 v32, v10, 26, 5
	v_lshlrev_b64 v[6:7], v6, v[0:1]
	v_cmp_eq_u32_e64 s[40:41], 0, v32
	v_sub_u32_e32 v7, 30, v37
	v_and_b32_e32 v6, 3, v6
	v_cndmask_b32_e64 v7, v32, v7, s[40:41]
	v_and_b32_e32 v32, 0x80000000, v10
	v_cndmask_b32_e64 v6, v8, v6, s[40:41]
	v_lshl_add_u32 v7, v7, 23, v32
	v_lshl_or_b32 v6, v6, 21, v7
	v_cmp_eq_u32_e64 s[40:41], 0, v8
	v_cmp_lt_i32_e64 s[42:43], -1, v10
	v_mov_b32_e32 v7, 0xff800000
	v_mov_b32_e32 v8, 0x7f800000
	v_cndmask_b32_e64 v7, v7, v8, s[42:43]
	v_mov_b32_e32 v8, 0x7f800001
	v_add_u32_e32 v6, 0x38000000, v6
	v_cndmask_b32_e64 v7, v8, v7, s[40:41]
	v_cndmask_b32_e32 v6, v6, v7, vcc
	v_cmp_ne_u32_e32 vcc, s97, v0
	v_bfrev_b32_e32 v0, 1
	v_cndmask_b32_e32 v0, v0, v6, vcc
	v_cmp_lt_u32_e32 vcc, s57, v10
	v_cndmask_b32_e32 v0, 0, v0, vcc
	v_add_f32_e32 v0, v0, v1
	v_and_b32_e32 v6, 0x7f800000, v0
	v_mov_b32_e32 v7, v33
	v_cmp_ne_u64_e32 vcc, s[76:77], v[6:7]
	v_and_b32_e32 v32, 0x7fffff, v0
                                        ; implicit-def: $vgpr37
	s_and_saveexec_b64 s[40:41], vcc
	s_xor_b64 s[42:43], exec, s[40:41]
	s_cbranch_execz .LBB6_10424
; %bb.10411:                            ;   in Loop: Header=BB6_9582 Depth=4
	v_and_b32_e32 v6, 0x7fffffff, v0
	v_mov_b32_e32 v7, v33
	v_cmp_gt_u64_e32 vcc, s[78:79], v[6:7]
	v_and_b32_sdwa v8, v0, s97 dst_sel:DWORD dst_unused:UNUSED_PAD src0_sel:BYTE_3 src1_sel:DWORD
                                        ; implicit-def: $vgpr37
	s_and_saveexec_b64 s[40:41], vcc
	s_xor_b64 s[38:39], exec, s[40:41]
	s_cbranch_execz .LBB6_10421
; %bb.10412:                            ;   in Loop: Header=BB6_9582 Depth=4
	v_mov_b32_e32 v37, 0
	v_cmp_ne_u32_e32 vcc, 0, v0
	s_and_saveexec_b64 s[48:49], vcc
	s_cbranch_execz .LBB6_10420
; %bb.10413:                            ;   in Loop: Header=BB6_9582 Depth=4
	v_bfe_u32 v37, v0, 23, 8
	v_cmp_gt_u32_e64 s[40:41], s47, v37
	v_sub_u32_e32 v0, 0x71, v37
	v_cmp_eq_u32_e32 vcc, 0, v37
	v_cndmask_b32_e64 v0, 0, v0, s[40:41]
	v_mov_b32_e32 v6, 0x70
	v_cndmask_b32_e32 v38, v0, v6, vcc
	v_add_u32_e32 v6, 21, v38
	v_or_b32_e32 v1, 0x800000, v32
	v_lshlrev_b64 v[6:7], v6, -1
	v_cndmask_b32_e32 v0, v1, v32, vcc
	v_mov_b32_e32 v1, v33
	v_add_u32_e32 v32, 20, v38
	v_bfi_b32 v6, v6, 0, v0
	v_lshlrev_b64 v[48:49], v32, 1
	v_lshrrev_b64 v[0:1], v38, v[0:1]
	v_bfi_b32 v7, v7, 0, 0
	v_cmp_eq_u64_e64 s[40:41], v[6:7], v[48:49]
	v_mov_b32_e32 v7, v1
	v_mov_b32_e32 v6, v0
	s_and_saveexec_b64 s[50:51], s[40:41]
; %bb.10414:                            ;   in Loop: Header=BB6_9582 Depth=4
	v_bfe_u32 v1, v0, 21, 1
	v_add_co_u32_e64 v1, s[40:41], v0, v1
	v_add_co_u32_e64 v6, s[40:41], -1, v1
; %bb.10415:                            ;   in Loop: Header=BB6_9582 Depth=4
	s_or_b64 exec, exec, s[50:51]
	v_add_u32_e32 v1, 0xffffff81, v37
	v_mov_b32_e32 v7, 0xffffff82
	v_cndmask_b32_e32 v1, v1, v7, vcc
	v_lshrrev_b32_e32 v7, 23, v0
	v_add3_u32 v37, v38, v1, v7
	v_add_u32_e32 v7, 14, v37
	v_and_b32_e32 v1, 0x1fffff, v6
	v_add_u32_e32 v32, v1, v0
	v_cmp_ne_u32_e32 vcc, 0, v7
                                        ; implicit-def: $vgpr0_vgpr1
                                        ; implicit-def: $vgpr6
	s_and_saveexec_b64 s[40:41], vcc
	s_xor_b64 s[40:41], exec, s[40:41]
; %bb.10416:                            ;   in Loop: Header=BB6_9582 Depth=4
	v_cmp_lt_u64_e32 vcc, s[88:89], v[32:33]
	v_add_u32_e32 v0, 15, v37
	v_cndmask_b32_e32 v6, v7, v0, vcc
	v_cndmask_b32_e64 v0, 0, 1, vcc
	v_lshrrev_b64 v[0:1], v0, v[32:33]
; %bb.10417:                            ;   in Loop: Header=BB6_9582 Depth=4
	s_andn2_saveexec_b64 s[40:41], s[40:41]
; %bb.10418:                            ;   in Loop: Header=BB6_9582 Depth=4
	v_mov_b32_e32 v0, v32
	v_mov_b32_e32 v1, v33
	v_bfe_u32 v6, v32, 23, 1
; %bb.10419:                            ;   in Loop: Header=BB6_9582 Depth=4
	s_or_b64 exec, exec, s[40:41]
	v_lshrrev_b64 v[0:1], 21, v[0:1]
	v_cmp_gt_i32_e32 vcc, 32, v6
	v_cndmask_b32_e32 v1, 0, v1, vcc
	v_cndmask_b32_e32 v0, 3, v0, vcc
	v_cmp_eq_u64_e64 s[40:41], 0, v[0:1]
	v_min_i32_e32 v1, 31, v6
	v_lshlrev_b32_e32 v1, 2, v1
	v_cmp_eq_u32_e32 vcc, 0, v6
	v_and_b32_e32 v1, 0xfc, v1
	v_and_or_b32 v0, v0, 3, v1
	s_and_b64 s[40:41], vcc, s[40:41]
	v_cndmask_b32_e64 v0, v0, 0, s[40:41]
	v_or_b32_e32 v37, v0, v8
.LBB6_10420:                            ;   in Loop: Header=BB6_9582 Depth=4
	s_or_b64 exec, exec, s[48:49]
                                        ; implicit-def: $vgpr8
.LBB6_10421:                            ;   in Loop: Header=BB6_9582 Depth=4
	s_andn2_saveexec_b64 s[40:41], s[38:39]
; %bb.10422:                            ;   in Loop: Header=BB6_9582 Depth=4
	v_or_b32_e32 v37, 0x7b, v8
; %bb.10423:                            ;   in Loop: Header=BB6_9582 Depth=4
	s_or_b64 exec, exec, s[40:41]
                                        ; implicit-def: $vgpr0
.LBB6_10424:                            ;   in Loop: Header=BB6_9582 Depth=4
	s_andn2_saveexec_b64 s[40:41], s[42:43]
	s_cbranch_execz .LBB6_10430
; %bb.10425:                            ;   in Loop: Header=BB6_9582 Depth=4
	v_cmp_ne_u64_e32 vcc, 0, v[32:33]
                                        ; implicit-def: $vgpr37
	s_and_saveexec_b64 s[42:43], vcc
	s_xor_b64 s[42:43], exec, s[42:43]
; %bb.10426:                            ;   in Loop: Header=BB6_9582 Depth=4
	v_or_b32_sdwa v37, v0, s44 dst_sel:DWORD dst_unused:UNUSED_PAD src0_sel:BYTE_3 src1_sel:DWORD
                                        ; implicit-def: $vgpr0
; %bb.10427:                            ;   in Loop: Header=BB6_9582 Depth=4
	s_andn2_saveexec_b64 s[42:43], s[42:43]
; %bb.10428:                            ;   in Loop: Header=BB6_9582 Depth=4
	v_cmp_lt_i32_e32 vcc, -1, v0
	v_bfrev_b32_e32 v0, 0.5
	v_mov_b32_e32 v1, 0x7c
	v_cndmask_b32_e32 v37, v0, v1, vcc
; %bb.10429:                            ;   in Loop: Header=BB6_9582 Depth=4
	s_or_b64 exec, exec, s[42:43]
.LBB6_10430:                            ;   in Loop: Header=BB6_9582 Depth=4
	s_or_b64 exec, exec, s[40:41]
	v_lshlrev_b32_e32 v0, 24, v31
	v_lshlrev_b32_e32 v1, 16, v29
	v_lshl_or_b32 v27, v27, 8, v24
	v_or3_b32 v32, v1, v0, v27
	v_cmp_ne_u32_e32 vcc, 0, v24
	v_mov_b32_e32 v6, 0
	s_and_saveexec_b64 s[42:43], vcc
	s_cbranch_execz .LBB6_10438
; %bb.10431:                            ;   in Loop: Header=BB6_9582 Depth=4
	v_cmp_ne_u32_e32 vcc, s97, v24
	v_bfrev_b32_e32 v6, 1
	s_and_saveexec_b64 s[38:39], vcc
	s_cbranch_execz .LBB6_10437
; %bb.10432:                            ;   in Loop: Header=BB6_9582 Depth=4
	v_and_b32_e32 v1, 0x7c, v24
	v_and_b32_e32 v0, 3, v24
	v_cmp_ne_u32_e32 vcc, s86, v1
                                        ; implicit-def: $vgpr6
	s_and_saveexec_b64 s[40:41], vcc
	s_xor_b64 s[40:41], exec, s[40:41]
	s_cbranch_execz .LBB6_10434
; %bb.10433:                            ;   in Loop: Header=BB6_9582 Depth=4
	v_ffbh_u32_e32 v6, v0
	v_min_u32_e32 v8, 32, v6
	v_subrev_u32_e32 v6, 29, v8
	v_lshlrev_b64 v[6:7], v6, v[32:33]
	v_bfe_u32 v1, v24, 2, 5
	v_and_b32_e32 v6, 3, v6
	v_cmp_eq_u32_e32 vcc, 0, v1
	v_sub_u32_e32 v7, 30, v8
	v_cndmask_b32_e32 v0, v0, v6, vcc
	v_lshlrev_b32_e32 v6, 24, v24
	v_cndmask_b32_e32 v1, v1, v7, vcc
	v_and_b32_e32 v6, 0x80000000, v6
	v_lshl_add_u32 v1, v1, 23, v6
	v_lshl_or_b32 v0, v0, 21, v1
	v_add_u32_e32 v6, 0x38000000, v0
                                        ; implicit-def: $vgpr0
                                        ; implicit-def: $vgpr24
.LBB6_10434:                            ;   in Loop: Header=BB6_9582 Depth=4
	s_andn2_saveexec_b64 s[48:49], s[40:41]
; %bb.10435:                            ;   in Loop: Header=BB6_9582 Depth=4
	v_cmp_eq_u32_e32 vcc, 0, v0
	v_and_b32_e32 v0, 0x80, v24
	v_cmp_eq_u32_e64 s[40:41], 0, v0
	v_mov_b32_e32 v0, 0xff800000
	v_mov_b32_e32 v1, 0x7f800000
	v_cndmask_b32_e64 v0, v0, v1, s[40:41]
	v_mov_b32_e32 v1, 0x7f800001
	v_cndmask_b32_e32 v6, v1, v0, vcc
; %bb.10436:                            ;   in Loop: Header=BB6_9582 Depth=4
	s_or_b64 exec, exec, s[48:49]
.LBB6_10437:                            ;   in Loop: Header=BB6_9582 Depth=4
	s_or_b64 exec, exec, s[38:39]
.LBB6_10438:                            ;   in Loop: Header=BB6_9582 Depth=4
	s_or_b64 exec, exec, s[42:43]
	v_cmp_gt_i16_sdwa s[42:43], v11, s44 src0_sel:BYTE_0 src1_sel:DWORD
	s_mov_b64 s[40:41], 0
	s_and_saveexec_b64 s[62:63], s[42:43]
	s_xor_b64 s[42:43], exec, s[62:63]
	s_cbranch_execz .LBB6_10442
; %bb.10439:                            ;   in Loop: Header=BB6_9582 Depth=4
	v_cmp_eq_u16_sdwa s[62:63], v11, s97 src0_sel:BYTE_0 src1_sel:DWORD
	s_mov_b64 s[40:41], -1
	s_and_saveexec_b64 vcc, s[62:63]
; %bb.10440:                            ;   in Loop: Header=BB6_9582 Depth=4
	s_xor_b64 s[40:41], exec, -1
; %bb.10441:                            ;   in Loop: Header=BB6_9582 Depth=4
	s_or_b64 exec, exec, vcc
	s_and_b64 s[40:41], s[40:41], exec
.LBB6_10442:                            ;   in Loop: Header=BB6_9582 Depth=4
	s_or_saveexec_b64 s[42:43], s[42:43]
	v_bfrev_b32_e32 v7, 1
	s_xor_b64 exec, exec, s[42:43]
; %bb.10443:                            ;   in Loop: Header=BB6_9582 Depth=4
	v_cmp_ne_u16_sdwa s[62:63], v11, v33 src0_sel:BYTE_0 src1_sel:DWORD
	s_andn2_b64 s[40:41], s[40:41], exec
	s_and_b64 s[62:63], s[62:63], exec
	v_mov_b32_e32 v7, 0
	s_or_b64 s[40:41], s[40:41], s[62:63]
; %bb.10444:                            ;   in Loop: Header=BB6_9582 Depth=4
	s_or_b64 exec, exec, s[42:43]
	v_mov_b32_e32 v0, v11
	v_mov_b32_e32 v1, v33
	s_and_saveexec_b64 s[38:39], s[40:41]
	s_cbranch_execz .LBB6_10446
; %bb.10445:                            ;   in Loop: Header=BB6_9582 Depth=4
	v_and_b32_e32 v24, 3, v11
	v_and_b32_e32 v7, 0x7c, v11
	v_cmp_eq_u32_e32 vcc, s86, v7
	v_ffbh_u32_e32 v7, v24
	v_min_u32_e32 v31, 32, v7
	v_subrev_u32_e32 v7, 29, v31
	v_bfe_u32 v29, v11, 2, 5
	v_lshlrev_b64 v[7:8], v7, v[0:1]
	v_cmp_eq_u32_e64 s[40:41], 0, v29
	v_sub_u32_e32 v1, 30, v31
	v_lshlrev_b32_e32 v8, 24, v11
	v_and_b32_e32 v7, 3, v7
	v_cndmask_b32_e64 v1, v29, v1, s[40:41]
	v_and_b32_e32 v8, 0x80000000, v8
	v_cndmask_b32_e64 v7, v24, v7, s[40:41]
	v_lshl_add_u32 v1, v1, 23, v8
	v_lshl_or_b32 v1, v7, 21, v1
	v_mov_b32_e32 v7, -1
	v_cmp_gt_i16_sdwa s[42:43], sext(v11), v7 src0_sel:BYTE_0 src1_sel:DWORD
	v_mov_b32_e32 v7, 0xff800000
	v_mov_b32_e32 v8, 0x7f800000
	v_cmp_eq_u32_e64 s[40:41], 0, v24
	v_cndmask_b32_e64 v7, v7, v8, s[42:43]
	v_mov_b32_e32 v8, 0x7f800001
	v_add_u32_e32 v1, 0x38000000, v1
	v_cndmask_b32_e64 v7, v8, v7, s[40:41]
	v_cndmask_b32_e32 v7, v1, v7, vcc
.LBB6_10446:                            ;   in Loop: Header=BB6_9582 Depth=4
	s_or_b64 exec, exec, s[38:39]
	v_add_f32_e32 v24, v6, v7
	v_and_b32_e32 v7, 0x7f800000, v24
	v_mov_b32_e32 v8, v33
	v_cmp_ne_u64_e32 vcc, s[76:77], v[7:8]
	v_and_b32_e32 v6, 0x7fffff, v24
	v_mov_b32_e32 v7, v33
                                        ; implicit-def: $vgpr8
	s_and_saveexec_b64 s[40:41], vcc
	s_xor_b64 s[42:43], exec, s[40:41]
	s_cbranch_execz .LBB6_10460
; %bb.10447:                            ;   in Loop: Header=BB6_9582 Depth=4
	v_and_b32_e32 v38, 0x7fffffff, v24
	v_mov_b32_e32 v39, v33
	v_cmp_gt_u64_e32 vcc, s[78:79], v[38:39]
	v_and_b32_sdwa v1, v24, s97 dst_sel:DWORD dst_unused:UNUSED_PAD src0_sel:BYTE_3 src1_sel:DWORD
                                        ; implicit-def: $vgpr8
	s_and_saveexec_b64 s[40:41], vcc
	s_xor_b64 s[38:39], exec, s[40:41]
	s_cbranch_execz .LBB6_10457
; %bb.10448:                            ;   in Loop: Header=BB6_9582 Depth=4
	v_mov_b32_e32 v8, 0
	v_cmp_ne_u32_e32 vcc, 0, v24
	s_and_saveexec_b64 s[48:49], vcc
	s_cbranch_execz .LBB6_10456
; %bb.10449:                            ;   in Loop: Header=BB6_9582 Depth=4
	v_bfe_u32 v24, v24, 23, 8
	v_cmp_gt_u32_e64 s[40:41], s47, v24
	v_sub_u32_e32 v8, 0x71, v24
	v_cmp_eq_u32_e32 vcc, 0, v24
	v_cndmask_b32_e64 v8, 0, v8, s[40:41]
	v_mov_b32_e32 v29, 0x70
	v_cndmask_b32_e32 v29, v8, v29, vcc
	v_add_u32_e32 v8, 21, v29
	v_or_b32_e32 v31, 0x800000, v6
	v_lshlrev_b64 v[38:39], v8, -1
	v_cndmask_b32_e32 v6, v31, v6, vcc
	v_add_u32_e32 v8, 20, v29
	v_bfi_b32 v38, v38, 0, v6
	v_lshlrev_b64 v[48:49], v8, 1
	v_lshrrev_b64 v[6:7], v29, v[6:7]
	v_bfi_b32 v39, v39, 0, 0
	v_cmp_eq_u64_e64 s[40:41], v[38:39], v[48:49]
	v_mov_b32_e32 v8, v7
	v_mov_b32_e32 v7, v6
	s_and_saveexec_b64 s[50:51], s[40:41]
; %bb.10450:                            ;   in Loop: Header=BB6_9582 Depth=4
	v_bfe_u32 v7, v6, 21, 1
	v_add_co_u32_e64 v7, s[40:41], v6, v7
	v_add_co_u32_e64 v7, s[40:41], -1, v7
; %bb.10451:                            ;   in Loop: Header=BB6_9582 Depth=4
	s_or_b64 exec, exec, s[50:51]
	v_add_u32_e32 v8, 0xffffff81, v24
	v_mov_b32_e32 v24, 0xffffff82
	v_cndmask_b32_e32 v8, v8, v24, vcc
	v_lshrrev_b32_e32 v24, 23, v6
	v_add3_u32 v29, v29, v8, v24
	v_add_u32_e32 v24, 14, v29
	v_and_b32_e32 v7, 0x1fffff, v7
	v_add_u32_e32 v6, v7, v6
	v_mov_b32_e32 v7, v33
	v_cmp_ne_u32_e32 vcc, 0, v24
                                        ; implicit-def: $vgpr8
	s_and_saveexec_b64 s[40:41], vcc
	s_xor_b64 s[40:41], exec, s[40:41]
; %bb.10452:                            ;   in Loop: Header=BB6_9582 Depth=4
	v_cmp_lt_u64_e32 vcc, s[88:89], v[6:7]
	v_add_u32_e32 v8, 15, v29
	v_cndmask_b32_e32 v8, v24, v8, vcc
	v_cndmask_b32_e64 v24, 0, 1, vcc
	v_lshrrev_b64 v[6:7], v24, v[6:7]
; %bb.10453:                            ;   in Loop: Header=BB6_9582 Depth=4
	s_andn2_saveexec_b64 s[40:41], s[40:41]
; %bb.10454:                            ;   in Loop: Header=BB6_9582 Depth=4
	v_bfe_u32 v8, v6, 23, 1
; %bb.10455:                            ;   in Loop: Header=BB6_9582 Depth=4
	s_or_b64 exec, exec, s[40:41]
	v_lshrrev_b64 v[6:7], 21, v[6:7]
	v_cmp_gt_i32_e32 vcc, 32, v8
	v_cndmask_b32_e32 v7, 0, v7, vcc
	v_cndmask_b32_e32 v6, 3, v6, vcc
	v_cmp_eq_u64_e64 s[40:41], 0, v[6:7]
	v_min_i32_e32 v7, 31, v8
	v_lshlrev_b32_e32 v7, 2, v7
	v_cmp_eq_u32_e32 vcc, 0, v8
	v_and_b32_e32 v7, 0xfc, v7
	v_and_or_b32 v6, v6, 3, v7
	s_and_b64 s[40:41], vcc, s[40:41]
	v_cndmask_b32_e64 v6, v6, 0, s[40:41]
	v_or_b32_e32 v8, v6, v1
.LBB6_10456:                            ;   in Loop: Header=BB6_9582 Depth=4
	s_or_b64 exec, exec, s[48:49]
                                        ; implicit-def: $vgpr1
.LBB6_10457:                            ;   in Loop: Header=BB6_9582 Depth=4
	s_andn2_saveexec_b64 s[40:41], s[38:39]
; %bb.10458:                            ;   in Loop: Header=BB6_9582 Depth=4
	v_or_b32_e32 v8, 0x7b, v1
; %bb.10459:                            ;   in Loop: Header=BB6_9582 Depth=4
	s_or_b64 exec, exec, s[40:41]
                                        ; implicit-def: $vgpr24
                                        ; implicit-def: $vgpr6_vgpr7
.LBB6_10460:                            ;   in Loop: Header=BB6_9582 Depth=4
	s_andn2_saveexec_b64 s[40:41], s[42:43]
	s_cbranch_execz .LBB6_10466
; %bb.10461:                            ;   in Loop: Header=BB6_9582 Depth=4
	v_cmp_ne_u64_e32 vcc, 0, v[6:7]
                                        ; implicit-def: $vgpr8
	s_and_saveexec_b64 s[42:43], vcc
	s_xor_b64 s[42:43], exec, s[42:43]
; %bb.10462:                            ;   in Loop: Header=BB6_9582 Depth=4
	v_or_b32_sdwa v8, v24, s44 dst_sel:DWORD dst_unused:UNUSED_PAD src0_sel:BYTE_3 src1_sel:DWORD
                                        ; implicit-def: $vgpr24
; %bb.10463:                            ;   in Loop: Header=BB6_9582 Depth=4
	s_andn2_saveexec_b64 s[42:43], s[42:43]
; %bb.10464:                            ;   in Loop: Header=BB6_9582 Depth=4
	v_cmp_lt_i32_e32 vcc, -1, v24
	v_bfrev_b32_e32 v1, 0.5
	v_mov_b32_e32 v6, 0x7c
	v_cndmask_b32_e32 v8, v1, v6, vcc
; %bb.10465:                            ;   in Loop: Header=BB6_9582 Depth=4
	s_or_b64 exec, exec, s[42:43]
.LBB6_10466:                            ;   in Loop: Header=BB6_9582 Depth=4
	s_or_b64 exec, exec, s[40:41]
	v_lshrrev_b16_e32 v6, 8, v27
	v_cmp_ne_u16_e32 vcc, 0, v6
	v_mov_b32_e32 v1, 0
	s_and_saveexec_b64 s[40:41], vcc
	s_cbranch_execz .LBB6_10474
; %bb.10467:                            ;   in Loop: Header=BB6_9582 Depth=4
	v_cmp_ne_u16_e32 vcc, s97, v6
	v_bfrev_b32_e32 v1, 1
	s_and_saveexec_b64 s[42:43], vcc
	s_cbranch_execz .LBB6_10473
; %bb.10468:                            ;   in Loop: Header=BB6_9582 Depth=4
	v_and_b32_e32 v1, 0x7c, v6
	v_and_b32_e32 v24, 3, v6
	v_cmp_ne_u32_e32 vcc, s86, v1
                                        ; implicit-def: $vgpr1
	s_and_saveexec_b64 s[62:63], vcc
	s_xor_b64 s[38:39], exec, s[62:63]
	s_cbranch_execz .LBB6_10470
; %bb.10469:                            ;   in Loop: Header=BB6_9582 Depth=4
	v_ffbh_u32_e32 v29, v24
	v_min_u32_e32 v29, 32, v29
	v_mov_b32_e32 v7, v33
	v_subrev_u32_e32 v31, 29, v29
	v_bfe_u32 v1, v6, 2, 5
	v_lshlrev_b64 v[6:7], v31, v[6:7]
	v_sub_u32_e32 v7, 30, v29
	v_cmp_eq_u32_e32 vcc, 0, v1
	v_cndmask_b32_e32 v1, v1, v7, vcc
	v_lshlrev_b32_e32 v7, 16, v27
	v_and_b32_e32 v6, 3, v6
	v_and_b32_e32 v7, 0x80000000, v7
	v_cndmask_b32_e32 v6, v24, v6, vcc
	v_lshl_add_u32 v1, v1, 23, v7
	v_lshl_or_b32 v1, v6, 21, v1
	v_add_u32_e32 v1, 0x38000000, v1
                                        ; implicit-def: $vgpr24
                                        ; implicit-def: $vgpr27
.LBB6_10470:                            ;   in Loop: Header=BB6_9582 Depth=4
	s_andn2_saveexec_b64 s[38:39], s[38:39]
; %bb.10471:                            ;   in Loop: Header=BB6_9582 Depth=4
	v_cmp_lt_i16_e32 vcc, -1, v27
	v_mov_b32_e32 v1, 0xff800000
	v_mov_b32_e32 v6, 0x7f800000
	v_cndmask_b32_e32 v1, v1, v6, vcc
	v_cmp_eq_u32_e32 vcc, 0, v24
	v_mov_b32_e32 v6, 0x7f800001
	v_cndmask_b32_e32 v1, v6, v1, vcc
; %bb.10472:                            ;   in Loop: Header=BB6_9582 Depth=4
	s_or_b64 exec, exec, s[38:39]
.LBB6_10473:                            ;   in Loop: Header=BB6_9582 Depth=4
	s_or_b64 exec, exec, s[42:43]
.LBB6_10474:                            ;   in Loop: Header=BB6_9582 Depth=4
	s_or_b64 exec, exec, s[40:41]
	v_lshrrev_b16_e32 v6, 8, v0
	v_cmp_lt_i16_e32 vcc, s44, v6
	s_mov_b64 s[40:41], 0
	s_and_saveexec_b64 s[42:43], vcc
	s_xor_b64 s[42:43], exec, s[42:43]
	s_cbranch_execz .LBB6_10577
; %bb.10475:                            ;   in Loop: Header=BB6_9582 Depth=4
	v_cmp_eq_u16_e32 vcc, s97, v6
	s_mov_b64 s[40:41], -1
	s_and_saveexec_b64 s[38:39], vcc
; %bb.10476:                            ;   in Loop: Header=BB6_9582 Depth=4
	s_xor_b64 s[40:41], exec, -1
; %bb.10477:                            ;   in Loop: Header=BB6_9582 Depth=4
	s_or_b64 exec, exec, s[38:39]
	s_and_b64 s[40:41], s[40:41], exec
	s_or_saveexec_b64 s[42:43], s[42:43]
	v_bfrev_b32_e32 v7, 1
	s_xor_b64 exec, exec, s[42:43]
	s_cbranch_execnz .LBB6_10578
.LBB6_10478:                            ;   in Loop: Header=BB6_9582 Depth=4
	s_or_b64 exec, exec, s[42:43]
	s_and_saveexec_b64 s[38:39], s[40:41]
	s_cbranch_execz .LBB6_10480
.LBB6_10479:                            ;   in Loop: Header=BB6_9582 Depth=4
	v_and_b32_e32 v24, 3, v6
	v_and_b32_e32 v29, 0x7c, v6
	v_cmp_eq_u32_e32 vcc, s86, v29
	v_ffbh_u32_e32 v29, v24
	v_min_u32_e32 v29, 32, v29
	v_mov_b32_e32 v7, v33
	v_subrev_u32_e32 v31, 29, v29
	v_bfe_u32 v27, v6, 2, 5
	v_lshlrev_b64 v[38:39], v31, v[6:7]
	v_cmp_eq_u32_e64 s[40:41], 0, v27
	v_sub_u32_e32 v7, 30, v29
	v_lshlrev_b32_e32 v6, 24, v6
	v_and_b32_e32 v29, 3, v38
	v_cndmask_b32_e64 v7, v27, v7, s[40:41]
	v_and_b32_e32 v6, 0x80000000, v6
	v_cndmask_b32_e64 v27, v24, v29, s[40:41]
	v_lshl_add_u32 v6, v7, 23, v6
	v_cmp_lt_i16_e64 s[42:43], -1, v0
	v_mov_b32_e32 v0, 0xff800000
	v_mov_b32_e32 v7, 0x7f800000
	v_lshl_or_b32 v6, v27, 21, v6
	v_cmp_eq_u32_e64 s[40:41], 0, v24
	v_cndmask_b32_e64 v0, v0, v7, s[42:43]
	v_mov_b32_e32 v7, 0x7f800001
	v_add_u32_e32 v6, 0x38000000, v6
	v_cndmask_b32_e64 v0, v7, v0, s[40:41]
	v_cndmask_b32_e32 v7, v6, v0, vcc
.LBB6_10480:                            ;   in Loop: Header=BB6_9582 Depth=4
	s_or_b64 exec, exec, s[38:39]
	v_add_f32_e32 v6, v1, v7
	v_and_b32_e32 v38, 0x7f800000, v6
	v_mov_b32_e32 v39, v33
	v_cmp_ne_u64_e32 vcc, s[76:77], v[38:39]
	v_and_b32_e32 v0, 0x7fffff, v6
	v_mov_b32_e32 v1, v33
                                        ; implicit-def: $vgpr24
	s_and_saveexec_b64 s[40:41], vcc
	s_xor_b64 s[42:43], exec, s[40:41]
	s_cbranch_execz .LBB6_10494
; %bb.10481:                            ;   in Loop: Header=BB6_9582 Depth=4
	v_and_b32_e32 v38, 0x7fffffff, v6
	v_mov_b32_e32 v39, v33
	v_cmp_gt_u64_e32 vcc, s[78:79], v[38:39]
	v_and_b32_sdwa v27, v6, s97 dst_sel:DWORD dst_unused:UNUSED_PAD src0_sel:BYTE_3 src1_sel:DWORD
                                        ; implicit-def: $vgpr24
	s_and_saveexec_b64 s[40:41], vcc
	s_xor_b64 s[38:39], exec, s[40:41]
	s_cbranch_execz .LBB6_10491
; %bb.10482:                            ;   in Loop: Header=BB6_9582 Depth=4
	v_mov_b32_e32 v24, 0
	v_cmp_ne_u32_e32 vcc, 0, v6
	s_and_saveexec_b64 s[48:49], vcc
	s_cbranch_execz .LBB6_10490
; %bb.10483:                            ;   in Loop: Header=BB6_9582 Depth=4
	v_bfe_u32 v24, v6, 23, 8
	v_cmp_gt_u32_e64 s[40:41], s47, v24
	v_sub_u32_e32 v6, 0x71, v24
	v_cmp_eq_u32_e32 vcc, 0, v24
	v_cndmask_b32_e64 v6, 0, v6, s[40:41]
	v_mov_b32_e32 v29, 0x70
	v_cndmask_b32_e32 v29, v6, v29, vcc
	v_or_b32_e32 v7, 0x800000, v0
	v_add_u32_e32 v6, 21, v29
	v_cndmask_b32_e32 v0, v7, v0, vcc
	v_lshlrev_b64 v[6:7], v6, -1
	v_add_u32_e32 v31, 20, v29
	v_bfi_b32 v6, v6, 0, v0
	v_lshlrev_b64 v[38:39], v31, 1
	v_lshrrev_b64 v[0:1], v29, v[0:1]
	v_bfi_b32 v7, v7, 0, 0
	v_cmp_eq_u64_e64 s[40:41], v[6:7], v[38:39]
	v_mov_b32_e32 v7, v1
	v_mov_b32_e32 v6, v0
	s_and_saveexec_b64 s[50:51], s[40:41]
; %bb.10484:                            ;   in Loop: Header=BB6_9582 Depth=4
	v_bfe_u32 v1, v0, 21, 1
	v_add_co_u32_e64 v1, s[40:41], v0, v1
	v_add_co_u32_e64 v6, s[40:41], -1, v1
; %bb.10485:                            ;   in Loop: Header=BB6_9582 Depth=4
	s_or_b64 exec, exec, s[50:51]
	v_add_u32_e32 v1, 0xffffff81, v24
	v_mov_b32_e32 v7, 0xffffff82
	v_cndmask_b32_e32 v1, v1, v7, vcc
	v_lshrrev_b32_e32 v7, 23, v0
	v_add3_u32 v24, v29, v1, v7
	v_add_u32_e32 v7, 14, v24
	v_and_b32_e32 v1, 0x1fffff, v6
	v_add_u32_e32 v0, v1, v0
	v_mov_b32_e32 v1, v33
	v_cmp_ne_u32_e32 vcc, 0, v7
                                        ; implicit-def: $vgpr6
	s_and_saveexec_b64 s[40:41], vcc
	s_xor_b64 s[40:41], exec, s[40:41]
; %bb.10486:                            ;   in Loop: Header=BB6_9582 Depth=4
	v_cmp_lt_u64_e32 vcc, s[88:89], v[0:1]
	v_add_u32_e32 v6, 15, v24
	v_cndmask_b32_e32 v6, v7, v6, vcc
	v_cndmask_b32_e64 v7, 0, 1, vcc
	v_lshrrev_b64 v[0:1], v7, v[0:1]
; %bb.10487:                            ;   in Loop: Header=BB6_9582 Depth=4
	s_andn2_saveexec_b64 s[40:41], s[40:41]
; %bb.10488:                            ;   in Loop: Header=BB6_9582 Depth=4
	v_bfe_u32 v6, v0, 23, 1
; %bb.10489:                            ;   in Loop: Header=BB6_9582 Depth=4
	s_or_b64 exec, exec, s[40:41]
	v_lshrrev_b64 v[0:1], 21, v[0:1]
	v_cmp_gt_i32_e32 vcc, 32, v6
	v_cndmask_b32_e32 v1, 0, v1, vcc
	v_cndmask_b32_e32 v0, 3, v0, vcc
	v_cmp_eq_u64_e64 s[40:41], 0, v[0:1]
	v_min_i32_e32 v1, 31, v6
	v_lshlrev_b32_e32 v1, 2, v1
	v_cmp_eq_u32_e32 vcc, 0, v6
	v_and_b32_e32 v1, 0xfc, v1
	v_and_or_b32 v0, v0, 3, v1
	s_and_b64 s[40:41], vcc, s[40:41]
	v_cndmask_b32_e64 v0, v0, 0, s[40:41]
	v_or_b32_e32 v24, v0, v27
.LBB6_10490:                            ;   in Loop: Header=BB6_9582 Depth=4
	s_or_b64 exec, exec, s[48:49]
                                        ; implicit-def: $vgpr27
.LBB6_10491:                            ;   in Loop: Header=BB6_9582 Depth=4
	s_andn2_saveexec_b64 s[40:41], s[38:39]
; %bb.10492:                            ;   in Loop: Header=BB6_9582 Depth=4
	v_or_b32_e32 v24, 0x7b, v27
; %bb.10493:                            ;   in Loop: Header=BB6_9582 Depth=4
	s_or_b64 exec, exec, s[40:41]
                                        ; implicit-def: $vgpr6
                                        ; implicit-def: $vgpr0_vgpr1
.LBB6_10494:                            ;   in Loop: Header=BB6_9582 Depth=4
	s_andn2_saveexec_b64 s[40:41], s[42:43]
	s_cbranch_execz .LBB6_10500
; %bb.10495:                            ;   in Loop: Header=BB6_9582 Depth=4
	v_cmp_ne_u64_e32 vcc, 0, v[0:1]
                                        ; implicit-def: $vgpr24
	s_and_saveexec_b64 s[42:43], vcc
	s_xor_b64 s[42:43], exec, s[42:43]
; %bb.10496:                            ;   in Loop: Header=BB6_9582 Depth=4
	v_or_b32_sdwa v24, v6, s44 dst_sel:DWORD dst_unused:UNUSED_PAD src0_sel:BYTE_3 src1_sel:DWORD
                                        ; implicit-def: $vgpr6
; %bb.10497:                            ;   in Loop: Header=BB6_9582 Depth=4
	s_andn2_saveexec_b64 s[42:43], s[42:43]
; %bb.10498:                            ;   in Loop: Header=BB6_9582 Depth=4
	v_cmp_lt_i32_e32 vcc, -1, v6
	v_bfrev_b32_e32 v0, 0.5
	v_mov_b32_e32 v1, 0x7c
	v_cndmask_b32_e32 v24, v0, v1, vcc
; %bb.10499:                            ;   in Loop: Header=BB6_9582 Depth=4
	s_or_b64 exec, exec, s[42:43]
.LBB6_10500:                            ;   in Loop: Header=BB6_9582 Depth=4
	s_or_b64 exec, exec, s[40:41]
	v_and_b32_sdwa v6, v32, s96 dst_sel:DWORD dst_unused:UNUSED_PAD src0_sel:WORD_1 src1_sel:DWORD
	v_lshrrev_b32_e32 v0, 16, v32
	v_cmp_ne_u16_e32 vcc, 0, v6
	v_mov_b32_e32 v1, 0
	s_and_saveexec_b64 s[40:41], vcc
	s_cbranch_execz .LBB6_10508
; %bb.10501:                            ;   in Loop: Header=BB6_9582 Depth=4
	v_cmp_ne_u16_e32 vcc, s97, v6
	v_bfrev_b32_e32 v1, 1
	s_and_saveexec_b64 s[42:43], vcc
	s_cbranch_execz .LBB6_10507
; %bb.10502:                            ;   in Loop: Header=BB6_9582 Depth=4
	v_and_b32_e32 v1, 0x7c0000, v32
	v_bfe_u32 v6, v32, 16, 2
	v_cmp_ne_u32_e32 vcc, s45, v1
                                        ; implicit-def: $vgpr1
	s_and_saveexec_b64 s[62:63], vcc
	s_xor_b64 s[38:39], exec, s[62:63]
	s_cbranch_execz .LBB6_10504
; %bb.10503:                            ;   in Loop: Header=BB6_9582 Depth=4
	v_ffbh_u32_e32 v1, v6
	v_min_u32_e32 v27, 32, v1
	v_subrev_u32_e32 v1, 29, v27
	v_lshlrev_b64 v[0:1], v1, v[0:1]
	v_bfe_u32 v7, v32, 18, 5
	v_and_b32_e32 v0, 3, v0
	v_cmp_eq_u32_e32 vcc, 0, v7
	v_sub_u32_e32 v1, 30, v27
	v_cndmask_b32_e32 v0, v6, v0, vcc
	v_lshlrev_b32_e32 v6, 8, v32
	v_cndmask_b32_e32 v1, v7, v1, vcc
	v_and_b32_e32 v6, 0x80000000, v6
	v_lshl_add_u32 v1, v1, 23, v6
	v_lshl_or_b32 v0, v0, 21, v1
	v_add_u32_e32 v1, 0x38000000, v0
                                        ; implicit-def: $vgpr6
                                        ; implicit-def: $vgpr0
.LBB6_10504:                            ;   in Loop: Header=BB6_9582 Depth=4
	s_andn2_saveexec_b64 s[38:39], s[38:39]
; %bb.10505:                            ;   in Loop: Header=BB6_9582 Depth=4
	v_mov_b32_e32 v1, -1
	v_cmp_gt_i16_sdwa vcc, sext(v0), v1 src0_sel:BYTE_0 src1_sel:DWORD
	v_mov_b32_e32 v0, 0xff800000
	v_mov_b32_e32 v1, 0x7f800000
	v_cndmask_b32_e32 v0, v0, v1, vcc
	v_cmp_eq_u32_e32 vcc, 0, v6
	v_mov_b32_e32 v1, 0x7f800001
	v_cndmask_b32_e32 v1, v1, v0, vcc
; %bb.10506:                            ;   in Loop: Header=BB6_9582 Depth=4
	s_or_b64 exec, exec, s[38:39]
.LBB6_10507:                            ;   in Loop: Header=BB6_9582 Depth=4
	s_or_b64 exec, exec, s[42:43]
.LBB6_10508:                            ;   in Loop: Header=BB6_9582 Depth=4
	s_or_b64 exec, exec, s[40:41]
	v_lshrrev_b32_e32 v0, 16, v11
	v_cmp_gt_i16_sdwa s[42:43], v0, s44 src0_sel:BYTE_0 src1_sel:DWORD
	s_mov_b64 s[40:41], 0
	s_and_saveexec_b64 s[62:63], s[42:43]
	s_xor_b64 s[42:43], exec, s[62:63]
	s_cbranch_execz .LBB6_10579
; %bb.10509:                            ;   in Loop: Header=BB6_9582 Depth=4
	v_cmp_eq_u16_sdwa s[62:63], v0, s97 src0_sel:BYTE_0 src1_sel:DWORD
	s_mov_b64 s[40:41], -1
	s_and_saveexec_b64 vcc, s[62:63]
; %bb.10510:                            ;   in Loop: Header=BB6_9582 Depth=4
	s_xor_b64 s[40:41], exec, -1
; %bb.10511:                            ;   in Loop: Header=BB6_9582 Depth=4
	s_or_b64 exec, exec, vcc
	s_and_b64 s[40:41], s[40:41], exec
	s_or_saveexec_b64 s[42:43], s[42:43]
	v_bfrev_b32_e32 v6, 1
	s_xor_b64 exec, exec, s[42:43]
	s_cbranch_execnz .LBB6_10580
.LBB6_10512:                            ;   in Loop: Header=BB6_9582 Depth=4
	s_or_b64 exec, exec, s[42:43]
	s_and_saveexec_b64 s[38:39], s[40:41]
	s_cbranch_execz .LBB6_10514
.LBB6_10513:                            ;   in Loop: Header=BB6_9582 Depth=4
	v_and_b32_e32 v27, 3, v0
	v_and_b32_e32 v6, 0x7c0000, v11
	v_cmp_eq_u32_e32 vcc, s45, v6
	v_ffbh_u32_e32 v6, v27
	v_min_u32_e32 v31, 32, v6
	v_subrev_u32_e32 v6, 29, v31
	v_bfe_u32 v29, v11, 18, 5
	v_lshlrev_b64 v[6:7], v6, v[0:1]
	v_cmp_eq_u32_e64 s[40:41], 0, v29
	v_sub_u32_e32 v7, 30, v31
	v_cndmask_b32_e64 v7, v29, v7, s[40:41]
	v_lshlrev_b32_e32 v29, 24, v0
	v_and_b32_e32 v6, 3, v6
	v_and_b32_e32 v29, 0x80000000, v29
	v_cndmask_b32_e64 v6, v27, v6, s[40:41]
	v_lshl_add_u32 v7, v7, 23, v29
	v_lshl_or_b32 v6, v6, 21, v7
	v_mov_b32_e32 v7, -1
	v_cmp_gt_i16_sdwa s[42:43], sext(v0), v7 src0_sel:BYTE_0 src1_sel:DWORD
	v_mov_b32_e32 v0, 0xff800000
	v_mov_b32_e32 v7, 0x7f800000
	v_cmp_eq_u32_e64 s[40:41], 0, v27
	v_cndmask_b32_e64 v0, v0, v7, s[42:43]
	v_mov_b32_e32 v7, 0x7f800001
	v_add_u32_e32 v6, 0x38000000, v6
	v_cndmask_b32_e64 v0, v7, v0, s[40:41]
	v_cndmask_b32_e32 v6, v6, v0, vcc
.LBB6_10514:                            ;   in Loop: Header=BB6_9582 Depth=4
	s_or_b64 exec, exec, s[38:39]
	v_add_f32_e32 v6, v1, v6
	v_and_b32_e32 v38, 0x7f800000, v6
	v_mov_b32_e32 v39, v33
	v_cmp_ne_u64_e32 vcc, s[76:77], v[38:39]
	v_and_b32_e32 v0, 0x7fffff, v6
	v_mov_b32_e32 v1, v33
                                        ; implicit-def: $vgpr27
	s_and_saveexec_b64 s[40:41], vcc
	s_xor_b64 s[42:43], exec, s[40:41]
	s_cbranch_execz .LBB6_10528
; %bb.10515:                            ;   in Loop: Header=BB6_9582 Depth=4
	v_and_b32_e32 v38, 0x7fffffff, v6
	v_mov_b32_e32 v39, v33
	v_cmp_gt_u64_e32 vcc, s[78:79], v[38:39]
	v_and_b32_sdwa v29, v6, s97 dst_sel:DWORD dst_unused:UNUSED_PAD src0_sel:BYTE_3 src1_sel:DWORD
                                        ; implicit-def: $vgpr27
	s_and_saveexec_b64 s[40:41], vcc
	s_xor_b64 s[38:39], exec, s[40:41]
	s_cbranch_execz .LBB6_10525
; %bb.10516:                            ;   in Loop: Header=BB6_9582 Depth=4
	v_mov_b32_e32 v27, 0
	v_cmp_ne_u32_e32 vcc, 0, v6
	s_and_saveexec_b64 s[48:49], vcc
	s_cbranch_execz .LBB6_10524
; %bb.10517:                            ;   in Loop: Header=BB6_9582 Depth=4
	v_bfe_u32 v27, v6, 23, 8
	v_cmp_gt_u32_e64 s[40:41], s47, v27
	v_sub_u32_e32 v6, 0x71, v27
	v_cmp_eq_u32_e32 vcc, 0, v27
	v_cndmask_b32_e64 v6, 0, v6, s[40:41]
	v_mov_b32_e32 v31, 0x70
	v_cndmask_b32_e32 v31, v6, v31, vcc
	v_or_b32_e32 v7, 0x800000, v0
	v_add_u32_e32 v6, 21, v31
	v_cndmask_b32_e32 v0, v7, v0, vcc
	v_lshlrev_b64 v[6:7], v6, -1
	v_add_u32_e32 v38, 20, v31
	v_bfi_b32 v6, v6, 0, v0
	v_lshlrev_b64 v[38:39], v38, 1
	v_lshrrev_b64 v[0:1], v31, v[0:1]
	v_bfi_b32 v7, v7, 0, 0
	v_cmp_eq_u64_e64 s[40:41], v[6:7], v[38:39]
	v_mov_b32_e32 v7, v1
	v_mov_b32_e32 v6, v0
	s_and_saveexec_b64 s[50:51], s[40:41]
; %bb.10518:                            ;   in Loop: Header=BB6_9582 Depth=4
	v_bfe_u32 v1, v0, 21, 1
	v_add_co_u32_e64 v1, s[40:41], v0, v1
	v_add_co_u32_e64 v6, s[40:41], -1, v1
; %bb.10519:                            ;   in Loop: Header=BB6_9582 Depth=4
	s_or_b64 exec, exec, s[50:51]
	v_add_u32_e32 v1, 0xffffff81, v27
	v_mov_b32_e32 v7, 0xffffff82
	v_cndmask_b32_e32 v1, v1, v7, vcc
	v_lshrrev_b32_e32 v7, 23, v0
	v_add3_u32 v27, v31, v1, v7
	v_add_u32_e32 v7, 14, v27
	v_and_b32_e32 v1, 0x1fffff, v6
	v_add_u32_e32 v0, v1, v0
	v_mov_b32_e32 v1, v33
	v_cmp_ne_u32_e32 vcc, 0, v7
                                        ; implicit-def: $vgpr6
	s_and_saveexec_b64 s[40:41], vcc
	s_xor_b64 s[40:41], exec, s[40:41]
; %bb.10520:                            ;   in Loop: Header=BB6_9582 Depth=4
	v_cmp_lt_u64_e32 vcc, s[88:89], v[0:1]
	v_add_u32_e32 v6, 15, v27
	v_cndmask_b32_e32 v6, v7, v6, vcc
	v_cndmask_b32_e64 v7, 0, 1, vcc
	v_lshrrev_b64 v[0:1], v7, v[0:1]
; %bb.10521:                            ;   in Loop: Header=BB6_9582 Depth=4
	s_andn2_saveexec_b64 s[40:41], s[40:41]
; %bb.10522:                            ;   in Loop: Header=BB6_9582 Depth=4
	v_bfe_u32 v6, v0, 23, 1
; %bb.10523:                            ;   in Loop: Header=BB6_9582 Depth=4
	s_or_b64 exec, exec, s[40:41]
	v_lshrrev_b64 v[0:1], 21, v[0:1]
	v_cmp_gt_i32_e32 vcc, 32, v6
	v_cndmask_b32_e32 v1, 0, v1, vcc
	v_cndmask_b32_e32 v0, 3, v0, vcc
	v_cmp_eq_u64_e64 s[40:41], 0, v[0:1]
	v_min_i32_e32 v1, 31, v6
	v_lshlrev_b32_e32 v1, 2, v1
	v_cmp_eq_u32_e32 vcc, 0, v6
	v_and_b32_e32 v1, 0xfc, v1
	v_and_or_b32 v0, v0, 3, v1
	s_and_b64 s[40:41], vcc, s[40:41]
	v_cndmask_b32_e64 v0, v0, 0, s[40:41]
	v_or_b32_e32 v27, v0, v29
.LBB6_10524:                            ;   in Loop: Header=BB6_9582 Depth=4
	s_or_b64 exec, exec, s[48:49]
                                        ; implicit-def: $vgpr29
.LBB6_10525:                            ;   in Loop: Header=BB6_9582 Depth=4
	s_andn2_saveexec_b64 s[40:41], s[38:39]
; %bb.10526:                            ;   in Loop: Header=BB6_9582 Depth=4
	v_or_b32_e32 v27, 0x7b, v29
; %bb.10527:                            ;   in Loop: Header=BB6_9582 Depth=4
	s_or_b64 exec, exec, s[40:41]
                                        ; implicit-def: $vgpr6
                                        ; implicit-def: $vgpr0_vgpr1
.LBB6_10528:                            ;   in Loop: Header=BB6_9582 Depth=4
	s_andn2_saveexec_b64 s[40:41], s[42:43]
	s_cbranch_execz .LBB6_10534
; %bb.10529:                            ;   in Loop: Header=BB6_9582 Depth=4
	v_cmp_ne_u64_e32 vcc, 0, v[0:1]
                                        ; implicit-def: $vgpr27
	s_and_saveexec_b64 s[42:43], vcc
	s_xor_b64 s[42:43], exec, s[42:43]
; %bb.10530:                            ;   in Loop: Header=BB6_9582 Depth=4
	v_or_b32_sdwa v27, v6, s44 dst_sel:DWORD dst_unused:UNUSED_PAD src0_sel:BYTE_3 src1_sel:DWORD
                                        ; implicit-def: $vgpr6
; %bb.10531:                            ;   in Loop: Header=BB6_9582 Depth=4
	s_andn2_saveexec_b64 s[42:43], s[42:43]
; %bb.10532:                            ;   in Loop: Header=BB6_9582 Depth=4
	v_cmp_lt_i32_e32 vcc, -1, v6
	v_bfrev_b32_e32 v0, 0.5
	v_mov_b32_e32 v1, 0x7c
	v_cndmask_b32_e32 v27, v0, v1, vcc
; %bb.10533:                            ;   in Loop: Header=BB6_9582 Depth=4
	s_or_b64 exec, exec, s[42:43]
.LBB6_10534:                            ;   in Loop: Header=BB6_9582 Depth=4
	s_or_b64 exec, exec, s[40:41]
	v_cmp_lt_u32_e32 vcc, s57, v32
	v_mov_b32_e32 v1, 0
	s_and_saveexec_b64 s[40:41], vcc
	s_cbranch_execz .LBB6_10542
; %bb.10535:                            ;   in Loop: Header=BB6_9582 Depth=4
	v_lshrrev_b32_e32 v0, 24, v32
	v_cmp_ne_u32_e32 vcc, s97, v0
	v_bfrev_b32_e32 v1, 1
	s_and_saveexec_b64 s[42:43], vcc
	s_cbranch_execz .LBB6_10541
; %bb.10536:                            ;   in Loop: Header=BB6_9582 Depth=4
	v_and_b32_e32 v1, 0x7c000000, v32
	v_bfe_u32 v6, v32, 24, 2
	v_cmp_ne_u32_e32 vcc, s68, v1
                                        ; implicit-def: $vgpr1
	s_and_saveexec_b64 s[62:63], vcc
	s_xor_b64 s[38:39], exec, s[62:63]
	s_cbranch_execz .LBB6_10538
; %bb.10537:                            ;   in Loop: Header=BB6_9582 Depth=4
	v_ffbh_u32_e32 v1, v6
	v_min_u32_e32 v29, 32, v1
	v_subrev_u32_e32 v1, 29, v29
	v_lshlrev_b64 v[0:1], v1, v[0:1]
	v_bfe_u32 v7, v32, 26, 5
	v_sub_u32_e32 v1, 30, v29
	v_and_b32_e32 v0, 3, v0
	v_cmp_eq_u32_e32 vcc, 0, v7
	v_cndmask_b32_e32 v1, v7, v1, vcc
	v_cndmask_b32_e32 v0, v6, v0, vcc
	v_and_b32_e32 v6, 0x80000000, v32
	v_lshl_add_u32 v1, v1, 23, v6
	v_lshl_or_b32 v0, v0, 21, v1
	v_add_u32_e32 v1, 0x38000000, v0
                                        ; implicit-def: $vgpr6
.LBB6_10538:                            ;   in Loop: Header=BB6_9582 Depth=4
	s_andn2_saveexec_b64 s[38:39], s[38:39]
; %bb.10539:                            ;   in Loop: Header=BB6_9582 Depth=4
	v_cmp_lt_i32_e32 vcc, -1, v32
	v_mov_b32_e32 v0, 0xff800000
	v_mov_b32_e32 v1, 0x7f800000
	v_cndmask_b32_e32 v0, v0, v1, vcc
	v_cmp_eq_u32_e32 vcc, 0, v6
	v_mov_b32_e32 v1, 0x7f800001
	v_cndmask_b32_e32 v1, v1, v0, vcc
; %bb.10540:                            ;   in Loop: Header=BB6_9582 Depth=4
	s_or_b64 exec, exec, s[38:39]
.LBB6_10541:                            ;   in Loop: Header=BB6_9582 Depth=4
	s_or_b64 exec, exec, s[42:43]
.LBB6_10542:                            ;   in Loop: Header=BB6_9582 Depth=4
	s_or_b64 exec, exec, s[40:41]
	v_bfe_u32 v29, v11, 24, 2
	v_and_b32_e32 v6, 0x7c000000, v11
	v_cmp_eq_u32_e32 vcc, s68, v6
	v_ffbh_u32_e32 v6, v29
	v_min_u32_e32 v32, 32, v6
	v_lshrrev_b32_e32 v0, 24, v11
	v_subrev_u32_e32 v6, 29, v32
	v_bfe_u32 v31, v11, 26, 5
	v_lshlrev_b64 v[6:7], v6, v[0:1]
	v_cmp_eq_u32_e64 s[40:41], 0, v31
	v_sub_u32_e32 v7, 30, v32
	v_and_b32_e32 v6, 3, v6
	v_cndmask_b32_e64 v7, v31, v7, s[40:41]
	v_and_b32_e32 v31, 0x80000000, v11
	v_cndmask_b32_e64 v6, v29, v6, s[40:41]
	v_lshl_add_u32 v7, v7, 23, v31
	v_cmp_lt_i64_e64 s[42:43], -1, v[10:11]
	v_lshl_or_b32 v6, v6, 21, v7
	v_cmp_eq_u32_e64 s[40:41], 0, v29
	v_mov_b32_e32 v7, 0xff800000
	v_mov_b32_e32 v29, 0x7f800000
	v_cndmask_b32_e64 v7, v7, v29, s[42:43]
	v_mov_b32_e32 v29, 0x7f800001
	v_add_u32_e32 v6, 0x38000000, v6
	v_cndmask_b32_e64 v7, v29, v7, s[40:41]
	v_cndmask_b32_e32 v6, v6, v7, vcc
	v_cmp_ne_u32_e32 vcc, s97, v0
	v_bfrev_b32_e32 v0, 1
	v_cndmask_b32_e32 v0, v0, v6, vcc
	v_cmp_lt_u64_e32 vcc, s[56:57], v[10:11]
	v_mov_b32_e32 v7, v33
	v_cndmask_b32_e32 v0, 0, v0, vcc
	v_add_f32_e32 v1, v0, v1
	v_and_b32_e32 v6, 0x7f800000, v1
	v_cmp_ne_u64_e32 vcc, s[76:77], v[6:7]
	v_and_b32_e32 v32, 0x7fffff, v1
                                        ; implicit-def: $vgpr0
	s_and_saveexec_b64 s[40:41], vcc
	s_xor_b64 s[42:43], exec, s[40:41]
	s_cbranch_execz .LBB6_10556
; %bb.10543:                            ;   in Loop: Header=BB6_9582 Depth=4
	v_and_b32_e32 v6, 0x7fffffff, v1
	v_mov_b32_e32 v7, v33
	v_cmp_gt_u64_e32 vcc, s[78:79], v[6:7]
	v_and_b32_sdwa v10, v1, s97 dst_sel:DWORD dst_unused:UNUSED_PAD src0_sel:BYTE_3 src1_sel:DWORD
                                        ; implicit-def: $vgpr0
	s_and_saveexec_b64 s[40:41], vcc
	s_xor_b64 s[38:39], exec, s[40:41]
	s_cbranch_execz .LBB6_10553
; %bb.10544:                            ;   in Loop: Header=BB6_9582 Depth=4
	v_mov_b32_e32 v0, 0
	v_cmp_ne_u32_e32 vcc, 0, v1
	s_and_saveexec_b64 s[48:49], vcc
	s_cbranch_execz .LBB6_10552
; %bb.10545:                            ;   in Loop: Header=BB6_9582 Depth=4
	v_bfe_u32 v11, v1, 23, 8
	v_cmp_gt_u32_e64 s[40:41], s47, v11
	v_sub_u32_e32 v0, 0x71, v11
	v_cmp_eq_u32_e32 vcc, 0, v11
	v_cndmask_b32_e64 v0, 0, v0, s[40:41]
	v_mov_b32_e32 v6, 0x70
	v_cndmask_b32_e32 v29, v0, v6, vcc
	v_add_u32_e32 v6, 21, v29
	v_or_b32_e32 v1, 0x800000, v32
	v_lshlrev_b64 v[6:7], v6, -1
	v_cndmask_b32_e32 v0, v1, v32, vcc
	v_mov_b32_e32 v1, v33
	v_add_u32_e32 v31, 20, v29
	v_bfi_b32 v6, v6, 0, v0
	v_lshlrev_b64 v[31:32], v31, 1
	v_lshrrev_b64 v[0:1], v29, v[0:1]
	v_bfi_b32 v7, v7, 0, 0
	v_cmp_eq_u64_e64 s[40:41], v[6:7], v[31:32]
	v_mov_b32_e32 v7, v1
	v_mov_b32_e32 v6, v0
	s_and_saveexec_b64 s[50:51], s[40:41]
; %bb.10546:                            ;   in Loop: Header=BB6_9582 Depth=4
	v_bfe_u32 v1, v0, 21, 1
	v_add_co_u32_e64 v1, s[40:41], v0, v1
	v_add_co_u32_e64 v6, s[40:41], -1, v1
; %bb.10547:                            ;   in Loop: Header=BB6_9582 Depth=4
	s_or_b64 exec, exec, s[50:51]
	v_add_u32_e32 v1, 0xffffff81, v11
	v_mov_b32_e32 v7, 0xffffff82
	v_cndmask_b32_e32 v1, v1, v7, vcc
	v_lshrrev_b32_e32 v7, 23, v0
	v_add3_u32 v11, v29, v1, v7
	v_add_u32_e32 v7, 14, v11
	v_and_b32_e32 v1, 0x1fffff, v6
	v_add_u32_e32 v32, v1, v0
	v_cmp_ne_u32_e32 vcc, 0, v7
                                        ; implicit-def: $vgpr0_vgpr1
                                        ; implicit-def: $vgpr6
	s_and_saveexec_b64 s[40:41], vcc
	s_xor_b64 s[40:41], exec, s[40:41]
; %bb.10548:                            ;   in Loop: Header=BB6_9582 Depth=4
	v_cmp_lt_u64_e32 vcc, s[88:89], v[32:33]
	v_add_u32_e32 v0, 15, v11
	v_cndmask_b32_e32 v6, v7, v0, vcc
	v_cndmask_b32_e64 v0, 0, 1, vcc
	v_lshrrev_b64 v[0:1], v0, v[32:33]
; %bb.10549:                            ;   in Loop: Header=BB6_9582 Depth=4
	s_andn2_saveexec_b64 s[40:41], s[40:41]
; %bb.10550:                            ;   in Loop: Header=BB6_9582 Depth=4
	v_mov_b32_e32 v0, v32
	v_mov_b32_e32 v1, v33
	v_bfe_u32 v6, v32, 23, 1
; %bb.10551:                            ;   in Loop: Header=BB6_9582 Depth=4
	s_or_b64 exec, exec, s[40:41]
	v_lshrrev_b64 v[0:1], 21, v[0:1]
	v_cmp_gt_i32_e32 vcc, 32, v6
	v_cndmask_b32_e32 v1, 0, v1, vcc
	v_cndmask_b32_e32 v0, 3, v0, vcc
	v_cmp_eq_u64_e64 s[40:41], 0, v[0:1]
	v_min_i32_e32 v1, 31, v6
	v_lshlrev_b32_e32 v1, 2, v1
	v_cmp_eq_u32_e32 vcc, 0, v6
	v_and_b32_e32 v1, 0xfc, v1
	v_and_or_b32 v0, v0, 3, v1
	s_and_b64 s[40:41], vcc, s[40:41]
	v_cndmask_b32_e64 v0, v0, 0, s[40:41]
	v_or_b32_e32 v0, v0, v10
.LBB6_10552:                            ;   in Loop: Header=BB6_9582 Depth=4
	s_or_b64 exec, exec, s[48:49]
                                        ; implicit-def: $vgpr10
.LBB6_10553:                            ;   in Loop: Header=BB6_9582 Depth=4
	s_andn2_saveexec_b64 s[40:41], s[38:39]
; %bb.10554:                            ;   in Loop: Header=BB6_9582 Depth=4
	v_or_b32_e32 v0, 0x7b, v10
; %bb.10555:                            ;   in Loop: Header=BB6_9582 Depth=4
	s_or_b64 exec, exec, s[40:41]
                                        ; implicit-def: $vgpr1
.LBB6_10556:                            ;   in Loop: Header=BB6_9582 Depth=4
	s_andn2_saveexec_b64 s[40:41], s[42:43]
	s_cbranch_execz .LBB6_9581
; %bb.10557:                            ;   in Loop: Header=BB6_9582 Depth=4
	v_cmp_ne_u64_e32 vcc, 0, v[32:33]
                                        ; implicit-def: $vgpr0
	s_and_saveexec_b64 s[42:43], vcc
	s_xor_b64 s[42:43], exec, s[42:43]
; %bb.10558:                            ;   in Loop: Header=BB6_9582 Depth=4
	v_or_b32_sdwa v0, v1, s44 dst_sel:DWORD dst_unused:UNUSED_PAD src0_sel:BYTE_3 src1_sel:DWORD
                                        ; implicit-def: $vgpr1
; %bb.10559:                            ;   in Loop: Header=BB6_9582 Depth=4
	s_andn2_saveexec_b64 s[42:43], s[42:43]
	s_cbranch_execz .LBB6_9580
; %bb.10560:                            ;   in Loop: Header=BB6_9582 Depth=4
	v_cmp_lt_i32_e32 vcc, -1, v1
	v_bfrev_b32_e32 v0, 0.5
	v_mov_b32_e32 v1, 0x7c
	v_cndmask_b32_e32 v0, v0, v1, vcc
	s_branch .LBB6_9580
.LBB6_10561:                            ;   in Loop: Header=BB6_9582 Depth=4
	s_or_saveexec_b64 s[42:43], s[42:43]
	v_bfrev_b32_e32 v1, 1
	s_xor_b64 exec, exec, s[42:43]
	s_cbranch_execz .LBB6_10050
.LBB6_10562:                            ;   in Loop: Header=BB6_9582 Depth=4
	v_cmp_ne_u16_sdwa s[62:63], v8, v33 src0_sel:BYTE_0 src1_sel:DWORD
	s_andn2_b64 s[40:41], s[40:41], exec
	s_and_b64 s[62:63], s[62:63], exec
	v_mov_b32_e32 v1, 0
	s_or_b64 s[40:41], s[40:41], s[62:63]
	s_or_b64 exec, exec, s[42:43]
	s_and_saveexec_b64 s[38:39], s[40:41]
	s_cbranch_execnz .LBB6_10051
	s_branch .LBB6_10052
.LBB6_10563:                            ;   in Loop: Header=BB6_9582 Depth=4
	s_or_saveexec_b64 s[42:43], s[42:43]
	v_bfrev_b32_e32 v1, 1
	s_xor_b64 exec, exec, s[42:43]
	s_cbranch_execz .LBB6_10084
.LBB6_10564:                            ;   in Loop: Header=BB6_9582 Depth=4
	v_cmp_ne_u16_e32 vcc, 0, v0
	s_andn2_b64 s[40:41], s[40:41], exec
	s_and_b64 s[62:63], vcc, exec
	v_mov_b32_e32 v1, 0
	s_or_b64 s[40:41], s[40:41], s[62:63]
	s_or_b64 exec, exec, s[42:43]
	s_and_saveexec_b64 s[38:39], s[40:41]
	s_cbranch_execnz .LBB6_10085
	s_branch .LBB6_10086
.LBB6_10565:                            ;   in Loop: Header=BB6_9582 Depth=4
	s_or_saveexec_b64 s[42:43], s[42:43]
	v_bfrev_b32_e32 v6, 1
	s_xor_b64 exec, exec, s[42:43]
	s_cbranch_execz .LBB6_10118
.LBB6_10566:                            ;   in Loop: Header=BB6_9582 Depth=4
	v_cmp_ne_u16_sdwa s[62:63], v0, v33 src0_sel:BYTE_0 src1_sel:DWORD
	s_andn2_b64 s[40:41], s[40:41], exec
	s_and_b64 s[62:63], s[62:63], exec
	v_mov_b32_e32 v6, 0
	s_or_b64 s[40:41], s[40:41], s[62:63]
	s_or_b64 exec, exec, s[42:43]
	s_and_saveexec_b64 s[38:39], s[40:41]
	s_cbranch_execnz .LBB6_10119
	s_branch .LBB6_10120
.LBB6_10567:                            ;   in Loop: Header=BB6_9582 Depth=4
	s_or_saveexec_b64 s[42:43], s[42:43]
	v_bfrev_b32_e32 v7, 1
	s_xor_b64 exec, exec, s[42:43]
	s_cbranch_execz .LBB6_10216
.LBB6_10568:                            ;   in Loop: Header=BB6_9582 Depth=4
	v_cmp_ne_u16_e32 vcc, 0, v6
	s_andn2_b64 s[40:41], s[40:41], exec
	s_and_b64 s[62:63], vcc, exec
	v_mov_b32_e32 v7, 0
	s_or_b64 s[40:41], s[40:41], s[62:63]
	s_or_b64 exec, exec, s[42:43]
	s_and_saveexec_b64 s[38:39], s[40:41]
	s_cbranch_execnz .LBB6_10217
	s_branch .LBB6_10218
.LBB6_10569:                            ;   in Loop: Header=BB6_9582 Depth=4
	s_or_saveexec_b64 s[42:43], s[42:43]
	v_bfrev_b32_e32 v6, 1
	s_xor_b64 exec, exec, s[42:43]
	s_cbranch_execz .LBB6_10250
.LBB6_10570:                            ;   in Loop: Header=BB6_9582 Depth=4
	v_cmp_ne_u16_sdwa s[62:63], v0, v33 src0_sel:BYTE_0 src1_sel:DWORD
	s_andn2_b64 s[40:41], s[40:41], exec
	s_and_b64 s[62:63], s[62:63], exec
	v_mov_b32_e32 v6, 0
	s_or_b64 s[40:41], s[40:41], s[62:63]
	s_or_b64 exec, exec, s[42:43]
	s_and_saveexec_b64 s[38:39], s[40:41]
	s_cbranch_execnz .LBB6_10251
	s_branch .LBB6_10252
.LBB6_10571:                            ;   in Loop: Header=BB6_9582 Depth=4
	s_or_saveexec_b64 s[42:43], s[42:43]
	v_bfrev_b32_e32 v1, 1
	s_xor_b64 exec, exec, s[42:43]
	s_cbranch_execz .LBB6_10312
.LBB6_10572:                            ;   in Loop: Header=BB6_9582 Depth=4
	v_cmp_ne_u16_sdwa s[62:63], v10, v33 src0_sel:BYTE_0 src1_sel:DWORD
	s_andn2_b64 s[40:41], s[40:41], exec
	s_and_b64 s[62:63], s[62:63], exec
	v_mov_b32_e32 v1, 0
	s_or_b64 s[40:41], s[40:41], s[62:63]
	s_or_b64 exec, exec, s[42:43]
	s_and_saveexec_b64 s[38:39], s[40:41]
	s_cbranch_execnz .LBB6_10313
	s_branch .LBB6_10314
.LBB6_10573:                            ;   in Loop: Header=BB6_9582 Depth=4
	s_or_saveexec_b64 s[42:43], s[42:43]
	v_bfrev_b32_e32 v1, 1
	s_xor_b64 exec, exec, s[42:43]
	s_cbranch_execz .LBB6_10346
.LBB6_10574:                            ;   in Loop: Header=BB6_9582 Depth=4
	v_cmp_ne_u16_e32 vcc, 0, v0
	s_andn2_b64 s[40:41], s[40:41], exec
	s_and_b64 s[62:63], vcc, exec
	v_mov_b32_e32 v1, 0
	s_or_b64 s[40:41], s[40:41], s[62:63]
	s_or_b64 exec, exec, s[42:43]
	s_and_saveexec_b64 s[38:39], s[40:41]
	s_cbranch_execnz .LBB6_10347
	s_branch .LBB6_10348
.LBB6_10575:                            ;   in Loop: Header=BB6_9582 Depth=4
	s_or_saveexec_b64 s[42:43], s[42:43]
	v_bfrev_b32_e32 v6, 1
	s_xor_b64 exec, exec, s[42:43]
	s_cbranch_execz .LBB6_10380
.LBB6_10576:                            ;   in Loop: Header=BB6_9582 Depth=4
	v_cmp_ne_u16_sdwa s[62:63], v0, v33 src0_sel:BYTE_0 src1_sel:DWORD
	s_andn2_b64 s[40:41], s[40:41], exec
	s_and_b64 s[62:63], s[62:63], exec
	v_mov_b32_e32 v6, 0
	s_or_b64 s[40:41], s[40:41], s[62:63]
	s_or_b64 exec, exec, s[42:43]
	s_and_saveexec_b64 s[38:39], s[40:41]
	s_cbranch_execnz .LBB6_10381
	s_branch .LBB6_10382
.LBB6_10577:                            ;   in Loop: Header=BB6_9582 Depth=4
	s_or_saveexec_b64 s[42:43], s[42:43]
	v_bfrev_b32_e32 v7, 1
	s_xor_b64 exec, exec, s[42:43]
	s_cbranch_execz .LBB6_10478
.LBB6_10578:                            ;   in Loop: Header=BB6_9582 Depth=4
	v_cmp_ne_u16_e32 vcc, 0, v6
	s_andn2_b64 s[40:41], s[40:41], exec
	s_and_b64 s[62:63], vcc, exec
	v_mov_b32_e32 v7, 0
	s_or_b64 s[40:41], s[40:41], s[62:63]
	s_or_b64 exec, exec, s[42:43]
	s_and_saveexec_b64 s[38:39], s[40:41]
	s_cbranch_execnz .LBB6_10479
	s_branch .LBB6_10480
.LBB6_10579:                            ;   in Loop: Header=BB6_9582 Depth=4
	s_or_saveexec_b64 s[42:43], s[42:43]
	v_bfrev_b32_e32 v6, 1
	s_xor_b64 exec, exec, s[42:43]
	s_cbranch_execz .LBB6_10512
.LBB6_10580:                            ;   in Loop: Header=BB6_9582 Depth=4
	v_cmp_ne_u16_sdwa s[62:63], v0, v33 src0_sel:BYTE_0 src1_sel:DWORD
	s_andn2_b64 s[40:41], s[40:41], exec
	s_and_b64 s[62:63], s[62:63], exec
	v_mov_b32_e32 v6, 0
	s_or_b64 s[40:41], s[40:41], s[62:63]
	s_or_b64 exec, exec, s[42:43]
	s_and_saveexec_b64 s[38:39], s[40:41]
	s_cbranch_execnz .LBB6_10513
	s_branch .LBB6_10514
.LBB6_10581:                            ;   in Loop: Header=BB6_5390 Depth=3
	s_or_b64 exec, exec, s[36:37]
.LBB6_10582:                            ;   in Loop: Header=BB6_5390 Depth=3
	s_or_b64 exec, exec, s[34:35]
	buffer_load_dword v0, off, s[0:3], s33 offset:452 ; 4-byte Folded Reload
	v_cmp_lt_i32_e32 vcc, 0, v20
	s_waitcnt vmcnt(0)
	v_and_b32_e32 v0, 15, v0
	v_sub_u32_e32 v1, v19, v0
	v_cndmask_b32_e64 v5, v19, v0, s[28:29]
	buffer_load_dword v0, off, s[0:3], s33 offset:284 ; 4-byte Folded Reload
	v_cndmask_b32_e64 v1, 0, v1, s[28:29]
	v_add3_u32 v4, v18, v16, v1
	s_waitcnt vmcnt(0)
	v_cndmask_b32_e32 v0, 0, v0, vcc
	v_sub_u32_e32 v0, v0, v20
	v_cmp_ne_u32_e32 vcc, 0, v5
	v_lshl_add_u32 v2, v0, 6, v17
	s_and_b64 s[28:29], vcc, exec
.LBB6_10583:                            ;   in Loop: Header=BB6_5390 Depth=3
	s_or_b64 exec, exec, s[30:31]
	s_and_saveexec_b64 s[40:41], s[28:29]
	s_cbranch_execz .LBB6_12980
.LBB6_10584:                            ;   in Loop: Header=BB6_5390 Depth=3
	s_waitcnt vmcnt(1)
	v_ashrrev_i32_e32 v0, 31, v2
	v_ashrrev_i32_e32 v1, 31, v5
	v_lshrrev_b32_e32 v0, 26, v0
	v_lshrrev_b32_e32 v1, 21, v1
	v_add_u32_e32 v0, v2, v0
	v_add_u32_e32 v1, v5, v1
	v_ashrrev_i32_e32 v3, 6, v0
	v_ashrrev_i32_e32 v1, 11, v1
	v_sub_u32_e32 v34, v1, v3
	v_cmp_lt_i32_e32 vcc, 0, v34
	s_and_saveexec_b64 s[42:43], vcc
	s_cbranch_execz .LBB6_12898
; %bb.10585:                            ;   in Loop: Header=BB6_5390 Depth=3
	v_and_b32_e32 v0, 0xffffffc0, v0
	buffer_store_dword v1, off, s[0:3], s33 offset:308 ; 4-byte Folded Spill
	buffer_store_dword v5, off, s[0:3], s33 offset:296 ; 4-byte Folded Spill
	v_sub_u32_e32 v0, v2, v0
	v_lshlrev_b32_e32 v1, 11, v3
	buffer_store_dword v2, off, s[0:3], s33 offset:300 ; 4-byte Folded Spill
	buffer_store_dword v3, off, s[0:3], s33 offset:304 ; 4-byte Folded Spill
	;; [unrolled: 1-line block ×3, first 2 shown]
	v_add3_u32 v2, v4, v0, v1
	s_trap 2
	ds_read_b64 v[0:1], v0
	v_ashrrev_i32_e32 v3, 31, v2
	v_add_co_u32_e32 v8, vcc, v2, v53
	v_addc_co_u32_e32 v9, vcc, v3, v54, vcc
	s_waitcnt lgkmcnt(0)
	v_add_co_u32_e32 v10, vcc, v0, v2
	v_addc_co_u32_e32 v11, vcc, v1, v3, vcc
	v_add_co_u32_e32 v0, vcc, 0x7c0, v51
	v_addc_co_u32_e32 v1, vcc, 0, v52, vcc
	;; [unrolled: 2-line block ×3, first 2 shown]
	s_mov_b64 s[30:31], 0
	s_branch .LBB6_10588
.LBB6_10586:                            ;   in Loop: Header=BB6_10588 Depth=4
	s_or_b64 exec, exec, s[34:35]
.LBB6_10587:                            ;   in Loop: Header=BB6_10588 Depth=4
	s_or_b64 exec, exec, s[28:29]
	v_add_co_u32_e32 v53, vcc, 0xfffff840, v12
	v_addc_co_u32_e32 v54, vcc, -1, v13, vcc
	v_add_co_u32_e32 v51, vcc, 0xfffff880, v12
	flat_store_byte v[53:54], v52 glc slc
	v_addc_co_u32_e32 v52, vcc, -1, v13, vcc
	flat_store_byte v[51:52], v37 glc slc
	v_add_co_u32_e32 v51, vcc, 0xfffff8c0, v12
	v_addc_co_u32_e32 v52, vcc, -1, v13, vcc
	v_add_co_u32_e32 v37, vcc, 0xfffff900, v12
	flat_store_byte v[51:52], v38 glc slc
	v_addc_co_u32_e32 v38, vcc, -1, v13, vcc
	flat_store_byte v[37:38], v35 glc slc
	;; [unrolled: 6-line block ×3, first 2 shown]
	v_add_co_u32_e32 v35, vcc, 0xfffff9c0, v12
	v_addc_co_u32_e32 v36, vcc, -1, v13, vcc
	flat_store_byte v[35:36], v49 glc slc
	v_add_co_u32_e32 v35, vcc, 0xfffffa00, v12
	v_addc_co_u32_e32 v36, vcc, -1, v13, vcc
	flat_store_byte v[35:36], v17 glc slc
	;; [unrolled: 3-line block ×3, first 2 shown]
	v_add_co_u32_e32 v35, vcc, 0xfffffa80, v12
	v_addc_co_u32_e32 v36, vcc, -1, v13, vcc
	v_add_co_u32_e32 v2, vcc, 0xfffffac0, v12
	flat_store_byte v[35:36], v3 glc slc
	v_addc_co_u32_e32 v3, vcc, -1, v13, vcc
	flat_store_byte v[2:3], v4 glc slc
	v_add_co_u32_e32 v2, vcc, 0xfffffb00, v12
	v_addc_co_u32_e32 v3, vcc, -1, v13, vcc
	flat_store_byte v[2:3], v24 glc slc
	v_add_co_u32_e32 v2, vcc, 0xfffffb40, v12
	v_addc_co_u32_e32 v3, vcc, -1, v13, vcc
	flat_store_byte v[2:3], v23 glc slc
	v_add_co_u32_e32 v2, vcc, 0xfffffb80, v12
	v_addc_co_u32_e32 v3, vcc, -1, v13, vcc
	flat_store_byte v[2:3], v25 glc slc
	v_add_co_u32_e32 v2, vcc, 0xfffffbc0, v12
	v_addc_co_u32_e32 v3, vcc, -1, v13, vcc
	flat_store_byte v[2:3], v31 glc slc
	v_add_co_u32_e32 v2, vcc, s82, v12
	v_addc_co_u32_e32 v3, vcc, -1, v13, vcc
	flat_store_byte v[2:3], v30 glc slc
	v_add_co_u32_e32 v2, vcc, 0xfffffc40, v12
	v_addc_co_u32_e32 v3, vcc, -1, v13, vcc
	flat_store_byte v[2:3], v29 glc slc
	v_add_co_u32_e32 v2, vcc, 0xfffffc80, v12
	v_addc_co_u32_e32 v3, vcc, -1, v13, vcc
	flat_store_byte v[2:3], v28 glc slc
	v_add_co_u32_e32 v2, vcc, 0xfffffcc0, v12
	v_addc_co_u32_e32 v3, vcc, -1, v13, vcc
	flat_store_byte v[2:3], v22 glc slc
	v_add_co_u32_e32 v2, vcc, 0xfffffd00, v12
	v_addc_co_u32_e32 v3, vcc, -1, v13, vcc
	flat_store_byte v[2:3], v21 glc slc
	v_add_co_u32_e32 v2, vcc, 0xfffffd40, v12
	v_addc_co_u32_e32 v3, vcc, -1, v13, vcc
	flat_store_byte v[2:3], v20 glc slc
	v_add_co_u32_e32 v2, vcc, 0xfffffd80, v12
	v_addc_co_u32_e32 v3, vcc, -1, v13, vcc
	flat_store_byte v[2:3], v18 glc slc
	v_add_co_u32_e32 v2, vcc, 0xfffffdc0, v12
	v_addc_co_u32_e32 v3, vcc, -1, v13, vcc
	flat_store_byte v[2:3], v16 glc slc
	v_add_co_u32_e32 v2, vcc, 0xfffffe00, v12
	v_addc_co_u32_e32 v3, vcc, -1, v13, vcc
	flat_store_byte v[2:3], v14 glc slc
	v_add_co_u32_e32 v2, vcc, 0xfffffe40, v12
	v_addc_co_u32_e32 v3, vcc, -1, v13, vcc
	flat_store_byte v[2:3], v15 glc slc
	v_add_co_u32_e32 v2, vcc, 0xfffffe80, v12
	v_addc_co_u32_e32 v3, vcc, -1, v13, vcc
	flat_store_byte v[2:3], v19 glc slc
	v_add_co_u32_e32 v2, vcc, 0xfffffec0, v12
	v_addc_co_u32_e32 v3, vcc, -1, v13, vcc
	flat_store_byte v[2:3], v39 glc slc
	v_add_co_u32_e32 v2, vcc, 0xffffff00, v12
	v_addc_co_u32_e32 v3, vcc, -1, v13, vcc
	flat_store_byte v[2:3], v6 glc slc
	v_add_co_u32_e32 v2, vcc, 0xffffff40, v12
	v_addc_co_u32_e32 v3, vcc, -1, v13, vcc
	flat_store_byte v[2:3], v7 glc slc
	v_add_co_u32_e32 v2, vcc, s46, v12
	v_addc_co_u32_e32 v3, vcc, -1, v13, vcc
	flat_store_byte v[2:3], v50 glc slc
	v_add_co_u32_e32 v2, vcc, s8, v12
	v_addc_co_u32_e32 v3, vcc, -1, v13, vcc
	flat_store_byte v[2:3], v26 glc slc
	flat_store_byte v[12:13], v1 glc slc
	buffer_load_dword v1, off, s[0:3], s33 offset:396 ; 4-byte Folded Reload
	s_nop 0
	buffer_load_dword v0, off, s[0:3], s33 offset:284 ; 4-byte Folded Reload
	s_waitcnt vmcnt(0)
	v_add_co_u32_e32 v8, vcc, v8, v1
	v_addc_co_u32_e32 v9, vcc, 0, v9, vcc
	v_add_co_u32_e32 v10, vcc, v10, v1
	v_addc_co_u32_e32 v11, vcc, 0, v11, vcc
	v_sub_u32_e32 v34, v34, v0
	v_cmp_gt_i32_e32 vcc, 1, v34
	s_or_b64 s[30:31], vcc, s[30:31]
	v_add_co_u32_e32 v12, vcc, v12, v1
	v_addc_co_u32_e32 v13, vcc, 0, v13, vcc
	s_andn2_b64 exec, exec, s[30:31]
	s_cbranch_execz .LBB6_12897
.LBB6_10588:                            ;   Parent Loop BB6_47 Depth=1
                                        ;     Parent Loop BB6_5387 Depth=2
                                        ;       Parent Loop BB6_5390 Depth=3
                                        ; =>      This Inner Loop Header: Depth=4
	s_trap 2
	ds_read_b64 v[0:1], v0
	v_mov_b32_e32 v4, 0
	s_waitcnt lgkmcnt(0)
	v_cmp_eq_u32_sdwa s[62:63], v0, v33 src0_sel:BYTE_0 src1_sel:DWORD
	v_readfirstlane_b32 s28, v0
	v_readfirstlane_b32 s29, v1
	v_mov_b32_e32 v1, 0
	s_and_b64 vcc, exec, s[62:63]
	s_cbranch_vccnz .LBB6_10594
; %bb.10589:                            ;   in Loop: Header=BB6_10588 Depth=4
	s_bfe_i32 s63, s28, 0x80000
	s_and_b32 s62, 0xffff, s63
	s_cmpk_eq_u32 s62, 0xff80
	v_bfrev_b32_e32 v4, 1
	s_cbranch_scc1 .LBB6_10594
; %bb.10590:                            ;   in Loop: Header=BB6_10588 Depth=4
	s_and_b32 s62, s28, 3
	s_and_b32 s34, s28, 0x7c
	s_mov_b64 vcc, -1
	s_cmpk_lg_i32 s34, 0x7c
	s_sext_i32_i16 s63, s63
                                        ; implicit-def: $sgpr34
	s_cbranch_scc0 .LBB6_10592
; %bb.10591:                            ;   in Loop: Header=BB6_10588 Depth=4
	s_flbit_i32_b32 vcc_hi, s62
	s_min_u32 vcc_hi, vcc_hi, 32
	s_sub_i32 s34, vcc_hi, 29
	s_bfe_u32 vcc_lo, s28, 0x50002
	s_lshl_b64 s[28:29], s[28:29], s34
	s_sub_i32 s29, 30, vcc_hi
	s_and_b32 s28, s28, 3
	s_cmp_eq_u32 vcc_lo, 0
	s_cselect_b32 s29, s29, vcc_lo
	s_cselect_b32 s28, s28, s62
	s_and_b32 vcc_lo, s63, 0x80000000
	s_lshl_b32 s29, s29, 23
	s_add_i32 s29, s29, vcc_lo
	s_lshl_b32 s28, s28, 21
	s_or_b32 s28, s29, s28
	s_add_i32 s34, s28, 0x38000000
	s_mov_b64 vcc, 0
.LBB6_10592:                            ;   in Loop: Header=BB6_10588 Depth=4
	s_andn2_b64 vcc, exec, vcc
	v_mov_b32_e32 v4, s34
	s_cbranch_vccnz .LBB6_10594
; %bb.10593:                            ;   in Loop: Header=BB6_10588 Depth=4
	s_cmp_eq_u32 s62, 0
	s_cselect_b64 vcc, -1, 0
	s_cmp_gt_i32 s63, -1
	s_cselect_b64 s[28:29], -1, 0
	v_mov_b32_e32 v0, 0xff800000
	v_mov_b32_e32 v2, 0x7f800000
	v_cndmask_b32_e64 v0, v0, v2, s[28:29]
	v_mov_b32_e32 v2, 0x7f800001
	v_cndmask_b32_e32 v4, v2, v0, vcc
.LBB6_10594:                            ;   in Loop: Header=BB6_10588 Depth=4
	flat_load_sbyte v0, v[8:9] glc slc
	s_waitcnt vmcnt(0) lgkmcnt(0)
	v_cmp_ne_u16_e32 vcc, 0, v0
	s_and_saveexec_b64 s[28:29], vcc
	s_cbranch_execz .LBB6_10602
; %bb.10595:                            ;   in Loop: Header=BB6_10588 Depth=4
	v_cmp_ne_u16_e32 vcc, s46, v0
	v_bfrev_b32_e32 v1, 1
	s_and_saveexec_b64 s[34:35], vcc
	s_cbranch_execz .LBB6_10601
; %bb.10596:                            ;   in Loop: Header=BB6_10588 Depth=4
	v_and_b32_e32 v1, 0x7c, v0
	v_and_b32_e32 v2, 3, v0
	v_cmp_ne_u32_e32 vcc, s86, v1
                                        ; implicit-def: $vgpr1
	s_and_saveexec_b64 s[62:63], vcc
	s_xor_b64 s[36:37], exec, s[62:63]
	s_cbranch_execz .LBB6_10598
; %bb.10597:                            ;   in Loop: Header=BB6_10588 Depth=4
	v_ffbh_u32_e32 v5, v2
	v_min_u32_e32 v7, 32, v5
	v_and_b32_e32 v3, 0xff, v0
	v_mov_b32_e32 v1, v33
	v_subrev_u32_e32 v5, 29, v7
	v_bfe_u32 v3, v3, 2, 5
	v_lshlrev_b64 v[5:6], v5, v[0:1]
	v_sub_u32_e32 v1, 30, v7
	v_cmp_eq_u32_e32 vcc, 0, v3
	v_and_b32_e32 v5, 3, v5
	v_cndmask_b32_e32 v1, v3, v1, vcc
	v_and_b32_sdwa v0, sext(v0), s87 dst_sel:DWORD dst_unused:UNUSED_PAD src0_sel:WORD_0 src1_sel:DWORD
	v_cndmask_b32_e32 v2, v2, v5, vcc
	v_lshl_add_u32 v0, v1, 23, v0
	v_lshl_or_b32 v0, v2, 21, v0
	v_add_u32_e32 v1, 0x38000000, v0
                                        ; implicit-def: $vgpr2
                                        ; implicit-def: $vgpr0
.LBB6_10598:                            ;   in Loop: Header=BB6_10588 Depth=4
	s_andn2_saveexec_b64 s[36:37], s[36:37]
; %bb.10599:                            ;   in Loop: Header=BB6_10588 Depth=4
	v_cmp_lt_i16_e32 vcc, -1, v0
	v_mov_b32_e32 v0, 0xff800000
	v_mov_b32_e32 v1, 0x7f800000
	v_cndmask_b32_e32 v0, v0, v1, vcc
	v_cmp_eq_u32_e32 vcc, 0, v2
	v_mov_b32_e32 v1, 0x7f800001
	v_cndmask_b32_e32 v1, v1, v0, vcc
; %bb.10600:                            ;   in Loop: Header=BB6_10588 Depth=4
	s_or_b64 exec, exec, s[36:37]
.LBB6_10601:                            ;   in Loop: Header=BB6_10588 Depth=4
	s_or_b64 exec, exec, s[34:35]
.LBB6_10602:                            ;   in Loop: Header=BB6_10588 Depth=4
	s_or_b64 exec, exec, s[28:29]
	v_mul_f32_e32 v0, v4, v1
	v_and_b32_e32 v1, 0x7f800000, v0
	v_mov_b32_e32 v2, v33
	v_cmp_ne_u64_e32 vcc, s[76:77], v[1:2]
	v_and_b32_e32 v32, 0x7fffff, v0
                                        ; implicit-def: $vgpr51
	s_and_saveexec_b64 s[28:29], vcc
	s_xor_b64 s[34:35], exec, s[28:29]
	s_cbranch_execz .LBB6_10620
; %bb.10603:                            ;   in Loop: Header=BB6_10588 Depth=4
	v_and_b32_e32 v1, 0x7fffffff, v0
	v_mov_b32_e32 v2, v33
	v_cmp_gt_u64_e32 vcc, s[78:79], v[1:2]
	v_and_b32_sdwa v3, v0, s97 dst_sel:DWORD dst_unused:UNUSED_PAD src0_sel:BYTE_3 src1_sel:DWORD
                                        ; implicit-def: $vgpr51
	s_and_saveexec_b64 s[28:29], vcc
	s_xor_b64 s[36:37], exec, s[28:29]
	s_cbranch_execz .LBB6_10617
; %bb.10604:                            ;   in Loop: Header=BB6_10588 Depth=4
	v_cmp_ne_u32_e32 vcc, 0, v0
	v_mov_b32_e32 v51, 0
	s_and_saveexec_b64 s[38:39], vcc
	s_cbranch_execz .LBB6_10616
; %bb.10605:                            ;   in Loop: Header=BB6_10588 Depth=4
	v_bfe_u32 v5, v0, 23, 8
	v_cmp_gt_u32_e64 s[28:29], s47, v5
	v_sub_u32_e32 v0, 0x71, v5
	v_cmp_eq_u32_e32 vcc, 0, v5
	v_cndmask_b32_e64 v0, 0, v0, s[28:29]
	v_mov_b32_e32 v2, 0x70
	v_cndmask_b32_e32 v6, v0, v2, vcc
	v_add_u32_e32 v2, 21, v6
	v_or_b32_e32 v1, 0x800000, v32
	v_lshlrev_b64 v[14:15], v2, -1
	v_cndmask_b32_e32 v0, v1, v32, vcc
	v_mov_b32_e32 v1, v33
	v_add_u32_e32 v2, 20, v6
	v_bfi_b32 v14, v14, 0, v0
	v_lshlrev_b64 v[16:17], v2, 1
	v_lshrrev_b64 v[0:1], v6, v[0:1]
	v_bfi_b32 v15, v15, 0, 0
	v_cmp_eq_u64_e64 s[28:29], v[14:15], v[16:17]
	v_mov_b32_e32 v2, v1
	v_mov_b32_e32 v1, v0
	s_and_saveexec_b64 s[48:49], s[28:29]
; %bb.10606:                            ;   in Loop: Header=BB6_10588 Depth=4
	v_bfe_u32 v1, v0, 21, 1
	v_add_co_u32_e64 v1, s[28:29], v0, v1
	v_add_co_u32_e64 v1, s[28:29], -1, v1
; %bb.10607:                            ;   in Loop: Header=BB6_10588 Depth=4
	s_or_b64 exec, exec, s[48:49]
	v_add_u32_e32 v2, 0xffffff81, v5
	v_mov_b32_e32 v5, 0xffffff82
	v_cndmask_b32_e32 v2, v2, v5, vcc
	v_lshrrev_b32_e32 v5, 23, v0
	v_add3_u32 v6, v6, v2, v5
	v_add_u32_e32 v5, 14, v6
	v_and_b32_e32 v1, 0x1fffff, v1
	v_add_u32_e32 v32, v1, v0
	v_cmp_ne_u32_e32 vcc, 0, v5
                                        ; implicit-def: $vgpr0_vgpr1
                                        ; implicit-def: $vgpr2
	s_and_saveexec_b64 s[28:29], vcc
	s_xor_b64 s[28:29], exec, s[28:29]
; %bb.10608:                            ;   in Loop: Header=BB6_10588 Depth=4
	v_cmp_lt_u64_e32 vcc, s[88:89], v[32:33]
	v_add_u32_e32 v0, 15, v6
	v_cndmask_b32_e32 v2, v5, v0, vcc
	v_cndmask_b32_e64 v0, 0, 1, vcc
	v_lshrrev_b64 v[0:1], v0, v[32:33]
; %bb.10609:                            ;   in Loop: Header=BB6_10588 Depth=4
	s_andn2_saveexec_b64 s[28:29], s[28:29]
; %bb.10610:                            ;   in Loop: Header=BB6_10588 Depth=4
	v_mov_b32_e32 v0, v32
	v_mov_b32_e32 v1, v33
	v_bfe_u32 v2, v32, 23, 1
; %bb.10611:                            ;   in Loop: Header=BB6_10588 Depth=4
	s_or_b64 exec, exec, s[28:29]
	v_lshrrev_b64 v[0:1], 21, v[0:1]
	v_cmp_gt_i32_e32 vcc, 32, v2
	v_cndmask_b32_e32 v1, 0, v1, vcc
	v_cndmask_b32_e32 v0, 3, v0, vcc
	v_cmp_ne_u64_e32 vcc, 0, v[0:1]
	v_cmp_ne_u32_e64 s[28:29], 0, v2
	s_or_b64 s[28:29], s[28:29], vcc
                                        ; implicit-def: $vgpr51
	s_and_saveexec_b64 s[62:63], s[28:29]
	s_xor_b64 s[28:29], exec, s[62:63]
; %bb.10612:                            ;   in Loop: Header=BB6_10588 Depth=4
	v_min_i32_e32 v1, 31, v2
	v_lshl_or_b32 v1, v1, 2, v3
	v_and_or_b32 v51, v0, 3, v1
                                        ; implicit-def: $vgpr3
; %bb.10613:                            ;   in Loop: Header=BB6_10588 Depth=4
	s_andn2_saveexec_b64 s[28:29], s[28:29]
; %bb.10614:                            ;   in Loop: Header=BB6_10588 Depth=4
	v_mov_b32_e32 v51, v3
; %bb.10615:                            ;   in Loop: Header=BB6_10588 Depth=4
	s_or_b64 exec, exec, s[28:29]
.LBB6_10616:                            ;   in Loop: Header=BB6_10588 Depth=4
	s_or_b64 exec, exec, s[38:39]
                                        ; implicit-def: $vgpr3
.LBB6_10617:                            ;   in Loop: Header=BB6_10588 Depth=4
	s_andn2_saveexec_b64 s[28:29], s[36:37]
; %bb.10618:                            ;   in Loop: Header=BB6_10588 Depth=4
	v_or_b32_e32 v51, 0x7b, v3
; %bb.10619:                            ;   in Loop: Header=BB6_10588 Depth=4
	s_or_b64 exec, exec, s[28:29]
                                        ; implicit-def: $vgpr0
.LBB6_10620:                            ;   in Loop: Header=BB6_10588 Depth=4
	s_andn2_saveexec_b64 s[28:29], s[34:35]
	s_cbranch_execz .LBB6_10626
; %bb.10621:                            ;   in Loop: Header=BB6_10588 Depth=4
	v_cmp_ne_u64_e32 vcc, 0, v[32:33]
                                        ; implicit-def: $vgpr51
	s_and_saveexec_b64 s[62:63], vcc
	s_xor_b64 vcc, exec, s[62:63]
; %bb.10622:                            ;   in Loop: Header=BB6_10588 Depth=4
	v_or_b32_sdwa v51, v0, s44 dst_sel:DWORD dst_unused:UNUSED_PAD src0_sel:BYTE_3 src1_sel:DWORD
                                        ; implicit-def: $vgpr0
; %bb.10623:                            ;   in Loop: Header=BB6_10588 Depth=4
	s_andn2_saveexec_b64 s[34:35], vcc
; %bb.10624:                            ;   in Loop: Header=BB6_10588 Depth=4
	v_cmp_lt_i32_e32 vcc, -1, v0
	v_mov_b32_e32 v0, 0x7c
	v_cndmask_b32_e32 v51, -4, v0, vcc
; %bb.10625:                            ;   in Loop: Header=BB6_10588 Depth=4
	s_or_b64 exec, exec, s[34:35]
.LBB6_10626:                            ;   in Loop: Header=BB6_10588 Depth=4
	s_or_b64 exec, exec, s[28:29]
	flat_load_sbyte v0, v[8:9] offset:64 glc slc
	v_mov_b32_e32 v1, 0
	s_waitcnt vmcnt(0) lgkmcnt(0)
	v_cmp_ne_u16_e32 vcc, 0, v0
	s_and_saveexec_b64 s[28:29], vcc
	s_cbranch_execz .LBB6_10634
; %bb.10627:                            ;   in Loop: Header=BB6_10588 Depth=4
	v_cmp_ne_u16_e32 vcc, s46, v0
	v_bfrev_b32_e32 v1, 1
	s_and_saveexec_b64 s[34:35], vcc
	s_cbranch_execz .LBB6_10633
; %bb.10628:                            ;   in Loop: Header=BB6_10588 Depth=4
	v_and_b32_e32 v1, 0x7c, v0
	v_and_b32_e32 v2, 3, v0
	v_cmp_ne_u32_e32 vcc, s86, v1
                                        ; implicit-def: $vgpr1
	s_and_saveexec_b64 s[62:63], vcc
	s_xor_b64 s[36:37], exec, s[62:63]
	s_cbranch_execz .LBB6_10630
; %bb.10629:                            ;   in Loop: Header=BB6_10588 Depth=4
	v_ffbh_u32_e32 v5, v2
	v_min_u32_e32 v7, 32, v5
	v_and_b32_e32 v3, 0xff, v0
	v_mov_b32_e32 v1, v33
	v_subrev_u32_e32 v5, 29, v7
	v_bfe_u32 v3, v3, 2, 5
	v_lshlrev_b64 v[5:6], v5, v[0:1]
	v_sub_u32_e32 v1, 30, v7
	v_cmp_eq_u32_e32 vcc, 0, v3
	v_and_b32_e32 v5, 3, v5
	v_cndmask_b32_e32 v1, v3, v1, vcc
	v_and_b32_sdwa v0, sext(v0), s87 dst_sel:DWORD dst_unused:UNUSED_PAD src0_sel:WORD_0 src1_sel:DWORD
	v_cndmask_b32_e32 v2, v2, v5, vcc
	v_lshl_add_u32 v0, v1, 23, v0
	v_lshl_or_b32 v0, v2, 21, v0
	v_add_u32_e32 v1, 0x38000000, v0
                                        ; implicit-def: $vgpr2
                                        ; implicit-def: $vgpr0
.LBB6_10630:                            ;   in Loop: Header=BB6_10588 Depth=4
	s_andn2_saveexec_b64 s[36:37], s[36:37]
; %bb.10631:                            ;   in Loop: Header=BB6_10588 Depth=4
	v_cmp_lt_i16_e32 vcc, -1, v0
	v_mov_b32_e32 v0, 0xff800000
	v_mov_b32_e32 v1, 0x7f800000
	v_cndmask_b32_e32 v0, v0, v1, vcc
	v_cmp_eq_u32_e32 vcc, 0, v2
	v_mov_b32_e32 v1, 0x7f800001
	v_cndmask_b32_e32 v1, v1, v0, vcc
; %bb.10632:                            ;   in Loop: Header=BB6_10588 Depth=4
	s_or_b64 exec, exec, s[36:37]
.LBB6_10633:                            ;   in Loop: Header=BB6_10588 Depth=4
	s_or_b64 exec, exec, s[34:35]
.LBB6_10634:                            ;   in Loop: Header=BB6_10588 Depth=4
	s_or_b64 exec, exec, s[28:29]
	v_mul_f32_e32 v0, v4, v1
	v_and_b32_e32 v1, 0x7f800000, v0
	v_mov_b32_e32 v2, v33
	v_cmp_ne_u64_e32 vcc, s[76:77], v[1:2]
	v_and_b32_e32 v32, 0x7fffff, v0
                                        ; implicit-def: $vgpr16
	s_and_saveexec_b64 s[28:29], vcc
	s_xor_b64 s[34:35], exec, s[28:29]
	s_cbranch_execz .LBB6_10652
; %bb.10635:                            ;   in Loop: Header=BB6_10588 Depth=4
	v_and_b32_e32 v1, 0x7fffffff, v0
	v_mov_b32_e32 v2, v33
	v_cmp_gt_u64_e32 vcc, s[78:79], v[1:2]
	v_and_b32_sdwa v3, v0, s97 dst_sel:DWORD dst_unused:UNUSED_PAD src0_sel:BYTE_3 src1_sel:DWORD
                                        ; implicit-def: $vgpr16
	s_and_saveexec_b64 s[28:29], vcc
	s_xor_b64 s[36:37], exec, s[28:29]
	s_cbranch_execz .LBB6_10649
; %bb.10636:                            ;   in Loop: Header=BB6_10588 Depth=4
	v_cmp_ne_u32_e32 vcc, 0, v0
	v_mov_b32_e32 v16, 0
	s_and_saveexec_b64 s[38:39], vcc
	s_cbranch_execz .LBB6_10648
; %bb.10637:                            ;   in Loop: Header=BB6_10588 Depth=4
	v_bfe_u32 v5, v0, 23, 8
	v_cmp_gt_u32_e64 s[28:29], s47, v5
	v_sub_u32_e32 v0, 0x71, v5
	v_cmp_eq_u32_e32 vcc, 0, v5
	v_cndmask_b32_e64 v0, 0, v0, s[28:29]
	v_mov_b32_e32 v2, 0x70
	v_cndmask_b32_e32 v6, v0, v2, vcc
	v_add_u32_e32 v2, 21, v6
	v_or_b32_e32 v1, 0x800000, v32
	v_lshlrev_b64 v[14:15], v2, -1
	v_cndmask_b32_e32 v0, v1, v32, vcc
	v_mov_b32_e32 v1, v33
	v_add_u32_e32 v2, 20, v6
	v_bfi_b32 v14, v14, 0, v0
	v_lshlrev_b64 v[16:17], v2, 1
	v_lshrrev_b64 v[0:1], v6, v[0:1]
	v_bfi_b32 v15, v15, 0, 0
	v_cmp_eq_u64_e64 s[28:29], v[14:15], v[16:17]
	v_mov_b32_e32 v2, v1
	v_mov_b32_e32 v1, v0
	s_and_saveexec_b64 s[48:49], s[28:29]
; %bb.10638:                            ;   in Loop: Header=BB6_10588 Depth=4
	v_bfe_u32 v1, v0, 21, 1
	v_add_co_u32_e64 v1, s[28:29], v0, v1
	v_add_co_u32_e64 v1, s[28:29], -1, v1
; %bb.10639:                            ;   in Loop: Header=BB6_10588 Depth=4
	s_or_b64 exec, exec, s[48:49]
	v_add_u32_e32 v2, 0xffffff81, v5
	v_mov_b32_e32 v5, 0xffffff82
	v_cndmask_b32_e32 v2, v2, v5, vcc
	v_lshrrev_b32_e32 v5, 23, v0
	v_add3_u32 v6, v6, v2, v5
	v_add_u32_e32 v5, 14, v6
	v_and_b32_e32 v1, 0x1fffff, v1
	v_add_u32_e32 v32, v1, v0
	v_cmp_ne_u32_e32 vcc, 0, v5
                                        ; implicit-def: $vgpr0_vgpr1
                                        ; implicit-def: $vgpr2
	s_and_saveexec_b64 s[28:29], vcc
	s_xor_b64 s[28:29], exec, s[28:29]
; %bb.10640:                            ;   in Loop: Header=BB6_10588 Depth=4
	v_cmp_lt_u64_e32 vcc, s[88:89], v[32:33]
	v_add_u32_e32 v0, 15, v6
	v_cndmask_b32_e32 v2, v5, v0, vcc
	v_cndmask_b32_e64 v0, 0, 1, vcc
	v_lshrrev_b64 v[0:1], v0, v[32:33]
; %bb.10641:                            ;   in Loop: Header=BB6_10588 Depth=4
	s_andn2_saveexec_b64 s[28:29], s[28:29]
; %bb.10642:                            ;   in Loop: Header=BB6_10588 Depth=4
	v_mov_b32_e32 v0, v32
	v_mov_b32_e32 v1, v33
	v_bfe_u32 v2, v32, 23, 1
; %bb.10643:                            ;   in Loop: Header=BB6_10588 Depth=4
	s_or_b64 exec, exec, s[28:29]
	v_lshrrev_b64 v[0:1], 21, v[0:1]
	v_cmp_gt_i32_e32 vcc, 32, v2
	v_cndmask_b32_e32 v1, 0, v1, vcc
	v_cndmask_b32_e32 v0, 3, v0, vcc
	v_cmp_ne_u64_e32 vcc, 0, v[0:1]
	v_cmp_ne_u32_e64 s[28:29], 0, v2
	s_or_b64 s[28:29], s[28:29], vcc
                                        ; implicit-def: $vgpr16
	s_and_saveexec_b64 s[62:63], s[28:29]
	s_xor_b64 s[28:29], exec, s[62:63]
; %bb.10644:                            ;   in Loop: Header=BB6_10588 Depth=4
	v_min_i32_e32 v1, 31, v2
	v_lshl_or_b32 v1, v1, 2, v3
	v_and_or_b32 v16, v0, 3, v1
                                        ; implicit-def: $vgpr3
; %bb.10645:                            ;   in Loop: Header=BB6_10588 Depth=4
	s_andn2_saveexec_b64 s[28:29], s[28:29]
; %bb.10646:                            ;   in Loop: Header=BB6_10588 Depth=4
	v_mov_b32_e32 v16, v3
; %bb.10647:                            ;   in Loop: Header=BB6_10588 Depth=4
	s_or_b64 exec, exec, s[28:29]
.LBB6_10648:                            ;   in Loop: Header=BB6_10588 Depth=4
	s_or_b64 exec, exec, s[38:39]
                                        ; implicit-def: $vgpr3
.LBB6_10649:                            ;   in Loop: Header=BB6_10588 Depth=4
	s_andn2_saveexec_b64 s[28:29], s[36:37]
; %bb.10650:                            ;   in Loop: Header=BB6_10588 Depth=4
	v_or_b32_e32 v16, 0x7b, v3
; %bb.10651:                            ;   in Loop: Header=BB6_10588 Depth=4
	s_or_b64 exec, exec, s[28:29]
                                        ; implicit-def: $vgpr0
.LBB6_10652:                            ;   in Loop: Header=BB6_10588 Depth=4
	s_andn2_saveexec_b64 s[28:29], s[34:35]
	s_cbranch_execz .LBB6_10658
; %bb.10653:                            ;   in Loop: Header=BB6_10588 Depth=4
	v_cmp_ne_u64_e32 vcc, 0, v[32:33]
                                        ; implicit-def: $vgpr16
	s_and_saveexec_b64 s[62:63], vcc
	s_xor_b64 vcc, exec, s[62:63]
; %bb.10654:                            ;   in Loop: Header=BB6_10588 Depth=4
	v_or_b32_sdwa v16, v0, s44 dst_sel:DWORD dst_unused:UNUSED_PAD src0_sel:BYTE_3 src1_sel:DWORD
                                        ; implicit-def: $vgpr0
; %bb.10655:                            ;   in Loop: Header=BB6_10588 Depth=4
	s_andn2_saveexec_b64 s[34:35], vcc
; %bb.10656:                            ;   in Loop: Header=BB6_10588 Depth=4
	v_cmp_lt_i32_e32 vcc, -1, v0
	v_mov_b32_e32 v0, 0x7c
	v_cndmask_b32_e32 v16, -4, v0, vcc
; %bb.10657:                            ;   in Loop: Header=BB6_10588 Depth=4
	s_or_b64 exec, exec, s[34:35]
.LBB6_10658:                            ;   in Loop: Header=BB6_10588 Depth=4
	s_or_b64 exec, exec, s[28:29]
	flat_load_sbyte v0, v[8:9] offset:128 glc slc
	v_mov_b32_e32 v1, 0
	s_waitcnt vmcnt(0) lgkmcnt(0)
	v_cmp_ne_u16_e32 vcc, 0, v0
	s_and_saveexec_b64 s[28:29], vcc
	s_cbranch_execz .LBB6_10666
; %bb.10659:                            ;   in Loop: Header=BB6_10588 Depth=4
	v_cmp_ne_u16_e32 vcc, s46, v0
	v_bfrev_b32_e32 v1, 1
	s_and_saveexec_b64 s[34:35], vcc
	s_cbranch_execz .LBB6_10665
; %bb.10660:                            ;   in Loop: Header=BB6_10588 Depth=4
	v_and_b32_e32 v1, 0x7c, v0
	v_and_b32_e32 v2, 3, v0
	v_cmp_ne_u32_e32 vcc, s86, v1
                                        ; implicit-def: $vgpr1
	s_and_saveexec_b64 s[62:63], vcc
	s_xor_b64 s[36:37], exec, s[62:63]
	s_cbranch_execz .LBB6_10662
; %bb.10661:                            ;   in Loop: Header=BB6_10588 Depth=4
	v_ffbh_u32_e32 v5, v2
	v_min_u32_e32 v7, 32, v5
	v_and_b32_e32 v3, 0xff, v0
	v_mov_b32_e32 v1, v33
	v_subrev_u32_e32 v5, 29, v7
	v_bfe_u32 v3, v3, 2, 5
	v_lshlrev_b64 v[5:6], v5, v[0:1]
	v_sub_u32_e32 v1, 30, v7
	v_cmp_eq_u32_e32 vcc, 0, v3
	v_and_b32_e32 v5, 3, v5
	v_cndmask_b32_e32 v1, v3, v1, vcc
	v_and_b32_sdwa v0, sext(v0), s87 dst_sel:DWORD dst_unused:UNUSED_PAD src0_sel:WORD_0 src1_sel:DWORD
	v_cndmask_b32_e32 v2, v2, v5, vcc
	v_lshl_add_u32 v0, v1, 23, v0
	v_lshl_or_b32 v0, v2, 21, v0
	v_add_u32_e32 v1, 0x38000000, v0
                                        ; implicit-def: $vgpr2
                                        ; implicit-def: $vgpr0
.LBB6_10662:                            ;   in Loop: Header=BB6_10588 Depth=4
	s_andn2_saveexec_b64 s[36:37], s[36:37]
; %bb.10663:                            ;   in Loop: Header=BB6_10588 Depth=4
	v_cmp_lt_i16_e32 vcc, -1, v0
	v_mov_b32_e32 v0, 0xff800000
	v_mov_b32_e32 v1, 0x7f800000
	v_cndmask_b32_e32 v0, v0, v1, vcc
	v_cmp_eq_u32_e32 vcc, 0, v2
	v_mov_b32_e32 v1, 0x7f800001
	v_cndmask_b32_e32 v1, v1, v0, vcc
; %bb.10664:                            ;   in Loop: Header=BB6_10588 Depth=4
	s_or_b64 exec, exec, s[36:37]
.LBB6_10665:                            ;   in Loop: Header=BB6_10588 Depth=4
	s_or_b64 exec, exec, s[34:35]
.LBB6_10666:                            ;   in Loop: Header=BB6_10588 Depth=4
	s_or_b64 exec, exec, s[28:29]
	v_mul_f32_e32 v0, v4, v1
	v_and_b32_e32 v1, 0x7f800000, v0
	v_mov_b32_e32 v2, v33
	v_cmp_ne_u64_e32 vcc, s[76:77], v[1:2]
	v_and_b32_e32 v32, 0x7fffff, v0
                                        ; implicit-def: $vgpr31
	s_and_saveexec_b64 s[28:29], vcc
	s_xor_b64 s[34:35], exec, s[28:29]
	s_cbranch_execz .LBB6_10684
; %bb.10667:                            ;   in Loop: Header=BB6_10588 Depth=4
	v_and_b32_e32 v1, 0x7fffffff, v0
	v_mov_b32_e32 v2, v33
	v_cmp_gt_u64_e32 vcc, s[78:79], v[1:2]
	v_and_b32_sdwa v3, v0, s97 dst_sel:DWORD dst_unused:UNUSED_PAD src0_sel:BYTE_3 src1_sel:DWORD
                                        ; implicit-def: $vgpr31
	s_and_saveexec_b64 s[28:29], vcc
	s_xor_b64 s[36:37], exec, s[28:29]
	s_cbranch_execz .LBB6_10681
; %bb.10668:                            ;   in Loop: Header=BB6_10588 Depth=4
	v_cmp_ne_u32_e32 vcc, 0, v0
	v_mov_b32_e32 v31, 0
	s_and_saveexec_b64 s[38:39], vcc
	s_cbranch_execz .LBB6_10680
; %bb.10669:                            ;   in Loop: Header=BB6_10588 Depth=4
	v_bfe_u32 v5, v0, 23, 8
	v_cmp_gt_u32_e64 s[28:29], s47, v5
	v_sub_u32_e32 v0, 0x71, v5
	v_cmp_eq_u32_e32 vcc, 0, v5
	v_cndmask_b32_e64 v0, 0, v0, s[28:29]
	v_mov_b32_e32 v2, 0x70
	v_cndmask_b32_e32 v6, v0, v2, vcc
	v_add_u32_e32 v2, 21, v6
	v_or_b32_e32 v1, 0x800000, v32
	v_lshlrev_b64 v[14:15], v2, -1
	v_cndmask_b32_e32 v0, v1, v32, vcc
	v_mov_b32_e32 v1, v33
	v_add_u32_e32 v2, 20, v6
	v_bfi_b32 v14, v14, 0, v0
	v_lshlrev_b64 v[17:18], v2, 1
	v_lshrrev_b64 v[0:1], v6, v[0:1]
	v_bfi_b32 v15, v15, 0, 0
	v_cmp_eq_u64_e64 s[28:29], v[14:15], v[17:18]
	v_mov_b32_e32 v2, v1
	v_mov_b32_e32 v1, v0
	s_and_saveexec_b64 s[48:49], s[28:29]
; %bb.10670:                            ;   in Loop: Header=BB6_10588 Depth=4
	v_bfe_u32 v1, v0, 21, 1
	v_add_co_u32_e64 v1, s[28:29], v0, v1
	v_add_co_u32_e64 v1, s[28:29], -1, v1
; %bb.10671:                            ;   in Loop: Header=BB6_10588 Depth=4
	s_or_b64 exec, exec, s[48:49]
	v_add_u32_e32 v2, 0xffffff81, v5
	v_mov_b32_e32 v5, 0xffffff82
	v_cndmask_b32_e32 v2, v2, v5, vcc
	v_lshrrev_b32_e32 v5, 23, v0
	v_add3_u32 v6, v6, v2, v5
	v_add_u32_e32 v5, 14, v6
	v_and_b32_e32 v1, 0x1fffff, v1
	v_add_u32_e32 v32, v1, v0
	v_cmp_ne_u32_e32 vcc, 0, v5
                                        ; implicit-def: $vgpr0_vgpr1
                                        ; implicit-def: $vgpr2
	s_and_saveexec_b64 s[28:29], vcc
	s_xor_b64 s[28:29], exec, s[28:29]
; %bb.10672:                            ;   in Loop: Header=BB6_10588 Depth=4
	v_cmp_lt_u64_e32 vcc, s[88:89], v[32:33]
	v_add_u32_e32 v0, 15, v6
	v_cndmask_b32_e32 v2, v5, v0, vcc
	v_cndmask_b32_e64 v0, 0, 1, vcc
	v_lshrrev_b64 v[0:1], v0, v[32:33]
; %bb.10673:                            ;   in Loop: Header=BB6_10588 Depth=4
	s_andn2_saveexec_b64 s[28:29], s[28:29]
; %bb.10674:                            ;   in Loop: Header=BB6_10588 Depth=4
	v_mov_b32_e32 v0, v32
	v_mov_b32_e32 v1, v33
	v_bfe_u32 v2, v32, 23, 1
; %bb.10675:                            ;   in Loop: Header=BB6_10588 Depth=4
	s_or_b64 exec, exec, s[28:29]
	v_lshrrev_b64 v[0:1], 21, v[0:1]
	v_cmp_gt_i32_e32 vcc, 32, v2
	v_cndmask_b32_e32 v1, 0, v1, vcc
	v_cndmask_b32_e32 v0, 3, v0, vcc
	v_cmp_ne_u64_e32 vcc, 0, v[0:1]
	v_cmp_ne_u32_e64 s[28:29], 0, v2
	s_or_b64 s[28:29], s[28:29], vcc
                                        ; implicit-def: $vgpr31
	s_and_saveexec_b64 s[62:63], s[28:29]
	s_xor_b64 s[28:29], exec, s[62:63]
; %bb.10676:                            ;   in Loop: Header=BB6_10588 Depth=4
	v_min_i32_e32 v1, 31, v2
	v_lshl_or_b32 v1, v1, 2, v3
	v_and_or_b32 v31, v0, 3, v1
                                        ; implicit-def: $vgpr3
; %bb.10677:                            ;   in Loop: Header=BB6_10588 Depth=4
	s_andn2_saveexec_b64 s[28:29], s[28:29]
; %bb.10678:                            ;   in Loop: Header=BB6_10588 Depth=4
	v_mov_b32_e32 v31, v3
; %bb.10679:                            ;   in Loop: Header=BB6_10588 Depth=4
	s_or_b64 exec, exec, s[28:29]
.LBB6_10680:                            ;   in Loop: Header=BB6_10588 Depth=4
	s_or_b64 exec, exec, s[38:39]
                                        ; implicit-def: $vgpr3
.LBB6_10681:                            ;   in Loop: Header=BB6_10588 Depth=4
	s_andn2_saveexec_b64 s[28:29], s[36:37]
; %bb.10682:                            ;   in Loop: Header=BB6_10588 Depth=4
	v_or_b32_e32 v31, 0x7b, v3
; %bb.10683:                            ;   in Loop: Header=BB6_10588 Depth=4
	s_or_b64 exec, exec, s[28:29]
                                        ; implicit-def: $vgpr0
.LBB6_10684:                            ;   in Loop: Header=BB6_10588 Depth=4
	s_andn2_saveexec_b64 s[28:29], s[34:35]
	s_cbranch_execz .LBB6_10690
; %bb.10685:                            ;   in Loop: Header=BB6_10588 Depth=4
	v_cmp_ne_u64_e32 vcc, 0, v[32:33]
                                        ; implicit-def: $vgpr31
	s_and_saveexec_b64 s[62:63], vcc
	s_xor_b64 vcc, exec, s[62:63]
; %bb.10686:                            ;   in Loop: Header=BB6_10588 Depth=4
	v_or_b32_sdwa v31, v0, s44 dst_sel:DWORD dst_unused:UNUSED_PAD src0_sel:BYTE_3 src1_sel:DWORD
                                        ; implicit-def: $vgpr0
; %bb.10687:                            ;   in Loop: Header=BB6_10588 Depth=4
	s_andn2_saveexec_b64 s[34:35], vcc
; %bb.10688:                            ;   in Loop: Header=BB6_10588 Depth=4
	v_cmp_lt_i32_e32 vcc, -1, v0
	v_mov_b32_e32 v0, 0x7c
	v_cndmask_b32_e32 v31, -4, v0, vcc
; %bb.10689:                            ;   in Loop: Header=BB6_10588 Depth=4
	s_or_b64 exec, exec, s[34:35]
.LBB6_10690:                            ;   in Loop: Header=BB6_10588 Depth=4
	s_or_b64 exec, exec, s[28:29]
	flat_load_sbyte v0, v[8:9] offset:192 glc slc
	v_mov_b32_e32 v1, 0
	s_waitcnt vmcnt(0) lgkmcnt(0)
	v_cmp_ne_u16_e32 vcc, 0, v0
	s_and_saveexec_b64 s[28:29], vcc
	s_cbranch_execz .LBB6_10698
; %bb.10691:                            ;   in Loop: Header=BB6_10588 Depth=4
	v_cmp_ne_u16_e32 vcc, s46, v0
	v_bfrev_b32_e32 v1, 1
	s_and_saveexec_b64 s[34:35], vcc
	s_cbranch_execz .LBB6_10697
; %bb.10692:                            ;   in Loop: Header=BB6_10588 Depth=4
	v_and_b32_e32 v1, 0x7c, v0
	v_and_b32_e32 v2, 3, v0
	v_cmp_ne_u32_e32 vcc, s86, v1
                                        ; implicit-def: $vgpr1
	s_and_saveexec_b64 s[62:63], vcc
	s_xor_b64 s[36:37], exec, s[62:63]
	s_cbranch_execz .LBB6_10694
; %bb.10693:                            ;   in Loop: Header=BB6_10588 Depth=4
	v_ffbh_u32_e32 v5, v2
	v_min_u32_e32 v7, 32, v5
	v_and_b32_e32 v3, 0xff, v0
	v_mov_b32_e32 v1, v33
	v_subrev_u32_e32 v5, 29, v7
	v_bfe_u32 v3, v3, 2, 5
	v_lshlrev_b64 v[5:6], v5, v[0:1]
	v_sub_u32_e32 v1, 30, v7
	v_cmp_eq_u32_e32 vcc, 0, v3
	v_and_b32_e32 v5, 3, v5
	v_cndmask_b32_e32 v1, v3, v1, vcc
	v_and_b32_sdwa v0, sext(v0), s87 dst_sel:DWORD dst_unused:UNUSED_PAD src0_sel:WORD_0 src1_sel:DWORD
	v_cndmask_b32_e32 v2, v2, v5, vcc
	v_lshl_add_u32 v0, v1, 23, v0
	v_lshl_or_b32 v0, v2, 21, v0
	v_add_u32_e32 v1, 0x38000000, v0
                                        ; implicit-def: $vgpr2
                                        ; implicit-def: $vgpr0
.LBB6_10694:                            ;   in Loop: Header=BB6_10588 Depth=4
	s_andn2_saveexec_b64 s[36:37], s[36:37]
; %bb.10695:                            ;   in Loop: Header=BB6_10588 Depth=4
	v_cmp_lt_i16_e32 vcc, -1, v0
	v_mov_b32_e32 v0, 0xff800000
	v_mov_b32_e32 v1, 0x7f800000
	v_cndmask_b32_e32 v0, v0, v1, vcc
	v_cmp_eq_u32_e32 vcc, 0, v2
	v_mov_b32_e32 v1, 0x7f800001
	v_cndmask_b32_e32 v1, v1, v0, vcc
; %bb.10696:                            ;   in Loop: Header=BB6_10588 Depth=4
	s_or_b64 exec, exec, s[36:37]
.LBB6_10697:                            ;   in Loop: Header=BB6_10588 Depth=4
	s_or_b64 exec, exec, s[34:35]
.LBB6_10698:                            ;   in Loop: Header=BB6_10588 Depth=4
	s_or_b64 exec, exec, s[28:29]
	v_mul_f32_e32 v0, v4, v1
	v_and_b32_e32 v1, 0x7f800000, v0
	v_mov_b32_e32 v2, v33
	v_cmp_ne_u64_e32 vcc, s[76:77], v[1:2]
	v_and_b32_e32 v32, 0x7fffff, v0
                                        ; implicit-def: $vgpr49
	s_and_saveexec_b64 s[28:29], vcc
	s_xor_b64 s[34:35], exec, s[28:29]
	s_cbranch_execz .LBB6_10716
; %bb.10699:                            ;   in Loop: Header=BB6_10588 Depth=4
	v_and_b32_e32 v1, 0x7fffffff, v0
	v_mov_b32_e32 v2, v33
	v_cmp_gt_u64_e32 vcc, s[78:79], v[1:2]
	v_and_b32_sdwa v3, v0, s97 dst_sel:DWORD dst_unused:UNUSED_PAD src0_sel:BYTE_3 src1_sel:DWORD
                                        ; implicit-def: $vgpr49
	s_and_saveexec_b64 s[28:29], vcc
	s_xor_b64 s[36:37], exec, s[28:29]
	s_cbranch_execz .LBB6_10713
; %bb.10700:                            ;   in Loop: Header=BB6_10588 Depth=4
	v_cmp_ne_u32_e32 vcc, 0, v0
	v_mov_b32_e32 v49, 0
	s_and_saveexec_b64 s[38:39], vcc
	s_cbranch_execz .LBB6_10712
; %bb.10701:                            ;   in Loop: Header=BB6_10588 Depth=4
	v_bfe_u32 v5, v0, 23, 8
	v_cmp_gt_u32_e64 s[28:29], s47, v5
	v_sub_u32_e32 v0, 0x71, v5
	v_cmp_eq_u32_e32 vcc, 0, v5
	v_cndmask_b32_e64 v0, 0, v0, s[28:29]
	v_mov_b32_e32 v2, 0x70
	v_cndmask_b32_e32 v6, v0, v2, vcc
	v_add_u32_e32 v2, 21, v6
	v_or_b32_e32 v1, 0x800000, v32
	v_lshlrev_b64 v[14:15], v2, -1
	v_cndmask_b32_e32 v0, v1, v32, vcc
	v_mov_b32_e32 v1, v33
	v_add_u32_e32 v2, 20, v6
	v_bfi_b32 v14, v14, 0, v0
	v_lshlrev_b64 v[17:18], v2, 1
	v_lshrrev_b64 v[0:1], v6, v[0:1]
	v_bfi_b32 v15, v15, 0, 0
	v_cmp_eq_u64_e64 s[28:29], v[14:15], v[17:18]
	v_mov_b32_e32 v2, v1
	v_mov_b32_e32 v1, v0
	s_and_saveexec_b64 s[48:49], s[28:29]
; %bb.10702:                            ;   in Loop: Header=BB6_10588 Depth=4
	v_bfe_u32 v1, v0, 21, 1
	v_add_co_u32_e64 v1, s[28:29], v0, v1
	v_add_co_u32_e64 v1, s[28:29], -1, v1
; %bb.10703:                            ;   in Loop: Header=BB6_10588 Depth=4
	s_or_b64 exec, exec, s[48:49]
	v_add_u32_e32 v2, 0xffffff81, v5
	v_mov_b32_e32 v5, 0xffffff82
	v_cndmask_b32_e32 v2, v2, v5, vcc
	v_lshrrev_b32_e32 v5, 23, v0
	v_add3_u32 v6, v6, v2, v5
	v_add_u32_e32 v5, 14, v6
	v_and_b32_e32 v1, 0x1fffff, v1
	v_add_u32_e32 v32, v1, v0
	v_cmp_ne_u32_e32 vcc, 0, v5
                                        ; implicit-def: $vgpr0_vgpr1
                                        ; implicit-def: $vgpr2
	s_and_saveexec_b64 s[28:29], vcc
	s_xor_b64 s[28:29], exec, s[28:29]
; %bb.10704:                            ;   in Loop: Header=BB6_10588 Depth=4
	v_cmp_lt_u64_e32 vcc, s[88:89], v[32:33]
	v_add_u32_e32 v0, 15, v6
	v_cndmask_b32_e32 v2, v5, v0, vcc
	v_cndmask_b32_e64 v0, 0, 1, vcc
	v_lshrrev_b64 v[0:1], v0, v[32:33]
; %bb.10705:                            ;   in Loop: Header=BB6_10588 Depth=4
	s_andn2_saveexec_b64 s[28:29], s[28:29]
; %bb.10706:                            ;   in Loop: Header=BB6_10588 Depth=4
	v_mov_b32_e32 v0, v32
	v_mov_b32_e32 v1, v33
	v_bfe_u32 v2, v32, 23, 1
; %bb.10707:                            ;   in Loop: Header=BB6_10588 Depth=4
	s_or_b64 exec, exec, s[28:29]
	v_lshrrev_b64 v[0:1], 21, v[0:1]
	v_cmp_gt_i32_e32 vcc, 32, v2
	v_cndmask_b32_e32 v1, 0, v1, vcc
	v_cndmask_b32_e32 v0, 3, v0, vcc
	v_cmp_ne_u64_e32 vcc, 0, v[0:1]
	v_cmp_ne_u32_e64 s[28:29], 0, v2
	s_or_b64 s[28:29], s[28:29], vcc
                                        ; implicit-def: $vgpr49
	s_and_saveexec_b64 s[62:63], s[28:29]
	s_xor_b64 s[28:29], exec, s[62:63]
; %bb.10708:                            ;   in Loop: Header=BB6_10588 Depth=4
	v_min_i32_e32 v1, 31, v2
	v_lshl_or_b32 v1, v1, 2, v3
	v_and_or_b32 v49, v0, 3, v1
                                        ; implicit-def: $vgpr3
; %bb.10709:                            ;   in Loop: Header=BB6_10588 Depth=4
	s_andn2_saveexec_b64 s[28:29], s[28:29]
; %bb.10710:                            ;   in Loop: Header=BB6_10588 Depth=4
	v_mov_b32_e32 v49, v3
; %bb.10711:                            ;   in Loop: Header=BB6_10588 Depth=4
	s_or_b64 exec, exec, s[28:29]
.LBB6_10712:                            ;   in Loop: Header=BB6_10588 Depth=4
	s_or_b64 exec, exec, s[38:39]
                                        ; implicit-def: $vgpr3
.LBB6_10713:                            ;   in Loop: Header=BB6_10588 Depth=4
	s_andn2_saveexec_b64 s[28:29], s[36:37]
; %bb.10714:                            ;   in Loop: Header=BB6_10588 Depth=4
	v_or_b32_e32 v49, 0x7b, v3
; %bb.10715:                            ;   in Loop: Header=BB6_10588 Depth=4
	s_or_b64 exec, exec, s[28:29]
                                        ; implicit-def: $vgpr0
.LBB6_10716:                            ;   in Loop: Header=BB6_10588 Depth=4
	s_andn2_saveexec_b64 s[28:29], s[34:35]
	s_cbranch_execz .LBB6_10722
; %bb.10717:                            ;   in Loop: Header=BB6_10588 Depth=4
	v_cmp_ne_u64_e32 vcc, 0, v[32:33]
                                        ; implicit-def: $vgpr49
	s_and_saveexec_b64 s[62:63], vcc
	s_xor_b64 vcc, exec, s[62:63]
; %bb.10718:                            ;   in Loop: Header=BB6_10588 Depth=4
	v_or_b32_sdwa v49, v0, s44 dst_sel:DWORD dst_unused:UNUSED_PAD src0_sel:BYTE_3 src1_sel:DWORD
                                        ; implicit-def: $vgpr0
; %bb.10719:                            ;   in Loop: Header=BB6_10588 Depth=4
	s_andn2_saveexec_b64 s[34:35], vcc
; %bb.10720:                            ;   in Loop: Header=BB6_10588 Depth=4
	v_cmp_lt_i32_e32 vcc, -1, v0
	v_mov_b32_e32 v0, 0x7c
	v_cndmask_b32_e32 v49, -4, v0, vcc
; %bb.10721:                            ;   in Loop: Header=BB6_10588 Depth=4
	s_or_b64 exec, exec, s[34:35]
.LBB6_10722:                            ;   in Loop: Header=BB6_10588 Depth=4
	s_or_b64 exec, exec, s[28:29]
	flat_load_sbyte v0, v[8:9] offset:256 glc slc
	v_mov_b32_e32 v1, 0
	s_waitcnt vmcnt(0) lgkmcnt(0)
	v_cmp_ne_u16_e32 vcc, 0, v0
	s_and_saveexec_b64 s[28:29], vcc
	s_cbranch_execz .LBB6_10730
; %bb.10723:                            ;   in Loop: Header=BB6_10588 Depth=4
	v_cmp_ne_u16_e32 vcc, s46, v0
	v_bfrev_b32_e32 v1, 1
	s_and_saveexec_b64 s[34:35], vcc
	s_cbranch_execz .LBB6_10729
; %bb.10724:                            ;   in Loop: Header=BB6_10588 Depth=4
	v_and_b32_e32 v1, 0x7c, v0
	v_and_b32_e32 v2, 3, v0
	v_cmp_ne_u32_e32 vcc, s86, v1
                                        ; implicit-def: $vgpr1
	s_and_saveexec_b64 s[62:63], vcc
	s_xor_b64 s[36:37], exec, s[62:63]
	s_cbranch_execz .LBB6_10726
; %bb.10725:                            ;   in Loop: Header=BB6_10588 Depth=4
	v_ffbh_u32_e32 v5, v2
	v_min_u32_e32 v7, 32, v5
	v_and_b32_e32 v3, 0xff, v0
	v_mov_b32_e32 v1, v33
	v_subrev_u32_e32 v5, 29, v7
	v_bfe_u32 v3, v3, 2, 5
	v_lshlrev_b64 v[5:6], v5, v[0:1]
	v_sub_u32_e32 v1, 30, v7
	v_cmp_eq_u32_e32 vcc, 0, v3
	v_and_b32_e32 v5, 3, v5
	v_cndmask_b32_e32 v1, v3, v1, vcc
	v_and_b32_sdwa v0, sext(v0), s87 dst_sel:DWORD dst_unused:UNUSED_PAD src0_sel:WORD_0 src1_sel:DWORD
	v_cndmask_b32_e32 v2, v2, v5, vcc
	v_lshl_add_u32 v0, v1, 23, v0
	v_lshl_or_b32 v0, v2, 21, v0
	v_add_u32_e32 v1, 0x38000000, v0
                                        ; implicit-def: $vgpr2
                                        ; implicit-def: $vgpr0
.LBB6_10726:                            ;   in Loop: Header=BB6_10588 Depth=4
	s_andn2_saveexec_b64 s[36:37], s[36:37]
; %bb.10727:                            ;   in Loop: Header=BB6_10588 Depth=4
	v_cmp_lt_i16_e32 vcc, -1, v0
	v_mov_b32_e32 v0, 0xff800000
	v_mov_b32_e32 v1, 0x7f800000
	v_cndmask_b32_e32 v0, v0, v1, vcc
	v_cmp_eq_u32_e32 vcc, 0, v2
	v_mov_b32_e32 v1, 0x7f800001
	v_cndmask_b32_e32 v1, v1, v0, vcc
; %bb.10728:                            ;   in Loop: Header=BB6_10588 Depth=4
	s_or_b64 exec, exec, s[36:37]
.LBB6_10729:                            ;   in Loop: Header=BB6_10588 Depth=4
	s_or_b64 exec, exec, s[34:35]
.LBB6_10730:                            ;   in Loop: Header=BB6_10588 Depth=4
	s_or_b64 exec, exec, s[28:29]
	v_mul_f32_e32 v0, v4, v1
	v_and_b32_e32 v1, 0x7f800000, v0
	v_mov_b32_e32 v2, v33
	v_cmp_ne_u64_e32 vcc, s[76:77], v[1:2]
	v_and_b32_e32 v32, 0x7fffff, v0
                                        ; implicit-def: $vgpr48
	s_and_saveexec_b64 s[28:29], vcc
	s_xor_b64 s[34:35], exec, s[28:29]
	s_cbranch_execz .LBB6_10748
; %bb.10731:                            ;   in Loop: Header=BB6_10588 Depth=4
	v_and_b32_e32 v1, 0x7fffffff, v0
	v_mov_b32_e32 v2, v33
	v_cmp_gt_u64_e32 vcc, s[78:79], v[1:2]
	v_and_b32_sdwa v3, v0, s97 dst_sel:DWORD dst_unused:UNUSED_PAD src0_sel:BYTE_3 src1_sel:DWORD
                                        ; implicit-def: $vgpr48
	s_and_saveexec_b64 s[28:29], vcc
	s_xor_b64 s[36:37], exec, s[28:29]
	s_cbranch_execz .LBB6_10745
; %bb.10732:                            ;   in Loop: Header=BB6_10588 Depth=4
	v_cmp_ne_u32_e32 vcc, 0, v0
	v_mov_b32_e32 v48, 0
	s_and_saveexec_b64 s[38:39], vcc
	s_cbranch_execz .LBB6_10744
; %bb.10733:                            ;   in Loop: Header=BB6_10588 Depth=4
	v_bfe_u32 v5, v0, 23, 8
	v_cmp_gt_u32_e64 s[28:29], s47, v5
	v_sub_u32_e32 v0, 0x71, v5
	v_cmp_eq_u32_e32 vcc, 0, v5
	v_cndmask_b32_e64 v0, 0, v0, s[28:29]
	v_mov_b32_e32 v2, 0x70
	v_cndmask_b32_e32 v6, v0, v2, vcc
	v_add_u32_e32 v2, 21, v6
	v_or_b32_e32 v1, 0x800000, v32
	v_lshlrev_b64 v[14:15], v2, -1
	v_cndmask_b32_e32 v0, v1, v32, vcc
	v_mov_b32_e32 v1, v33
	v_add_u32_e32 v2, 20, v6
	v_bfi_b32 v14, v14, 0, v0
	v_lshlrev_b64 v[17:18], v2, 1
	v_lshrrev_b64 v[0:1], v6, v[0:1]
	v_bfi_b32 v15, v15, 0, 0
	v_cmp_eq_u64_e64 s[28:29], v[14:15], v[17:18]
	v_mov_b32_e32 v2, v1
	v_mov_b32_e32 v1, v0
	s_and_saveexec_b64 s[48:49], s[28:29]
; %bb.10734:                            ;   in Loop: Header=BB6_10588 Depth=4
	v_bfe_u32 v1, v0, 21, 1
	v_add_co_u32_e64 v1, s[28:29], v0, v1
	v_add_co_u32_e64 v1, s[28:29], -1, v1
; %bb.10735:                            ;   in Loop: Header=BB6_10588 Depth=4
	s_or_b64 exec, exec, s[48:49]
	v_add_u32_e32 v2, 0xffffff81, v5
	v_mov_b32_e32 v5, 0xffffff82
	v_cndmask_b32_e32 v2, v2, v5, vcc
	v_lshrrev_b32_e32 v5, 23, v0
	v_add3_u32 v6, v6, v2, v5
	v_add_u32_e32 v5, 14, v6
	v_and_b32_e32 v1, 0x1fffff, v1
	v_add_u32_e32 v32, v1, v0
	v_cmp_ne_u32_e32 vcc, 0, v5
                                        ; implicit-def: $vgpr0_vgpr1
                                        ; implicit-def: $vgpr2
	s_and_saveexec_b64 s[28:29], vcc
	s_xor_b64 s[28:29], exec, s[28:29]
; %bb.10736:                            ;   in Loop: Header=BB6_10588 Depth=4
	v_cmp_lt_u64_e32 vcc, s[88:89], v[32:33]
	v_add_u32_e32 v0, 15, v6
	v_cndmask_b32_e32 v2, v5, v0, vcc
	v_cndmask_b32_e64 v0, 0, 1, vcc
	v_lshrrev_b64 v[0:1], v0, v[32:33]
; %bb.10737:                            ;   in Loop: Header=BB6_10588 Depth=4
	s_andn2_saveexec_b64 s[28:29], s[28:29]
; %bb.10738:                            ;   in Loop: Header=BB6_10588 Depth=4
	v_mov_b32_e32 v0, v32
	v_mov_b32_e32 v1, v33
	v_bfe_u32 v2, v32, 23, 1
; %bb.10739:                            ;   in Loop: Header=BB6_10588 Depth=4
	s_or_b64 exec, exec, s[28:29]
	v_lshrrev_b64 v[0:1], 21, v[0:1]
	v_cmp_gt_i32_e32 vcc, 32, v2
	v_cndmask_b32_e32 v1, 0, v1, vcc
	v_cndmask_b32_e32 v0, 3, v0, vcc
	v_cmp_ne_u64_e32 vcc, 0, v[0:1]
	v_cmp_ne_u32_e64 s[28:29], 0, v2
	s_or_b64 s[28:29], s[28:29], vcc
                                        ; implicit-def: $vgpr48
	s_and_saveexec_b64 s[62:63], s[28:29]
	s_xor_b64 s[28:29], exec, s[62:63]
; %bb.10740:                            ;   in Loop: Header=BB6_10588 Depth=4
	v_min_i32_e32 v1, 31, v2
	v_lshl_or_b32 v1, v1, 2, v3
	v_and_or_b32 v48, v0, 3, v1
                                        ; implicit-def: $vgpr3
; %bb.10741:                            ;   in Loop: Header=BB6_10588 Depth=4
	s_andn2_saveexec_b64 s[28:29], s[28:29]
; %bb.10742:                            ;   in Loop: Header=BB6_10588 Depth=4
	v_mov_b32_e32 v48, v3
; %bb.10743:                            ;   in Loop: Header=BB6_10588 Depth=4
	s_or_b64 exec, exec, s[28:29]
.LBB6_10744:                            ;   in Loop: Header=BB6_10588 Depth=4
	s_or_b64 exec, exec, s[38:39]
                                        ; implicit-def: $vgpr3
.LBB6_10745:                            ;   in Loop: Header=BB6_10588 Depth=4
	s_andn2_saveexec_b64 s[28:29], s[36:37]
; %bb.10746:                            ;   in Loop: Header=BB6_10588 Depth=4
	v_or_b32_e32 v48, 0x7b, v3
; %bb.10747:                            ;   in Loop: Header=BB6_10588 Depth=4
	s_or_b64 exec, exec, s[28:29]
                                        ; implicit-def: $vgpr0
.LBB6_10748:                            ;   in Loop: Header=BB6_10588 Depth=4
	s_andn2_saveexec_b64 s[28:29], s[34:35]
	s_cbranch_execz .LBB6_10754
; %bb.10749:                            ;   in Loop: Header=BB6_10588 Depth=4
	v_cmp_ne_u64_e32 vcc, 0, v[32:33]
                                        ; implicit-def: $vgpr48
	s_and_saveexec_b64 s[62:63], vcc
	s_xor_b64 vcc, exec, s[62:63]
; %bb.10750:                            ;   in Loop: Header=BB6_10588 Depth=4
	v_or_b32_sdwa v48, v0, s44 dst_sel:DWORD dst_unused:UNUSED_PAD src0_sel:BYTE_3 src1_sel:DWORD
                                        ; implicit-def: $vgpr0
; %bb.10751:                            ;   in Loop: Header=BB6_10588 Depth=4
	s_andn2_saveexec_b64 s[34:35], vcc
; %bb.10752:                            ;   in Loop: Header=BB6_10588 Depth=4
	v_cmp_lt_i32_e32 vcc, -1, v0
	v_mov_b32_e32 v0, 0x7c
	v_cndmask_b32_e32 v48, -4, v0, vcc
; %bb.10753:                            ;   in Loop: Header=BB6_10588 Depth=4
	s_or_b64 exec, exec, s[34:35]
.LBB6_10754:                            ;   in Loop: Header=BB6_10588 Depth=4
	s_or_b64 exec, exec, s[28:29]
	flat_load_sbyte v0, v[8:9] offset:320 glc slc
	v_mov_b32_e32 v1, 0
	s_waitcnt vmcnt(0) lgkmcnt(0)
	v_cmp_ne_u16_e32 vcc, 0, v0
	s_and_saveexec_b64 s[28:29], vcc
	s_cbranch_execz .LBB6_10762
; %bb.10755:                            ;   in Loop: Header=BB6_10588 Depth=4
	v_cmp_ne_u16_e32 vcc, s46, v0
	v_bfrev_b32_e32 v1, 1
	s_and_saveexec_b64 s[34:35], vcc
	s_cbranch_execz .LBB6_10761
; %bb.10756:                            ;   in Loop: Header=BB6_10588 Depth=4
	v_and_b32_e32 v1, 0x7c, v0
	v_and_b32_e32 v2, 3, v0
	v_cmp_ne_u32_e32 vcc, s86, v1
                                        ; implicit-def: $vgpr1
	s_and_saveexec_b64 s[62:63], vcc
	s_xor_b64 s[36:37], exec, s[62:63]
	s_cbranch_execz .LBB6_10758
; %bb.10757:                            ;   in Loop: Header=BB6_10588 Depth=4
	v_ffbh_u32_e32 v5, v2
	v_min_u32_e32 v7, 32, v5
	v_and_b32_e32 v3, 0xff, v0
	v_mov_b32_e32 v1, v33
	v_subrev_u32_e32 v5, 29, v7
	v_bfe_u32 v3, v3, 2, 5
	v_lshlrev_b64 v[5:6], v5, v[0:1]
	v_sub_u32_e32 v1, 30, v7
	v_cmp_eq_u32_e32 vcc, 0, v3
	v_and_b32_e32 v5, 3, v5
	v_cndmask_b32_e32 v1, v3, v1, vcc
	v_and_b32_sdwa v0, sext(v0), s87 dst_sel:DWORD dst_unused:UNUSED_PAD src0_sel:WORD_0 src1_sel:DWORD
	v_cndmask_b32_e32 v2, v2, v5, vcc
	v_lshl_add_u32 v0, v1, 23, v0
	v_lshl_or_b32 v0, v2, 21, v0
	v_add_u32_e32 v1, 0x38000000, v0
                                        ; implicit-def: $vgpr2
                                        ; implicit-def: $vgpr0
.LBB6_10758:                            ;   in Loop: Header=BB6_10588 Depth=4
	s_andn2_saveexec_b64 s[36:37], s[36:37]
; %bb.10759:                            ;   in Loop: Header=BB6_10588 Depth=4
	v_cmp_lt_i16_e32 vcc, -1, v0
	v_mov_b32_e32 v0, 0xff800000
	v_mov_b32_e32 v1, 0x7f800000
	v_cndmask_b32_e32 v0, v0, v1, vcc
	v_cmp_eq_u32_e32 vcc, 0, v2
	v_mov_b32_e32 v1, 0x7f800001
	v_cndmask_b32_e32 v1, v1, v0, vcc
; %bb.10760:                            ;   in Loop: Header=BB6_10588 Depth=4
	s_or_b64 exec, exec, s[36:37]
.LBB6_10761:                            ;   in Loop: Header=BB6_10588 Depth=4
	s_or_b64 exec, exec, s[34:35]
.LBB6_10762:                            ;   in Loop: Header=BB6_10588 Depth=4
	s_or_b64 exec, exec, s[28:29]
	v_mul_f32_e32 v0, v4, v1
	v_and_b32_e32 v1, 0x7f800000, v0
	v_mov_b32_e32 v2, v33
	v_cmp_ne_u64_e32 vcc, s[76:77], v[1:2]
	v_and_b32_e32 v32, 0x7fffff, v0
                                        ; implicit-def: $vgpr40
	s_and_saveexec_b64 s[28:29], vcc
	s_xor_b64 s[34:35], exec, s[28:29]
	s_cbranch_execz .LBB6_10780
; %bb.10763:                            ;   in Loop: Header=BB6_10588 Depth=4
	v_and_b32_e32 v1, 0x7fffffff, v0
	v_mov_b32_e32 v2, v33
	v_cmp_gt_u64_e32 vcc, s[78:79], v[1:2]
	v_and_b32_sdwa v3, v0, s97 dst_sel:DWORD dst_unused:UNUSED_PAD src0_sel:BYTE_3 src1_sel:DWORD
                                        ; implicit-def: $vgpr40
	s_and_saveexec_b64 s[28:29], vcc
	s_xor_b64 s[36:37], exec, s[28:29]
	s_cbranch_execz .LBB6_10777
; %bb.10764:                            ;   in Loop: Header=BB6_10588 Depth=4
	v_cmp_ne_u32_e32 vcc, 0, v0
	v_mov_b32_e32 v40, 0
	s_and_saveexec_b64 s[38:39], vcc
	s_cbranch_execz .LBB6_10776
; %bb.10765:                            ;   in Loop: Header=BB6_10588 Depth=4
	v_bfe_u32 v5, v0, 23, 8
	v_cmp_gt_u32_e64 s[28:29], s47, v5
	v_sub_u32_e32 v0, 0x71, v5
	v_cmp_eq_u32_e32 vcc, 0, v5
	v_cndmask_b32_e64 v0, 0, v0, s[28:29]
	v_mov_b32_e32 v2, 0x70
	v_cndmask_b32_e32 v6, v0, v2, vcc
	v_add_u32_e32 v2, 21, v6
	v_or_b32_e32 v1, 0x800000, v32
	v_lshlrev_b64 v[14:15], v2, -1
	v_cndmask_b32_e32 v0, v1, v32, vcc
	v_mov_b32_e32 v1, v33
	v_add_u32_e32 v2, 20, v6
	v_bfi_b32 v14, v14, 0, v0
	v_lshlrev_b64 v[17:18], v2, 1
	v_lshrrev_b64 v[0:1], v6, v[0:1]
	v_bfi_b32 v15, v15, 0, 0
	v_cmp_eq_u64_e64 s[28:29], v[14:15], v[17:18]
	v_mov_b32_e32 v2, v1
	v_mov_b32_e32 v1, v0
	s_and_saveexec_b64 s[48:49], s[28:29]
; %bb.10766:                            ;   in Loop: Header=BB6_10588 Depth=4
	v_bfe_u32 v1, v0, 21, 1
	v_add_co_u32_e64 v1, s[28:29], v0, v1
	v_add_co_u32_e64 v1, s[28:29], -1, v1
; %bb.10767:                            ;   in Loop: Header=BB6_10588 Depth=4
	s_or_b64 exec, exec, s[48:49]
	v_add_u32_e32 v2, 0xffffff81, v5
	v_mov_b32_e32 v5, 0xffffff82
	v_cndmask_b32_e32 v2, v2, v5, vcc
	v_lshrrev_b32_e32 v5, 23, v0
	v_add3_u32 v6, v6, v2, v5
	v_add_u32_e32 v5, 14, v6
	v_and_b32_e32 v1, 0x1fffff, v1
	v_add_u32_e32 v32, v1, v0
	v_cmp_ne_u32_e32 vcc, 0, v5
                                        ; implicit-def: $vgpr0_vgpr1
                                        ; implicit-def: $vgpr2
	s_and_saveexec_b64 s[28:29], vcc
	s_xor_b64 s[28:29], exec, s[28:29]
; %bb.10768:                            ;   in Loop: Header=BB6_10588 Depth=4
	v_cmp_lt_u64_e32 vcc, s[88:89], v[32:33]
	v_add_u32_e32 v0, 15, v6
	v_cndmask_b32_e32 v2, v5, v0, vcc
	v_cndmask_b32_e64 v0, 0, 1, vcc
	v_lshrrev_b64 v[0:1], v0, v[32:33]
; %bb.10769:                            ;   in Loop: Header=BB6_10588 Depth=4
	s_andn2_saveexec_b64 s[28:29], s[28:29]
; %bb.10770:                            ;   in Loop: Header=BB6_10588 Depth=4
	v_mov_b32_e32 v0, v32
	v_mov_b32_e32 v1, v33
	v_bfe_u32 v2, v32, 23, 1
; %bb.10771:                            ;   in Loop: Header=BB6_10588 Depth=4
	s_or_b64 exec, exec, s[28:29]
	v_lshrrev_b64 v[0:1], 21, v[0:1]
	v_cmp_gt_i32_e32 vcc, 32, v2
	v_cndmask_b32_e32 v1, 0, v1, vcc
	v_cndmask_b32_e32 v0, 3, v0, vcc
	v_cmp_ne_u64_e32 vcc, 0, v[0:1]
	v_cmp_ne_u32_e64 s[28:29], 0, v2
	s_or_b64 s[28:29], s[28:29], vcc
                                        ; implicit-def: $vgpr40
	s_and_saveexec_b64 s[62:63], s[28:29]
	s_xor_b64 s[28:29], exec, s[62:63]
; %bb.10772:                            ;   in Loop: Header=BB6_10588 Depth=4
	v_min_i32_e32 v1, 31, v2
	v_lshl_or_b32 v1, v1, 2, v3
	v_and_or_b32 v40, v0, 3, v1
                                        ; implicit-def: $vgpr3
; %bb.10773:                            ;   in Loop: Header=BB6_10588 Depth=4
	s_andn2_saveexec_b64 s[28:29], s[28:29]
; %bb.10774:                            ;   in Loop: Header=BB6_10588 Depth=4
	v_mov_b32_e32 v40, v3
; %bb.10775:                            ;   in Loop: Header=BB6_10588 Depth=4
	s_or_b64 exec, exec, s[28:29]
.LBB6_10776:                            ;   in Loop: Header=BB6_10588 Depth=4
	s_or_b64 exec, exec, s[38:39]
                                        ; implicit-def: $vgpr3
.LBB6_10777:                            ;   in Loop: Header=BB6_10588 Depth=4
	s_andn2_saveexec_b64 s[28:29], s[36:37]
; %bb.10778:                            ;   in Loop: Header=BB6_10588 Depth=4
	v_or_b32_e32 v40, 0x7b, v3
; %bb.10779:                            ;   in Loop: Header=BB6_10588 Depth=4
	s_or_b64 exec, exec, s[28:29]
                                        ; implicit-def: $vgpr0
.LBB6_10780:                            ;   in Loop: Header=BB6_10588 Depth=4
	s_andn2_saveexec_b64 s[28:29], s[34:35]
	s_cbranch_execz .LBB6_10786
; %bb.10781:                            ;   in Loop: Header=BB6_10588 Depth=4
	v_cmp_ne_u64_e32 vcc, 0, v[32:33]
                                        ; implicit-def: $vgpr40
	s_and_saveexec_b64 s[62:63], vcc
	s_xor_b64 vcc, exec, s[62:63]
; %bb.10782:                            ;   in Loop: Header=BB6_10588 Depth=4
	v_or_b32_sdwa v40, v0, s44 dst_sel:DWORD dst_unused:UNUSED_PAD src0_sel:BYTE_3 src1_sel:DWORD
                                        ; implicit-def: $vgpr0
; %bb.10783:                            ;   in Loop: Header=BB6_10588 Depth=4
	s_andn2_saveexec_b64 s[34:35], vcc
; %bb.10784:                            ;   in Loop: Header=BB6_10588 Depth=4
	v_cmp_lt_i32_e32 vcc, -1, v0
	v_mov_b32_e32 v0, 0x7c
	v_cndmask_b32_e32 v40, -4, v0, vcc
; %bb.10785:                            ;   in Loop: Header=BB6_10588 Depth=4
	s_or_b64 exec, exec, s[34:35]
.LBB6_10786:                            ;   in Loop: Header=BB6_10588 Depth=4
	s_or_b64 exec, exec, s[28:29]
	flat_load_sbyte v0, v[8:9] offset:384 glc slc
	v_mov_b32_e32 v1, 0
	s_waitcnt vmcnt(0) lgkmcnt(0)
	v_cmp_ne_u16_e32 vcc, 0, v0
	s_and_saveexec_b64 s[28:29], vcc
	s_cbranch_execz .LBB6_10794
; %bb.10787:                            ;   in Loop: Header=BB6_10588 Depth=4
	v_cmp_ne_u16_e32 vcc, s46, v0
	v_bfrev_b32_e32 v1, 1
	s_and_saveexec_b64 s[34:35], vcc
	s_cbranch_execz .LBB6_10793
; %bb.10788:                            ;   in Loop: Header=BB6_10588 Depth=4
	v_and_b32_e32 v1, 0x7c, v0
	v_and_b32_e32 v2, 3, v0
	v_cmp_ne_u32_e32 vcc, s86, v1
                                        ; implicit-def: $vgpr1
	s_and_saveexec_b64 s[62:63], vcc
	s_xor_b64 s[36:37], exec, s[62:63]
	s_cbranch_execz .LBB6_10790
; %bb.10789:                            ;   in Loop: Header=BB6_10588 Depth=4
	v_ffbh_u32_e32 v5, v2
	v_min_u32_e32 v7, 32, v5
	v_and_b32_e32 v3, 0xff, v0
	v_mov_b32_e32 v1, v33
	v_subrev_u32_e32 v5, 29, v7
	v_bfe_u32 v3, v3, 2, 5
	v_lshlrev_b64 v[5:6], v5, v[0:1]
	v_sub_u32_e32 v1, 30, v7
	v_cmp_eq_u32_e32 vcc, 0, v3
	v_and_b32_e32 v5, 3, v5
	v_cndmask_b32_e32 v1, v3, v1, vcc
	v_and_b32_sdwa v0, sext(v0), s87 dst_sel:DWORD dst_unused:UNUSED_PAD src0_sel:WORD_0 src1_sel:DWORD
	v_cndmask_b32_e32 v2, v2, v5, vcc
	v_lshl_add_u32 v0, v1, 23, v0
	v_lshl_or_b32 v0, v2, 21, v0
	v_add_u32_e32 v1, 0x38000000, v0
                                        ; implicit-def: $vgpr2
                                        ; implicit-def: $vgpr0
.LBB6_10790:                            ;   in Loop: Header=BB6_10588 Depth=4
	s_andn2_saveexec_b64 s[36:37], s[36:37]
; %bb.10791:                            ;   in Loop: Header=BB6_10588 Depth=4
	v_cmp_lt_i16_e32 vcc, -1, v0
	v_mov_b32_e32 v0, 0xff800000
	v_mov_b32_e32 v1, 0x7f800000
	v_cndmask_b32_e32 v0, v0, v1, vcc
	v_cmp_eq_u32_e32 vcc, 0, v2
	v_mov_b32_e32 v1, 0x7f800001
	v_cndmask_b32_e32 v1, v1, v0, vcc
; %bb.10792:                            ;   in Loop: Header=BB6_10588 Depth=4
	s_or_b64 exec, exec, s[36:37]
.LBB6_10793:                            ;   in Loop: Header=BB6_10588 Depth=4
	s_or_b64 exec, exec, s[34:35]
.LBB6_10794:                            ;   in Loop: Header=BB6_10588 Depth=4
	s_or_b64 exec, exec, s[28:29]
	v_mul_f32_e32 v0, v4, v1
	v_and_b32_e32 v1, 0x7f800000, v0
	v_mov_b32_e32 v2, v33
	v_cmp_ne_u64_e32 vcc, s[76:77], v[1:2]
	v_and_b32_e32 v32, 0x7fffff, v0
                                        ; implicit-def: $vgpr1
	buffer_store_dword v1, off, s[0:3], s33 offset:260 ; 4-byte Folded Spill
	s_nop 0
	buffer_store_dword v2, off, s[0:3], s33 offset:264 ; 4-byte Folded Spill
	s_and_saveexec_b64 s[28:29], vcc
	s_xor_b64 s[34:35], exec, s[28:29]
	s_cbranch_execz .LBB6_10812
; %bb.10795:                            ;   in Loop: Header=BB6_10588 Depth=4
	v_and_b32_e32 v1, 0x7fffffff, v0
	v_mov_b32_e32 v2, v33
	v_cmp_gt_u64_e32 vcc, s[78:79], v[1:2]
	v_and_b32_sdwa v3, v0, s97 dst_sel:DWORD dst_unused:UNUSED_PAD src0_sel:BYTE_3 src1_sel:DWORD
                                        ; implicit-def: $vgpr1
	buffer_store_dword v1, off, s[0:3], s33 offset:260 ; 4-byte Folded Spill
	s_nop 0
	buffer_store_dword v2, off, s[0:3], s33 offset:264 ; 4-byte Folded Spill
	s_and_saveexec_b64 s[28:29], vcc
	s_xor_b64 s[36:37], exec, s[28:29]
	s_cbranch_execz .LBB6_10809
; %bb.10796:                            ;   in Loop: Header=BB6_10588 Depth=4
	v_cmp_ne_u32_e32 vcc, 0, v0
	v_mov_b32_e32 v1, 0
	buffer_store_dword v1, off, s[0:3], s33 offset:260 ; 4-byte Folded Spill
	s_nop 0
	buffer_store_dword v2, off, s[0:3], s33 offset:264 ; 4-byte Folded Spill
	s_and_saveexec_b64 s[38:39], vcc
	s_cbranch_execz .LBB6_10808
; %bb.10797:                            ;   in Loop: Header=BB6_10588 Depth=4
	v_bfe_u32 v5, v0, 23, 8
	v_cmp_gt_u32_e64 s[28:29], s47, v5
	v_sub_u32_e32 v0, 0x71, v5
	v_cmp_eq_u32_e32 vcc, 0, v5
	v_cndmask_b32_e64 v0, 0, v0, s[28:29]
	v_mov_b32_e32 v2, 0x70
	v_cndmask_b32_e32 v6, v0, v2, vcc
	v_add_u32_e32 v2, 21, v6
	v_or_b32_e32 v1, 0x800000, v32
	v_lshlrev_b64 v[14:15], v2, -1
	v_cndmask_b32_e32 v0, v1, v32, vcc
	v_mov_b32_e32 v1, v33
	v_add_u32_e32 v2, 20, v6
	v_bfi_b32 v14, v14, 0, v0
	v_lshlrev_b64 v[17:18], v2, 1
	v_lshrrev_b64 v[0:1], v6, v[0:1]
	v_bfi_b32 v15, v15, 0, 0
	v_cmp_eq_u64_e64 s[28:29], v[14:15], v[17:18]
	v_mov_b32_e32 v2, v1
	v_mov_b32_e32 v1, v0
	s_and_saveexec_b64 s[48:49], s[28:29]
; %bb.10798:                            ;   in Loop: Header=BB6_10588 Depth=4
	v_bfe_u32 v1, v0, 21, 1
	v_add_co_u32_e64 v1, s[28:29], v0, v1
	v_add_co_u32_e64 v1, s[28:29], -1, v1
; %bb.10799:                            ;   in Loop: Header=BB6_10588 Depth=4
	s_or_b64 exec, exec, s[48:49]
	v_add_u32_e32 v2, 0xffffff81, v5
	v_mov_b32_e32 v5, 0xffffff82
	v_cndmask_b32_e32 v2, v2, v5, vcc
	v_lshrrev_b32_e32 v5, 23, v0
	v_add3_u32 v6, v6, v2, v5
	v_add_u32_e32 v5, 14, v6
	v_and_b32_e32 v1, 0x1fffff, v1
	v_add_u32_e32 v32, v1, v0
	v_cmp_ne_u32_e32 vcc, 0, v5
                                        ; implicit-def: $vgpr0_vgpr1
                                        ; implicit-def: $vgpr2
	s_and_saveexec_b64 s[28:29], vcc
	s_xor_b64 s[28:29], exec, s[28:29]
; %bb.10800:                            ;   in Loop: Header=BB6_10588 Depth=4
	v_cmp_lt_u64_e32 vcc, s[88:89], v[32:33]
	v_add_u32_e32 v0, 15, v6
	v_cndmask_b32_e32 v2, v5, v0, vcc
	v_cndmask_b32_e64 v0, 0, 1, vcc
	v_lshrrev_b64 v[0:1], v0, v[32:33]
; %bb.10801:                            ;   in Loop: Header=BB6_10588 Depth=4
	s_andn2_saveexec_b64 s[28:29], s[28:29]
; %bb.10802:                            ;   in Loop: Header=BB6_10588 Depth=4
	v_mov_b32_e32 v0, v32
	v_mov_b32_e32 v1, v33
	v_bfe_u32 v2, v32, 23, 1
; %bb.10803:                            ;   in Loop: Header=BB6_10588 Depth=4
	s_or_b64 exec, exec, s[28:29]
	v_lshrrev_b64 v[0:1], 21, v[0:1]
	v_cmp_gt_i32_e32 vcc, 32, v2
	v_cndmask_b32_e32 v1, 0, v1, vcc
	v_cndmask_b32_e32 v0, 3, v0, vcc
	v_cmp_ne_u64_e32 vcc, 0, v[0:1]
	v_cmp_ne_u32_e64 s[28:29], 0, v2
	s_or_b64 s[28:29], s[28:29], vcc
                                        ; implicit-def: $vgpr1
	buffer_store_dword v1, off, s[0:3], s33 offset:260 ; 4-byte Folded Spill
	s_nop 0
	buffer_store_dword v2, off, s[0:3], s33 offset:264 ; 4-byte Folded Spill
	s_and_saveexec_b64 s[62:63], s[28:29]
	s_xor_b64 s[28:29], exec, s[62:63]
	s_cbranch_execz .LBB6_10805
; %bb.10804:                            ;   in Loop: Header=BB6_10588 Depth=4
	v_min_i32_e32 v1, 31, v2
	v_lshl_or_b32 v1, v1, 2, v3
	v_and_or_b32 v0, v0, 3, v1
	buffer_store_dword v0, off, s[0:3], s33 offset:260 ; 4-byte Folded Spill
	s_nop 0
	buffer_store_dword v1, off, s[0:3], s33 offset:264 ; 4-byte Folded Spill
                                        ; implicit-def: $vgpr3
.LBB6_10805:                            ;   in Loop: Header=BB6_10588 Depth=4
	s_andn2_saveexec_b64 s[28:29], s[28:29]
	s_cbranch_execz .LBB6_10807
; %bb.10806:                            ;   in Loop: Header=BB6_10588 Depth=4
	v_mov_b32_e32 v0, v3
	buffer_store_dword v0, off, s[0:3], s33 offset:260 ; 4-byte Folded Spill
	s_nop 0
	buffer_store_dword v1, off, s[0:3], s33 offset:264 ; 4-byte Folded Spill
.LBB6_10807:                            ;   in Loop: Header=BB6_10588 Depth=4
	s_or_b64 exec, exec, s[28:29]
.LBB6_10808:                            ;   in Loop: Header=BB6_10588 Depth=4
	s_or_b64 exec, exec, s[38:39]
                                        ; implicit-def: $vgpr3
.LBB6_10809:                            ;   in Loop: Header=BB6_10588 Depth=4
	s_andn2_saveexec_b64 s[28:29], s[36:37]
	s_cbranch_execz .LBB6_10811
; %bb.10810:                            ;   in Loop: Header=BB6_10588 Depth=4
	v_or_b32_e32 v0, 0x7b, v3
	buffer_store_dword v0, off, s[0:3], s33 offset:260 ; 4-byte Folded Spill
	s_nop 0
	buffer_store_dword v1, off, s[0:3], s33 offset:264 ; 4-byte Folded Spill
.LBB6_10811:                            ;   in Loop: Header=BB6_10588 Depth=4
	s_or_b64 exec, exec, s[28:29]
                                        ; implicit-def: $vgpr0
.LBB6_10812:                            ;   in Loop: Header=BB6_10588 Depth=4
	s_andn2_saveexec_b64 s[28:29], s[34:35]
	s_cbranch_execz .LBB6_10818
; %bb.10813:                            ;   in Loop: Header=BB6_10588 Depth=4
	v_cmp_ne_u64_e32 vcc, 0, v[32:33]
                                        ; implicit-def: $vgpr1
	buffer_store_dword v1, off, s[0:3], s33 offset:260 ; 4-byte Folded Spill
	s_nop 0
	buffer_store_dword v2, off, s[0:3], s33 offset:264 ; 4-byte Folded Spill
	s_and_saveexec_b64 s[62:63], vcc
	s_xor_b64 vcc, exec, s[62:63]
	s_cbranch_execz .LBB6_10815
; %bb.10814:                            ;   in Loop: Header=BB6_10588 Depth=4
	v_or_b32_sdwa v0, v0, s44 dst_sel:DWORD dst_unused:UNUSED_PAD src0_sel:BYTE_3 src1_sel:DWORD
	buffer_store_dword v0, off, s[0:3], s33 offset:260 ; 4-byte Folded Spill
	s_nop 0
	buffer_store_dword v1, off, s[0:3], s33 offset:264 ; 4-byte Folded Spill
                                        ; implicit-def: $vgpr0
.LBB6_10815:                            ;   in Loop: Header=BB6_10588 Depth=4
	s_andn2_saveexec_b64 s[34:35], vcc
	s_cbranch_execz .LBB6_10817
; %bb.10816:                            ;   in Loop: Header=BB6_10588 Depth=4
	v_cmp_lt_i32_e32 vcc, -1, v0
	v_mov_b32_e32 v0, 0x7c
	v_cndmask_b32_e32 v0, -4, v0, vcc
	buffer_store_dword v0, off, s[0:3], s33 offset:260 ; 4-byte Folded Spill
	s_nop 0
	buffer_store_dword v1, off, s[0:3], s33 offset:264 ; 4-byte Folded Spill
.LBB6_10817:                            ;   in Loop: Header=BB6_10588 Depth=4
	s_or_b64 exec, exec, s[34:35]
.LBB6_10818:                            ;   in Loop: Header=BB6_10588 Depth=4
	s_or_b64 exec, exec, s[28:29]
	flat_load_sbyte v0, v[8:9] offset:448 glc slc
	v_mov_b32_e32 v1, 0
	s_waitcnt vmcnt(0) lgkmcnt(0)
	v_cmp_ne_u16_e32 vcc, 0, v0
	s_and_saveexec_b64 s[28:29], vcc
	s_cbranch_execz .LBB6_10826
; %bb.10819:                            ;   in Loop: Header=BB6_10588 Depth=4
	v_cmp_ne_u16_e32 vcc, s46, v0
	v_bfrev_b32_e32 v1, 1
	s_and_saveexec_b64 s[34:35], vcc
	s_cbranch_execz .LBB6_10825
; %bb.10820:                            ;   in Loop: Header=BB6_10588 Depth=4
	v_and_b32_e32 v1, 0x7c, v0
	v_and_b32_e32 v2, 3, v0
	v_cmp_ne_u32_e32 vcc, s86, v1
                                        ; implicit-def: $vgpr1
	s_and_saveexec_b64 s[62:63], vcc
	s_xor_b64 s[36:37], exec, s[62:63]
	s_cbranch_execz .LBB6_10822
; %bb.10821:                            ;   in Loop: Header=BB6_10588 Depth=4
	v_ffbh_u32_e32 v5, v2
	v_min_u32_e32 v7, 32, v5
	v_and_b32_e32 v3, 0xff, v0
	v_mov_b32_e32 v1, v33
	v_subrev_u32_e32 v5, 29, v7
	v_bfe_u32 v3, v3, 2, 5
	v_lshlrev_b64 v[5:6], v5, v[0:1]
	v_sub_u32_e32 v1, 30, v7
	v_cmp_eq_u32_e32 vcc, 0, v3
	v_and_b32_e32 v5, 3, v5
	v_cndmask_b32_e32 v1, v3, v1, vcc
	v_and_b32_sdwa v0, sext(v0), s87 dst_sel:DWORD dst_unused:UNUSED_PAD src0_sel:WORD_0 src1_sel:DWORD
	v_cndmask_b32_e32 v2, v2, v5, vcc
	v_lshl_add_u32 v0, v1, 23, v0
	v_lshl_or_b32 v0, v2, 21, v0
	v_add_u32_e32 v1, 0x38000000, v0
                                        ; implicit-def: $vgpr2
                                        ; implicit-def: $vgpr0
.LBB6_10822:                            ;   in Loop: Header=BB6_10588 Depth=4
	s_andn2_saveexec_b64 s[36:37], s[36:37]
; %bb.10823:                            ;   in Loop: Header=BB6_10588 Depth=4
	v_cmp_lt_i16_e32 vcc, -1, v0
	v_mov_b32_e32 v0, 0xff800000
	v_mov_b32_e32 v1, 0x7f800000
	v_cndmask_b32_e32 v0, v0, v1, vcc
	v_cmp_eq_u32_e32 vcc, 0, v2
	v_mov_b32_e32 v1, 0x7f800001
	v_cndmask_b32_e32 v1, v1, v0, vcc
; %bb.10824:                            ;   in Loop: Header=BB6_10588 Depth=4
	s_or_b64 exec, exec, s[36:37]
.LBB6_10825:                            ;   in Loop: Header=BB6_10588 Depth=4
	s_or_b64 exec, exec, s[34:35]
.LBB6_10826:                            ;   in Loop: Header=BB6_10588 Depth=4
	s_or_b64 exec, exec, s[28:29]
	v_mul_f32_e32 v0, v4, v1
	v_and_b32_e32 v1, 0x7f800000, v0
	v_mov_b32_e32 v2, v33
	v_cmp_ne_u64_e32 vcc, s[76:77], v[1:2]
	v_and_b32_e32 v32, 0x7fffff, v0
                                        ; implicit-def: $vgpr1
	buffer_store_dword v1, off, s[0:3], s33 offset:252 ; 4-byte Folded Spill
	s_nop 0
	buffer_store_dword v2, off, s[0:3], s33 offset:256 ; 4-byte Folded Spill
	s_and_saveexec_b64 s[28:29], vcc
	s_xor_b64 s[34:35], exec, s[28:29]
	s_cbranch_execz .LBB6_10844
; %bb.10827:                            ;   in Loop: Header=BB6_10588 Depth=4
	v_and_b32_e32 v1, 0x7fffffff, v0
	v_mov_b32_e32 v2, v33
	v_cmp_gt_u64_e32 vcc, s[78:79], v[1:2]
	v_and_b32_sdwa v3, v0, s97 dst_sel:DWORD dst_unused:UNUSED_PAD src0_sel:BYTE_3 src1_sel:DWORD
                                        ; implicit-def: $vgpr1
	buffer_store_dword v1, off, s[0:3], s33 offset:252 ; 4-byte Folded Spill
	s_nop 0
	buffer_store_dword v2, off, s[0:3], s33 offset:256 ; 4-byte Folded Spill
	s_and_saveexec_b64 s[28:29], vcc
	s_xor_b64 s[36:37], exec, s[28:29]
	s_cbranch_execz .LBB6_10841
; %bb.10828:                            ;   in Loop: Header=BB6_10588 Depth=4
	v_cmp_ne_u32_e32 vcc, 0, v0
	v_mov_b32_e32 v1, 0
	buffer_store_dword v1, off, s[0:3], s33 offset:252 ; 4-byte Folded Spill
	s_nop 0
	buffer_store_dword v2, off, s[0:3], s33 offset:256 ; 4-byte Folded Spill
	s_and_saveexec_b64 s[38:39], vcc
	s_cbranch_execz .LBB6_10840
; %bb.10829:                            ;   in Loop: Header=BB6_10588 Depth=4
	v_bfe_u32 v5, v0, 23, 8
	v_cmp_gt_u32_e64 s[28:29], s47, v5
	v_sub_u32_e32 v0, 0x71, v5
	v_cmp_eq_u32_e32 vcc, 0, v5
	v_cndmask_b32_e64 v0, 0, v0, s[28:29]
	v_mov_b32_e32 v2, 0x70
	v_cndmask_b32_e32 v6, v0, v2, vcc
	v_add_u32_e32 v2, 21, v6
	v_or_b32_e32 v1, 0x800000, v32
	v_lshlrev_b64 v[14:15], v2, -1
	v_cndmask_b32_e32 v0, v1, v32, vcc
	v_mov_b32_e32 v1, v33
	v_add_u32_e32 v2, 20, v6
	v_bfi_b32 v14, v14, 0, v0
	v_lshlrev_b64 v[17:18], v2, 1
	v_lshrrev_b64 v[0:1], v6, v[0:1]
	v_bfi_b32 v15, v15, 0, 0
	v_cmp_eq_u64_e64 s[28:29], v[14:15], v[17:18]
	v_mov_b32_e32 v2, v1
	v_mov_b32_e32 v1, v0
	s_and_saveexec_b64 s[48:49], s[28:29]
; %bb.10830:                            ;   in Loop: Header=BB6_10588 Depth=4
	v_bfe_u32 v1, v0, 21, 1
	v_add_co_u32_e64 v1, s[28:29], v0, v1
	v_add_co_u32_e64 v1, s[28:29], -1, v1
; %bb.10831:                            ;   in Loop: Header=BB6_10588 Depth=4
	s_or_b64 exec, exec, s[48:49]
	v_add_u32_e32 v2, 0xffffff81, v5
	v_mov_b32_e32 v5, 0xffffff82
	v_cndmask_b32_e32 v2, v2, v5, vcc
	v_lshrrev_b32_e32 v5, 23, v0
	v_add3_u32 v6, v6, v2, v5
	v_add_u32_e32 v5, 14, v6
	v_and_b32_e32 v1, 0x1fffff, v1
	v_add_u32_e32 v32, v1, v0
	v_cmp_ne_u32_e32 vcc, 0, v5
                                        ; implicit-def: $vgpr0_vgpr1
                                        ; implicit-def: $vgpr2
	s_and_saveexec_b64 s[28:29], vcc
	s_xor_b64 s[28:29], exec, s[28:29]
; %bb.10832:                            ;   in Loop: Header=BB6_10588 Depth=4
	v_cmp_lt_u64_e32 vcc, s[88:89], v[32:33]
	v_add_u32_e32 v0, 15, v6
	v_cndmask_b32_e32 v2, v5, v0, vcc
	v_cndmask_b32_e64 v0, 0, 1, vcc
	v_lshrrev_b64 v[0:1], v0, v[32:33]
; %bb.10833:                            ;   in Loop: Header=BB6_10588 Depth=4
	s_andn2_saveexec_b64 s[28:29], s[28:29]
; %bb.10834:                            ;   in Loop: Header=BB6_10588 Depth=4
	v_mov_b32_e32 v0, v32
	v_mov_b32_e32 v1, v33
	v_bfe_u32 v2, v32, 23, 1
; %bb.10835:                            ;   in Loop: Header=BB6_10588 Depth=4
	s_or_b64 exec, exec, s[28:29]
	v_lshrrev_b64 v[0:1], 21, v[0:1]
	v_cmp_gt_i32_e32 vcc, 32, v2
	v_cndmask_b32_e32 v1, 0, v1, vcc
	v_cndmask_b32_e32 v0, 3, v0, vcc
	v_cmp_ne_u64_e32 vcc, 0, v[0:1]
	v_cmp_ne_u32_e64 s[28:29], 0, v2
	s_or_b64 s[28:29], s[28:29], vcc
                                        ; implicit-def: $vgpr1
	buffer_store_dword v1, off, s[0:3], s33 offset:252 ; 4-byte Folded Spill
	s_nop 0
	buffer_store_dword v2, off, s[0:3], s33 offset:256 ; 4-byte Folded Spill
	s_and_saveexec_b64 s[62:63], s[28:29]
	s_xor_b64 s[28:29], exec, s[62:63]
	s_cbranch_execz .LBB6_10837
; %bb.10836:                            ;   in Loop: Header=BB6_10588 Depth=4
	v_min_i32_e32 v1, 31, v2
	v_lshl_or_b32 v1, v1, 2, v3
	v_and_or_b32 v0, v0, 3, v1
	buffer_store_dword v0, off, s[0:3], s33 offset:252 ; 4-byte Folded Spill
	s_nop 0
	buffer_store_dword v1, off, s[0:3], s33 offset:256 ; 4-byte Folded Spill
                                        ; implicit-def: $vgpr3
.LBB6_10837:                            ;   in Loop: Header=BB6_10588 Depth=4
	s_andn2_saveexec_b64 s[28:29], s[28:29]
	s_cbranch_execz .LBB6_10839
; %bb.10838:                            ;   in Loop: Header=BB6_10588 Depth=4
	v_mov_b32_e32 v0, v3
	buffer_store_dword v0, off, s[0:3], s33 offset:252 ; 4-byte Folded Spill
	s_nop 0
	buffer_store_dword v1, off, s[0:3], s33 offset:256 ; 4-byte Folded Spill
.LBB6_10839:                            ;   in Loop: Header=BB6_10588 Depth=4
	s_or_b64 exec, exec, s[28:29]
.LBB6_10840:                            ;   in Loop: Header=BB6_10588 Depth=4
	s_or_b64 exec, exec, s[38:39]
                                        ; implicit-def: $vgpr3
.LBB6_10841:                            ;   in Loop: Header=BB6_10588 Depth=4
	s_andn2_saveexec_b64 s[28:29], s[36:37]
	s_cbranch_execz .LBB6_10843
; %bb.10842:                            ;   in Loop: Header=BB6_10588 Depth=4
	v_or_b32_e32 v0, 0x7b, v3
	buffer_store_dword v0, off, s[0:3], s33 offset:252 ; 4-byte Folded Spill
	s_nop 0
	buffer_store_dword v1, off, s[0:3], s33 offset:256 ; 4-byte Folded Spill
.LBB6_10843:                            ;   in Loop: Header=BB6_10588 Depth=4
	s_or_b64 exec, exec, s[28:29]
                                        ; implicit-def: $vgpr0
.LBB6_10844:                            ;   in Loop: Header=BB6_10588 Depth=4
	s_andn2_saveexec_b64 s[28:29], s[34:35]
	s_cbranch_execz .LBB6_10850
; %bb.10845:                            ;   in Loop: Header=BB6_10588 Depth=4
	v_cmp_ne_u64_e32 vcc, 0, v[32:33]
                                        ; implicit-def: $vgpr1
	buffer_store_dword v1, off, s[0:3], s33 offset:252 ; 4-byte Folded Spill
	s_nop 0
	buffer_store_dword v2, off, s[0:3], s33 offset:256 ; 4-byte Folded Spill
	s_and_saveexec_b64 s[62:63], vcc
	s_xor_b64 vcc, exec, s[62:63]
	s_cbranch_execz .LBB6_10847
; %bb.10846:                            ;   in Loop: Header=BB6_10588 Depth=4
	v_or_b32_sdwa v0, v0, s44 dst_sel:DWORD dst_unused:UNUSED_PAD src0_sel:BYTE_3 src1_sel:DWORD
	buffer_store_dword v0, off, s[0:3], s33 offset:252 ; 4-byte Folded Spill
	s_nop 0
	buffer_store_dword v1, off, s[0:3], s33 offset:256 ; 4-byte Folded Spill
                                        ; implicit-def: $vgpr0
.LBB6_10847:                            ;   in Loop: Header=BB6_10588 Depth=4
	s_andn2_saveexec_b64 s[34:35], vcc
	s_cbranch_execz .LBB6_10849
; %bb.10848:                            ;   in Loop: Header=BB6_10588 Depth=4
	v_cmp_lt_i32_e32 vcc, -1, v0
	v_mov_b32_e32 v0, 0x7c
	v_cndmask_b32_e32 v0, -4, v0, vcc
	buffer_store_dword v0, off, s[0:3], s33 offset:252 ; 4-byte Folded Spill
	s_nop 0
	buffer_store_dword v1, off, s[0:3], s33 offset:256 ; 4-byte Folded Spill
.LBB6_10849:                            ;   in Loop: Header=BB6_10588 Depth=4
	s_or_b64 exec, exec, s[34:35]
.LBB6_10850:                            ;   in Loop: Header=BB6_10588 Depth=4
	s_or_b64 exec, exec, s[28:29]
	flat_load_sbyte v0, v[8:9] offset:512 glc slc
	v_mov_b32_e32 v1, 0
	s_waitcnt vmcnt(0) lgkmcnt(0)
	v_cmp_ne_u16_e32 vcc, 0, v0
	s_and_saveexec_b64 s[28:29], vcc
	s_cbranch_execz .LBB6_10858
; %bb.10851:                            ;   in Loop: Header=BB6_10588 Depth=4
	v_cmp_ne_u16_e32 vcc, s46, v0
	v_bfrev_b32_e32 v1, 1
	s_and_saveexec_b64 s[34:35], vcc
	s_cbranch_execz .LBB6_10857
; %bb.10852:                            ;   in Loop: Header=BB6_10588 Depth=4
	v_and_b32_e32 v1, 0x7c, v0
	v_and_b32_e32 v2, 3, v0
	v_cmp_ne_u32_e32 vcc, s86, v1
                                        ; implicit-def: $vgpr1
	s_and_saveexec_b64 s[62:63], vcc
	s_xor_b64 s[36:37], exec, s[62:63]
	s_cbranch_execz .LBB6_10854
; %bb.10853:                            ;   in Loop: Header=BB6_10588 Depth=4
	v_ffbh_u32_e32 v5, v2
	v_min_u32_e32 v7, 32, v5
	v_and_b32_e32 v3, 0xff, v0
	v_mov_b32_e32 v1, v33
	v_subrev_u32_e32 v5, 29, v7
	v_bfe_u32 v3, v3, 2, 5
	v_lshlrev_b64 v[5:6], v5, v[0:1]
	v_sub_u32_e32 v1, 30, v7
	v_cmp_eq_u32_e32 vcc, 0, v3
	v_and_b32_e32 v5, 3, v5
	v_cndmask_b32_e32 v1, v3, v1, vcc
	v_and_b32_sdwa v0, sext(v0), s87 dst_sel:DWORD dst_unused:UNUSED_PAD src0_sel:WORD_0 src1_sel:DWORD
	v_cndmask_b32_e32 v2, v2, v5, vcc
	v_lshl_add_u32 v0, v1, 23, v0
	v_lshl_or_b32 v0, v2, 21, v0
	v_add_u32_e32 v1, 0x38000000, v0
                                        ; implicit-def: $vgpr2
                                        ; implicit-def: $vgpr0
.LBB6_10854:                            ;   in Loop: Header=BB6_10588 Depth=4
	s_andn2_saveexec_b64 s[36:37], s[36:37]
; %bb.10855:                            ;   in Loop: Header=BB6_10588 Depth=4
	v_cmp_lt_i16_e32 vcc, -1, v0
	v_mov_b32_e32 v0, 0xff800000
	v_mov_b32_e32 v1, 0x7f800000
	v_cndmask_b32_e32 v0, v0, v1, vcc
	v_cmp_eq_u32_e32 vcc, 0, v2
	v_mov_b32_e32 v1, 0x7f800001
	v_cndmask_b32_e32 v1, v1, v0, vcc
; %bb.10856:                            ;   in Loop: Header=BB6_10588 Depth=4
	s_or_b64 exec, exec, s[36:37]
.LBB6_10857:                            ;   in Loop: Header=BB6_10588 Depth=4
	s_or_b64 exec, exec, s[34:35]
.LBB6_10858:                            ;   in Loop: Header=BB6_10588 Depth=4
	s_or_b64 exec, exec, s[28:29]
	v_mul_f32_e32 v0, v4, v1
	v_and_b32_e32 v1, 0x7f800000, v0
	v_mov_b32_e32 v2, v33
	v_cmp_ne_u64_e32 vcc, s[76:77], v[1:2]
	v_and_b32_e32 v32, 0x7fffff, v0
                                        ; implicit-def: $vgpr1
	buffer_store_dword v1, off, s[0:3], s33 offset:244 ; 4-byte Folded Spill
	s_nop 0
	buffer_store_dword v2, off, s[0:3], s33 offset:248 ; 4-byte Folded Spill
	s_and_saveexec_b64 s[28:29], vcc
	s_xor_b64 s[34:35], exec, s[28:29]
	s_cbranch_execz .LBB6_10876
; %bb.10859:                            ;   in Loop: Header=BB6_10588 Depth=4
	v_and_b32_e32 v1, 0x7fffffff, v0
	v_mov_b32_e32 v2, v33
	v_cmp_gt_u64_e32 vcc, s[78:79], v[1:2]
	v_and_b32_sdwa v3, v0, s97 dst_sel:DWORD dst_unused:UNUSED_PAD src0_sel:BYTE_3 src1_sel:DWORD
                                        ; implicit-def: $vgpr1
	buffer_store_dword v1, off, s[0:3], s33 offset:244 ; 4-byte Folded Spill
	s_nop 0
	buffer_store_dword v2, off, s[0:3], s33 offset:248 ; 4-byte Folded Spill
	s_and_saveexec_b64 s[28:29], vcc
	s_xor_b64 s[36:37], exec, s[28:29]
	s_cbranch_execz .LBB6_10873
; %bb.10860:                            ;   in Loop: Header=BB6_10588 Depth=4
	v_cmp_ne_u32_e32 vcc, 0, v0
	v_mov_b32_e32 v1, 0
	buffer_store_dword v1, off, s[0:3], s33 offset:244 ; 4-byte Folded Spill
	s_nop 0
	buffer_store_dword v2, off, s[0:3], s33 offset:248 ; 4-byte Folded Spill
	s_and_saveexec_b64 s[38:39], vcc
	s_cbranch_execz .LBB6_10872
; %bb.10861:                            ;   in Loop: Header=BB6_10588 Depth=4
	v_bfe_u32 v5, v0, 23, 8
	v_cmp_gt_u32_e64 s[28:29], s47, v5
	v_sub_u32_e32 v0, 0x71, v5
	v_cmp_eq_u32_e32 vcc, 0, v5
	v_cndmask_b32_e64 v0, 0, v0, s[28:29]
	v_mov_b32_e32 v2, 0x70
	v_cndmask_b32_e32 v6, v0, v2, vcc
	v_add_u32_e32 v2, 21, v6
	v_or_b32_e32 v1, 0x800000, v32
	v_lshlrev_b64 v[14:15], v2, -1
	v_cndmask_b32_e32 v0, v1, v32, vcc
	v_mov_b32_e32 v1, v33
	v_add_u32_e32 v2, 20, v6
	v_bfi_b32 v14, v14, 0, v0
	v_lshlrev_b64 v[17:18], v2, 1
	v_lshrrev_b64 v[0:1], v6, v[0:1]
	v_bfi_b32 v15, v15, 0, 0
	v_cmp_eq_u64_e64 s[28:29], v[14:15], v[17:18]
	v_mov_b32_e32 v2, v1
	v_mov_b32_e32 v1, v0
	s_and_saveexec_b64 s[48:49], s[28:29]
; %bb.10862:                            ;   in Loop: Header=BB6_10588 Depth=4
	v_bfe_u32 v1, v0, 21, 1
	v_add_co_u32_e64 v1, s[28:29], v0, v1
	v_add_co_u32_e64 v1, s[28:29], -1, v1
; %bb.10863:                            ;   in Loop: Header=BB6_10588 Depth=4
	s_or_b64 exec, exec, s[48:49]
	v_add_u32_e32 v2, 0xffffff81, v5
	v_mov_b32_e32 v5, 0xffffff82
	v_cndmask_b32_e32 v2, v2, v5, vcc
	v_lshrrev_b32_e32 v5, 23, v0
	v_add3_u32 v6, v6, v2, v5
	v_add_u32_e32 v5, 14, v6
	v_and_b32_e32 v1, 0x1fffff, v1
	v_add_u32_e32 v32, v1, v0
	v_cmp_ne_u32_e32 vcc, 0, v5
                                        ; implicit-def: $vgpr0_vgpr1
                                        ; implicit-def: $vgpr2
	s_and_saveexec_b64 s[28:29], vcc
	s_xor_b64 s[28:29], exec, s[28:29]
; %bb.10864:                            ;   in Loop: Header=BB6_10588 Depth=4
	v_cmp_lt_u64_e32 vcc, s[88:89], v[32:33]
	v_add_u32_e32 v0, 15, v6
	v_cndmask_b32_e32 v2, v5, v0, vcc
	v_cndmask_b32_e64 v0, 0, 1, vcc
	v_lshrrev_b64 v[0:1], v0, v[32:33]
; %bb.10865:                            ;   in Loop: Header=BB6_10588 Depth=4
	s_andn2_saveexec_b64 s[28:29], s[28:29]
; %bb.10866:                            ;   in Loop: Header=BB6_10588 Depth=4
	v_mov_b32_e32 v0, v32
	v_mov_b32_e32 v1, v33
	v_bfe_u32 v2, v32, 23, 1
; %bb.10867:                            ;   in Loop: Header=BB6_10588 Depth=4
	s_or_b64 exec, exec, s[28:29]
	v_lshrrev_b64 v[0:1], 21, v[0:1]
	v_cmp_gt_i32_e32 vcc, 32, v2
	v_cndmask_b32_e32 v1, 0, v1, vcc
	v_cndmask_b32_e32 v0, 3, v0, vcc
	v_cmp_ne_u64_e32 vcc, 0, v[0:1]
	v_cmp_ne_u32_e64 s[28:29], 0, v2
	s_or_b64 s[28:29], s[28:29], vcc
                                        ; implicit-def: $vgpr1
	buffer_store_dword v1, off, s[0:3], s33 offset:244 ; 4-byte Folded Spill
	s_nop 0
	buffer_store_dword v2, off, s[0:3], s33 offset:248 ; 4-byte Folded Spill
	s_and_saveexec_b64 s[62:63], s[28:29]
	s_xor_b64 s[28:29], exec, s[62:63]
	s_cbranch_execz .LBB6_10869
; %bb.10868:                            ;   in Loop: Header=BB6_10588 Depth=4
	v_min_i32_e32 v1, 31, v2
	v_lshl_or_b32 v1, v1, 2, v3
	v_and_or_b32 v0, v0, 3, v1
	buffer_store_dword v0, off, s[0:3], s33 offset:244 ; 4-byte Folded Spill
	s_nop 0
	buffer_store_dword v1, off, s[0:3], s33 offset:248 ; 4-byte Folded Spill
                                        ; implicit-def: $vgpr3
.LBB6_10869:                            ;   in Loop: Header=BB6_10588 Depth=4
	s_andn2_saveexec_b64 s[28:29], s[28:29]
	s_cbranch_execz .LBB6_10871
; %bb.10870:                            ;   in Loop: Header=BB6_10588 Depth=4
	v_mov_b32_e32 v0, v3
	buffer_store_dword v0, off, s[0:3], s33 offset:244 ; 4-byte Folded Spill
	s_nop 0
	buffer_store_dword v1, off, s[0:3], s33 offset:248 ; 4-byte Folded Spill
.LBB6_10871:                            ;   in Loop: Header=BB6_10588 Depth=4
	s_or_b64 exec, exec, s[28:29]
.LBB6_10872:                            ;   in Loop: Header=BB6_10588 Depth=4
	s_or_b64 exec, exec, s[38:39]
                                        ; implicit-def: $vgpr3
.LBB6_10873:                            ;   in Loop: Header=BB6_10588 Depth=4
	s_andn2_saveexec_b64 s[28:29], s[36:37]
	s_cbranch_execz .LBB6_10875
; %bb.10874:                            ;   in Loop: Header=BB6_10588 Depth=4
	v_or_b32_e32 v0, 0x7b, v3
	buffer_store_dword v0, off, s[0:3], s33 offset:244 ; 4-byte Folded Spill
	s_nop 0
	buffer_store_dword v1, off, s[0:3], s33 offset:248 ; 4-byte Folded Spill
.LBB6_10875:                            ;   in Loop: Header=BB6_10588 Depth=4
	s_or_b64 exec, exec, s[28:29]
                                        ; implicit-def: $vgpr0
.LBB6_10876:                            ;   in Loop: Header=BB6_10588 Depth=4
	s_andn2_saveexec_b64 s[28:29], s[34:35]
	s_cbranch_execz .LBB6_10882
; %bb.10877:                            ;   in Loop: Header=BB6_10588 Depth=4
	v_cmp_ne_u64_e32 vcc, 0, v[32:33]
                                        ; implicit-def: $vgpr1
	buffer_store_dword v1, off, s[0:3], s33 offset:244 ; 4-byte Folded Spill
	s_nop 0
	buffer_store_dword v2, off, s[0:3], s33 offset:248 ; 4-byte Folded Spill
	s_and_saveexec_b64 s[62:63], vcc
	s_xor_b64 vcc, exec, s[62:63]
	s_cbranch_execz .LBB6_10879
; %bb.10878:                            ;   in Loop: Header=BB6_10588 Depth=4
	v_or_b32_sdwa v0, v0, s44 dst_sel:DWORD dst_unused:UNUSED_PAD src0_sel:BYTE_3 src1_sel:DWORD
	buffer_store_dword v0, off, s[0:3], s33 offset:244 ; 4-byte Folded Spill
	s_nop 0
	buffer_store_dword v1, off, s[0:3], s33 offset:248 ; 4-byte Folded Spill
                                        ; implicit-def: $vgpr0
.LBB6_10879:                            ;   in Loop: Header=BB6_10588 Depth=4
	s_andn2_saveexec_b64 s[34:35], vcc
	s_cbranch_execz .LBB6_10881
; %bb.10880:                            ;   in Loop: Header=BB6_10588 Depth=4
	v_cmp_lt_i32_e32 vcc, -1, v0
	v_mov_b32_e32 v0, 0x7c
	v_cndmask_b32_e32 v0, -4, v0, vcc
	buffer_store_dword v0, off, s[0:3], s33 offset:244 ; 4-byte Folded Spill
	s_nop 0
	buffer_store_dword v1, off, s[0:3], s33 offset:248 ; 4-byte Folded Spill
.LBB6_10881:                            ;   in Loop: Header=BB6_10588 Depth=4
	s_or_b64 exec, exec, s[34:35]
.LBB6_10882:                            ;   in Loop: Header=BB6_10588 Depth=4
	s_or_b64 exec, exec, s[28:29]
	flat_load_sbyte v0, v[8:9] offset:576 glc slc
	v_mov_b32_e32 v1, 0
	s_waitcnt vmcnt(0) lgkmcnt(0)
	v_cmp_ne_u16_e32 vcc, 0, v0
	s_and_saveexec_b64 s[28:29], vcc
	s_cbranch_execz .LBB6_10890
; %bb.10883:                            ;   in Loop: Header=BB6_10588 Depth=4
	v_cmp_ne_u16_e32 vcc, s46, v0
	v_bfrev_b32_e32 v1, 1
	s_and_saveexec_b64 s[34:35], vcc
	s_cbranch_execz .LBB6_10889
; %bb.10884:                            ;   in Loop: Header=BB6_10588 Depth=4
	v_and_b32_e32 v1, 0x7c, v0
	v_and_b32_e32 v2, 3, v0
	v_cmp_ne_u32_e32 vcc, s86, v1
                                        ; implicit-def: $vgpr1
	s_and_saveexec_b64 s[62:63], vcc
	s_xor_b64 s[36:37], exec, s[62:63]
	s_cbranch_execz .LBB6_10886
; %bb.10885:                            ;   in Loop: Header=BB6_10588 Depth=4
	v_ffbh_u32_e32 v5, v2
	v_min_u32_e32 v7, 32, v5
	v_and_b32_e32 v3, 0xff, v0
	v_mov_b32_e32 v1, v33
	v_subrev_u32_e32 v5, 29, v7
	v_bfe_u32 v3, v3, 2, 5
	v_lshlrev_b64 v[5:6], v5, v[0:1]
	v_sub_u32_e32 v1, 30, v7
	v_cmp_eq_u32_e32 vcc, 0, v3
	v_and_b32_e32 v5, 3, v5
	v_cndmask_b32_e32 v1, v3, v1, vcc
	v_and_b32_sdwa v0, sext(v0), s87 dst_sel:DWORD dst_unused:UNUSED_PAD src0_sel:WORD_0 src1_sel:DWORD
	v_cndmask_b32_e32 v2, v2, v5, vcc
	v_lshl_add_u32 v0, v1, 23, v0
	v_lshl_or_b32 v0, v2, 21, v0
	v_add_u32_e32 v1, 0x38000000, v0
                                        ; implicit-def: $vgpr2
                                        ; implicit-def: $vgpr0
.LBB6_10886:                            ;   in Loop: Header=BB6_10588 Depth=4
	s_andn2_saveexec_b64 s[36:37], s[36:37]
; %bb.10887:                            ;   in Loop: Header=BB6_10588 Depth=4
	v_cmp_lt_i16_e32 vcc, -1, v0
	v_mov_b32_e32 v0, 0xff800000
	v_mov_b32_e32 v1, 0x7f800000
	v_cndmask_b32_e32 v0, v0, v1, vcc
	v_cmp_eq_u32_e32 vcc, 0, v2
	v_mov_b32_e32 v1, 0x7f800001
	v_cndmask_b32_e32 v1, v1, v0, vcc
; %bb.10888:                            ;   in Loop: Header=BB6_10588 Depth=4
	s_or_b64 exec, exec, s[36:37]
.LBB6_10889:                            ;   in Loop: Header=BB6_10588 Depth=4
	s_or_b64 exec, exec, s[34:35]
.LBB6_10890:                            ;   in Loop: Header=BB6_10588 Depth=4
	s_or_b64 exec, exec, s[28:29]
	v_mul_f32_e32 v1, v4, v1
	v_and_b32_e32 v2, 0x7f800000, v1
	v_mov_b32_e32 v3, v33
	v_cmp_ne_u64_e32 vcc, s[76:77], v[2:3]
	v_and_b32_e32 v32, 0x7fffff, v1
                                        ; implicit-def: $vgpr0
	s_and_saveexec_b64 s[28:29], vcc
	s_xor_b64 s[34:35], exec, s[28:29]
	s_cbranch_execz .LBB6_10908
; %bb.10891:                            ;   in Loop: Header=BB6_10588 Depth=4
	v_and_b32_e32 v2, 0x7fffffff, v1
	v_mov_b32_e32 v3, v33
	v_cmp_gt_u64_e32 vcc, s[78:79], v[2:3]
	v_and_b32_sdwa v3, v1, s97 dst_sel:DWORD dst_unused:UNUSED_PAD src0_sel:BYTE_3 src1_sel:DWORD
                                        ; implicit-def: $vgpr0
	s_and_saveexec_b64 s[28:29], vcc
	s_xor_b64 s[36:37], exec, s[28:29]
	s_cbranch_execz .LBB6_10905
; %bb.10892:                            ;   in Loop: Header=BB6_10588 Depth=4
	v_cmp_ne_u32_e32 vcc, 0, v1
	v_mov_b32_e32 v0, 0
	s_and_saveexec_b64 s[38:39], vcc
	s_cbranch_execz .LBB6_10904
; %bb.10893:                            ;   in Loop: Header=BB6_10588 Depth=4
	v_bfe_u32 v5, v1, 23, 8
	v_cmp_gt_u32_e64 s[28:29], s47, v5
	v_sub_u32_e32 v0, 0x71, v5
	v_cmp_eq_u32_e32 vcc, 0, v5
	v_cndmask_b32_e64 v0, 0, v0, s[28:29]
	v_mov_b32_e32 v2, 0x70
	v_cndmask_b32_e32 v6, v0, v2, vcc
	v_add_u32_e32 v2, 21, v6
	v_or_b32_e32 v1, 0x800000, v32
	v_lshlrev_b64 v[14:15], v2, -1
	v_cndmask_b32_e32 v0, v1, v32, vcc
	v_mov_b32_e32 v1, v33
	v_add_u32_e32 v2, 20, v6
	v_bfi_b32 v14, v14, 0, v0
	v_lshlrev_b64 v[17:18], v2, 1
	v_lshrrev_b64 v[0:1], v6, v[0:1]
	v_bfi_b32 v15, v15, 0, 0
	v_cmp_eq_u64_e64 s[28:29], v[14:15], v[17:18]
	v_mov_b32_e32 v2, v1
	v_mov_b32_e32 v1, v0
	s_and_saveexec_b64 s[48:49], s[28:29]
; %bb.10894:                            ;   in Loop: Header=BB6_10588 Depth=4
	v_bfe_u32 v1, v0, 21, 1
	v_add_co_u32_e64 v1, s[28:29], v0, v1
	v_add_co_u32_e64 v1, s[28:29], -1, v1
; %bb.10895:                            ;   in Loop: Header=BB6_10588 Depth=4
	s_or_b64 exec, exec, s[48:49]
	v_add_u32_e32 v2, 0xffffff81, v5
	v_mov_b32_e32 v5, 0xffffff82
	v_cndmask_b32_e32 v2, v2, v5, vcc
	v_lshrrev_b32_e32 v5, 23, v0
	v_add3_u32 v6, v6, v2, v5
	v_add_u32_e32 v2, 14, v6
	v_and_b32_e32 v1, 0x1fffff, v1
	v_add_u32_e32 v32, v1, v0
	v_cmp_ne_u32_e32 vcc, 0, v2
                                        ; implicit-def: $vgpr0_vgpr1
                                        ; implicit-def: $vgpr5
	s_and_saveexec_b64 s[28:29], vcc
	s_xor_b64 s[28:29], exec, s[28:29]
; %bb.10896:                            ;   in Loop: Header=BB6_10588 Depth=4
	v_cmp_lt_u64_e32 vcc, s[88:89], v[32:33]
	v_add_u32_e32 v0, 15, v6
	v_cndmask_b32_e32 v5, v2, v0, vcc
	v_cndmask_b32_e64 v0, 0, 1, vcc
	v_lshrrev_b64 v[0:1], v0, v[32:33]
; %bb.10897:                            ;   in Loop: Header=BB6_10588 Depth=4
	s_andn2_saveexec_b64 s[28:29], s[28:29]
; %bb.10898:                            ;   in Loop: Header=BB6_10588 Depth=4
	v_mov_b32_e32 v0, v32
	v_mov_b32_e32 v1, v33
	v_bfe_u32 v5, v32, 23, 1
; %bb.10899:                            ;   in Loop: Header=BB6_10588 Depth=4
	s_or_b64 exec, exec, s[28:29]
	v_lshrrev_b64 v[0:1], 21, v[0:1]
	v_cmp_gt_i32_e32 vcc, 32, v5
	v_cndmask_b32_e32 v2, 0, v1, vcc
	v_cndmask_b32_e32 v1, 3, v0, vcc
	v_cmp_ne_u64_e32 vcc, 0, v[1:2]
	v_cmp_ne_u32_e64 s[28:29], 0, v5
	s_or_b64 s[28:29], s[28:29], vcc
                                        ; implicit-def: $vgpr0
	s_and_saveexec_b64 s[62:63], s[28:29]
	s_xor_b64 s[28:29], exec, s[62:63]
; %bb.10900:                            ;   in Loop: Header=BB6_10588 Depth=4
	v_min_i32_e32 v0, 31, v5
	v_lshl_or_b32 v0, v0, 2, v3
	v_and_or_b32 v0, v1, 3, v0
                                        ; implicit-def: $vgpr3
; %bb.10901:                            ;   in Loop: Header=BB6_10588 Depth=4
	s_andn2_saveexec_b64 s[28:29], s[28:29]
; %bb.10902:                            ;   in Loop: Header=BB6_10588 Depth=4
	v_mov_b32_e32 v0, v3
; %bb.10903:                            ;   in Loop: Header=BB6_10588 Depth=4
	s_or_b64 exec, exec, s[28:29]
.LBB6_10904:                            ;   in Loop: Header=BB6_10588 Depth=4
	s_or_b64 exec, exec, s[38:39]
                                        ; implicit-def: $vgpr3
.LBB6_10905:                            ;   in Loop: Header=BB6_10588 Depth=4
	s_andn2_saveexec_b64 s[28:29], s[36:37]
; %bb.10906:                            ;   in Loop: Header=BB6_10588 Depth=4
	v_or_b32_e32 v0, 0x7b, v3
; %bb.10907:                            ;   in Loop: Header=BB6_10588 Depth=4
	s_or_b64 exec, exec, s[28:29]
                                        ; implicit-def: $vgpr1
.LBB6_10908:                            ;   in Loop: Header=BB6_10588 Depth=4
	s_andn2_saveexec_b64 s[28:29], s[34:35]
	s_cbranch_execz .LBB6_10914
; %bb.10909:                            ;   in Loop: Header=BB6_10588 Depth=4
	v_cmp_ne_u64_e32 vcc, 0, v[32:33]
                                        ; implicit-def: $vgpr0
	s_and_saveexec_b64 s[62:63], vcc
	s_xor_b64 vcc, exec, s[62:63]
; %bb.10910:                            ;   in Loop: Header=BB6_10588 Depth=4
	v_or_b32_sdwa v0, v1, s44 dst_sel:DWORD dst_unused:UNUSED_PAD src0_sel:BYTE_3 src1_sel:DWORD
                                        ; implicit-def: $vgpr1
; %bb.10911:                            ;   in Loop: Header=BB6_10588 Depth=4
	s_andn2_saveexec_b64 s[34:35], vcc
; %bb.10912:                            ;   in Loop: Header=BB6_10588 Depth=4
	v_cmp_lt_i32_e32 vcc, -1, v1
	v_mov_b32_e32 v0, 0x7c
	v_cndmask_b32_e32 v0, -4, v0, vcc
; %bb.10913:                            ;   in Loop: Header=BB6_10588 Depth=4
	s_or_b64 exec, exec, s[34:35]
.LBB6_10914:                            ;   in Loop: Header=BB6_10588 Depth=4
	s_or_b64 exec, exec, s[28:29]
	flat_load_sbyte v1, v[8:9] offset:640 glc slc
	v_mov_b32_e32 v2, 0
	s_waitcnt vmcnt(0) lgkmcnt(0)
	v_cmp_ne_u16_e32 vcc, 0, v1
	s_and_saveexec_b64 s[28:29], vcc
	s_cbranch_execz .LBB6_10922
; %bb.10915:                            ;   in Loop: Header=BB6_10588 Depth=4
	v_cmp_ne_u16_e32 vcc, s46, v1
	v_bfrev_b32_e32 v2, 1
	s_and_saveexec_b64 s[34:35], vcc
	s_cbranch_execz .LBB6_10921
; %bb.10916:                            ;   in Loop: Header=BB6_10588 Depth=4
	v_and_b32_e32 v2, 0x7c, v1
	v_and_b32_e32 v3, 3, v1
	v_cmp_ne_u32_e32 vcc, s86, v2
                                        ; implicit-def: $vgpr2
	s_and_saveexec_b64 s[62:63], vcc
	s_xor_b64 s[36:37], exec, s[62:63]
	s_cbranch_execz .LBB6_10918
; %bb.10917:                            ;   in Loop: Header=BB6_10588 Depth=4
	v_and_b32_e32 v5, 0xff, v1
	v_bfe_u32 v7, v5, 2, 5
	v_ffbh_u32_e32 v5, v3
	v_min_u32_e32 v14, 32, v5
	v_mov_b32_e32 v2, v33
	v_subrev_u32_e32 v5, 29, v14
	v_lshlrev_b64 v[5:6], v5, v[1:2]
	v_sub_u32_e32 v2, 30, v14
	v_cmp_eq_u32_e32 vcc, 0, v7
	v_and_b32_e32 v5, 3, v5
	v_cndmask_b32_e32 v2, v7, v2, vcc
	v_and_b32_sdwa v1, sext(v1), s87 dst_sel:DWORD dst_unused:UNUSED_PAD src0_sel:WORD_0 src1_sel:DWORD
	v_cndmask_b32_e32 v3, v3, v5, vcc
	v_lshl_add_u32 v1, v2, 23, v1
	v_lshl_or_b32 v1, v3, 21, v1
	v_add_u32_e32 v2, 0x38000000, v1
                                        ; implicit-def: $vgpr3
                                        ; implicit-def: $vgpr1
.LBB6_10918:                            ;   in Loop: Header=BB6_10588 Depth=4
	s_andn2_saveexec_b64 s[36:37], s[36:37]
; %bb.10919:                            ;   in Loop: Header=BB6_10588 Depth=4
	v_cmp_lt_i16_e32 vcc, -1, v1
	v_mov_b32_e32 v1, 0xff800000
	v_mov_b32_e32 v2, 0x7f800000
	v_cndmask_b32_e32 v1, v1, v2, vcc
	v_cmp_eq_u32_e32 vcc, 0, v3
	v_mov_b32_e32 v2, 0x7f800001
	v_cndmask_b32_e32 v2, v2, v1, vcc
; %bb.10920:                            ;   in Loop: Header=BB6_10588 Depth=4
	s_or_b64 exec, exec, s[36:37]
.LBB6_10921:                            ;   in Loop: Header=BB6_10588 Depth=4
	s_or_b64 exec, exec, s[34:35]
.LBB6_10922:                            ;   in Loop: Header=BB6_10588 Depth=4
	s_or_b64 exec, exec, s[28:29]
	v_mul_f32_e32 v1, v4, v2
	v_and_b32_e32 v2, 0x7f800000, v1
	v_mov_b32_e32 v3, v33
	v_cmp_ne_u64_e32 vcc, s[76:77], v[2:3]
	v_and_b32_e32 v32, 0x7fffff, v1
                                        ; implicit-def: $vgpr2
	buffer_store_dword v2, off, s[0:3], s33 offset:236 ; 4-byte Folded Spill
	s_nop 0
	buffer_store_dword v3, off, s[0:3], s33 offset:240 ; 4-byte Folded Spill
	s_and_saveexec_b64 s[28:29], vcc
	s_xor_b64 s[34:35], exec, s[28:29]
	s_cbranch_execz .LBB6_10940
; %bb.10923:                            ;   in Loop: Header=BB6_10588 Depth=4
	v_and_b32_e32 v2, 0x7fffffff, v1
	v_mov_b32_e32 v3, v33
	v_cmp_gt_u64_e32 vcc, s[78:79], v[2:3]
	v_and_b32_sdwa v5, v1, s97 dst_sel:DWORD dst_unused:UNUSED_PAD src0_sel:BYTE_3 src1_sel:DWORD
                                        ; implicit-def: $vgpr2
	buffer_store_dword v2, off, s[0:3], s33 offset:236 ; 4-byte Folded Spill
	s_nop 0
	buffer_store_dword v3, off, s[0:3], s33 offset:240 ; 4-byte Folded Spill
	s_and_saveexec_b64 s[28:29], vcc
	s_xor_b64 s[36:37], exec, s[28:29]
	s_cbranch_execz .LBB6_10937
; %bb.10924:                            ;   in Loop: Header=BB6_10588 Depth=4
	v_cmp_ne_u32_e32 vcc, 0, v1
	v_mov_b32_e32 v2, 0
	buffer_store_dword v2, off, s[0:3], s33 offset:236 ; 4-byte Folded Spill
	s_nop 0
	buffer_store_dword v3, off, s[0:3], s33 offset:240 ; 4-byte Folded Spill
	s_and_saveexec_b64 s[38:39], vcc
	s_cbranch_execz .LBB6_10936
; %bb.10925:                            ;   in Loop: Header=BB6_10588 Depth=4
	v_bfe_u32 v6, v1, 23, 8
	v_cmp_gt_u32_e64 s[28:29], s47, v6
	v_sub_u32_e32 v1, 0x71, v6
	v_cmp_eq_u32_e32 vcc, 0, v6
	v_cndmask_b32_e64 v1, 0, v1, s[28:29]
	v_mov_b32_e32 v3, 0x70
	v_cndmask_b32_e32 v7, v1, v3, vcc
	v_add_u32_e32 v3, 21, v7
	v_or_b32_e32 v2, 0x800000, v32
	v_lshlrev_b64 v[14:15], v3, -1
	v_cndmask_b32_e32 v1, v2, v32, vcc
	v_mov_b32_e32 v2, v33
	v_add_u32_e32 v3, 20, v7
	v_bfi_b32 v14, v14, 0, v1
	v_lshlrev_b64 v[17:18], v3, 1
	v_lshrrev_b64 v[1:2], v7, v[1:2]
	v_bfi_b32 v15, v15, 0, 0
	v_cmp_eq_u64_e64 s[28:29], v[14:15], v[17:18]
	v_mov_b32_e32 v3, v2
	v_mov_b32_e32 v2, v1
	s_and_saveexec_b64 s[48:49], s[28:29]
; %bb.10926:                            ;   in Loop: Header=BB6_10588 Depth=4
	v_bfe_u32 v2, v1, 21, 1
	v_add_co_u32_e64 v2, s[28:29], v1, v2
	v_add_co_u32_e64 v2, s[28:29], -1, v2
; %bb.10927:                            ;   in Loop: Header=BB6_10588 Depth=4
	s_or_b64 exec, exec, s[48:49]
	v_add_u32_e32 v3, 0xffffff81, v6
	v_mov_b32_e32 v6, 0xffffff82
	v_cndmask_b32_e32 v3, v3, v6, vcc
	v_lshrrev_b32_e32 v6, 23, v1
	v_add3_u32 v7, v7, v3, v6
	v_add_u32_e32 v6, 14, v7
	v_and_b32_e32 v2, 0x1fffff, v2
	v_add_u32_e32 v32, v2, v1
	v_cmp_ne_u32_e32 vcc, 0, v6
                                        ; implicit-def: $vgpr1_vgpr2
                                        ; implicit-def: $vgpr3
	s_and_saveexec_b64 s[28:29], vcc
	s_xor_b64 s[28:29], exec, s[28:29]
; %bb.10928:                            ;   in Loop: Header=BB6_10588 Depth=4
	v_cmp_lt_u64_e32 vcc, s[88:89], v[32:33]
	v_add_u32_e32 v1, 15, v7
	v_cndmask_b32_e32 v3, v6, v1, vcc
	v_cndmask_b32_e64 v1, 0, 1, vcc
	v_lshrrev_b64 v[1:2], v1, v[32:33]
; %bb.10929:                            ;   in Loop: Header=BB6_10588 Depth=4
	s_andn2_saveexec_b64 s[28:29], s[28:29]
; %bb.10930:                            ;   in Loop: Header=BB6_10588 Depth=4
	v_mov_b32_e32 v1, v32
	v_mov_b32_e32 v2, v33
	v_bfe_u32 v3, v32, 23, 1
; %bb.10931:                            ;   in Loop: Header=BB6_10588 Depth=4
	s_or_b64 exec, exec, s[28:29]
	v_lshrrev_b64 v[1:2], 21, v[1:2]
	v_cmp_gt_i32_e32 vcc, 32, v3
	v_cndmask_b32_e32 v2, 0, v2, vcc
	v_cndmask_b32_e32 v1, 3, v1, vcc
	v_cmp_ne_u64_e32 vcc, 0, v[1:2]
	v_cmp_ne_u32_e64 s[28:29], 0, v3
	s_or_b64 s[28:29], s[28:29], vcc
                                        ; implicit-def: $vgpr2
	buffer_store_dword v2, off, s[0:3], s33 offset:236 ; 4-byte Folded Spill
	s_nop 0
	buffer_store_dword v3, off, s[0:3], s33 offset:240 ; 4-byte Folded Spill
	s_and_saveexec_b64 s[62:63], s[28:29]
	s_xor_b64 s[28:29], exec, s[62:63]
	s_cbranch_execz .LBB6_10933
; %bb.10932:                            ;   in Loop: Header=BB6_10588 Depth=4
	v_min_i32_e32 v2, 31, v3
	v_lshl_or_b32 v2, v2, 2, v5
	v_and_or_b32 v1, v1, 3, v2
	buffer_store_dword v1, off, s[0:3], s33 offset:236 ; 4-byte Folded Spill
	s_nop 0
	buffer_store_dword v2, off, s[0:3], s33 offset:240 ; 4-byte Folded Spill
                                        ; implicit-def: $vgpr5
.LBB6_10933:                            ;   in Loop: Header=BB6_10588 Depth=4
	s_andn2_saveexec_b64 s[28:29], s[28:29]
	s_cbranch_execz .LBB6_10935
; %bb.10934:                            ;   in Loop: Header=BB6_10588 Depth=4
	v_mov_b32_e32 v1, v5
	buffer_store_dword v1, off, s[0:3], s33 offset:236 ; 4-byte Folded Spill
	s_nop 0
	buffer_store_dword v2, off, s[0:3], s33 offset:240 ; 4-byte Folded Spill
.LBB6_10935:                            ;   in Loop: Header=BB6_10588 Depth=4
	s_or_b64 exec, exec, s[28:29]
.LBB6_10936:                            ;   in Loop: Header=BB6_10588 Depth=4
	s_or_b64 exec, exec, s[38:39]
                                        ; implicit-def: $vgpr5
.LBB6_10937:                            ;   in Loop: Header=BB6_10588 Depth=4
	s_andn2_saveexec_b64 s[28:29], s[36:37]
	s_cbranch_execz .LBB6_10939
; %bb.10938:                            ;   in Loop: Header=BB6_10588 Depth=4
	v_or_b32_e32 v1, 0x7b, v5
	buffer_store_dword v1, off, s[0:3], s33 offset:236 ; 4-byte Folded Spill
	s_nop 0
	buffer_store_dword v2, off, s[0:3], s33 offset:240 ; 4-byte Folded Spill
.LBB6_10939:                            ;   in Loop: Header=BB6_10588 Depth=4
	s_or_b64 exec, exec, s[28:29]
                                        ; implicit-def: $vgpr1
.LBB6_10940:                            ;   in Loop: Header=BB6_10588 Depth=4
	s_andn2_saveexec_b64 s[28:29], s[34:35]
	s_cbranch_execz .LBB6_10946
; %bb.10941:                            ;   in Loop: Header=BB6_10588 Depth=4
	v_cmp_ne_u64_e32 vcc, 0, v[32:33]
                                        ; implicit-def: $vgpr2
	buffer_store_dword v2, off, s[0:3], s33 offset:236 ; 4-byte Folded Spill
	s_nop 0
	buffer_store_dword v3, off, s[0:3], s33 offset:240 ; 4-byte Folded Spill
	s_and_saveexec_b64 s[62:63], vcc
	s_xor_b64 vcc, exec, s[62:63]
	s_cbranch_execz .LBB6_10943
; %bb.10942:                            ;   in Loop: Header=BB6_10588 Depth=4
	v_or_b32_sdwa v1, v1, s44 dst_sel:DWORD dst_unused:UNUSED_PAD src0_sel:BYTE_3 src1_sel:DWORD
	buffer_store_dword v1, off, s[0:3], s33 offset:236 ; 4-byte Folded Spill
	s_nop 0
	buffer_store_dword v2, off, s[0:3], s33 offset:240 ; 4-byte Folded Spill
                                        ; implicit-def: $vgpr1
.LBB6_10943:                            ;   in Loop: Header=BB6_10588 Depth=4
	s_andn2_saveexec_b64 s[34:35], vcc
	s_cbranch_execz .LBB6_10945
; %bb.10944:                            ;   in Loop: Header=BB6_10588 Depth=4
	v_cmp_lt_i32_e32 vcc, -1, v1
	v_mov_b32_e32 v1, 0x7c
	v_cndmask_b32_e32 v1, -4, v1, vcc
	buffer_store_dword v1, off, s[0:3], s33 offset:236 ; 4-byte Folded Spill
	s_nop 0
	buffer_store_dword v2, off, s[0:3], s33 offset:240 ; 4-byte Folded Spill
.LBB6_10945:                            ;   in Loop: Header=BB6_10588 Depth=4
	s_or_b64 exec, exec, s[34:35]
.LBB6_10946:                            ;   in Loop: Header=BB6_10588 Depth=4
	s_or_b64 exec, exec, s[28:29]
	flat_load_sbyte v1, v[8:9] offset:704 glc slc
	v_mov_b32_e32 v2, 0
	s_waitcnt vmcnt(0) lgkmcnt(0)
	v_cmp_ne_u16_e32 vcc, 0, v1
	s_and_saveexec_b64 s[28:29], vcc
	s_cbranch_execz .LBB6_10954
; %bb.10947:                            ;   in Loop: Header=BB6_10588 Depth=4
	v_cmp_ne_u16_e32 vcc, s46, v1
	v_bfrev_b32_e32 v2, 1
	s_and_saveexec_b64 s[34:35], vcc
	s_cbranch_execz .LBB6_10953
; %bb.10948:                            ;   in Loop: Header=BB6_10588 Depth=4
	v_and_b32_e32 v2, 0x7c, v1
	v_and_b32_e32 v3, 3, v1
	v_cmp_ne_u32_e32 vcc, s86, v2
                                        ; implicit-def: $vgpr2
	s_and_saveexec_b64 s[62:63], vcc
	s_xor_b64 s[36:37], exec, s[62:63]
	s_cbranch_execz .LBB6_10950
; %bb.10949:                            ;   in Loop: Header=BB6_10588 Depth=4
	v_and_b32_e32 v5, 0xff, v1
	v_bfe_u32 v7, v5, 2, 5
	v_ffbh_u32_e32 v5, v3
	v_min_u32_e32 v14, 32, v5
	v_mov_b32_e32 v2, v33
	v_subrev_u32_e32 v5, 29, v14
	v_lshlrev_b64 v[5:6], v5, v[1:2]
	v_sub_u32_e32 v2, 30, v14
	v_cmp_eq_u32_e32 vcc, 0, v7
	v_and_b32_e32 v5, 3, v5
	v_cndmask_b32_e32 v2, v7, v2, vcc
	v_and_b32_sdwa v1, sext(v1), s87 dst_sel:DWORD dst_unused:UNUSED_PAD src0_sel:WORD_0 src1_sel:DWORD
	v_cndmask_b32_e32 v3, v3, v5, vcc
	v_lshl_add_u32 v1, v2, 23, v1
	v_lshl_or_b32 v1, v3, 21, v1
	v_add_u32_e32 v2, 0x38000000, v1
                                        ; implicit-def: $vgpr3
                                        ; implicit-def: $vgpr1
.LBB6_10950:                            ;   in Loop: Header=BB6_10588 Depth=4
	s_andn2_saveexec_b64 s[36:37], s[36:37]
; %bb.10951:                            ;   in Loop: Header=BB6_10588 Depth=4
	v_cmp_lt_i16_e32 vcc, -1, v1
	v_mov_b32_e32 v1, 0xff800000
	v_mov_b32_e32 v2, 0x7f800000
	v_cndmask_b32_e32 v1, v1, v2, vcc
	v_cmp_eq_u32_e32 vcc, 0, v3
	v_mov_b32_e32 v2, 0x7f800001
	v_cndmask_b32_e32 v2, v2, v1, vcc
; %bb.10952:                            ;   in Loop: Header=BB6_10588 Depth=4
	s_or_b64 exec, exec, s[36:37]
.LBB6_10953:                            ;   in Loop: Header=BB6_10588 Depth=4
	s_or_b64 exec, exec, s[34:35]
.LBB6_10954:                            ;   in Loop: Header=BB6_10588 Depth=4
	s_or_b64 exec, exec, s[28:29]
	v_mul_f32_e32 v1, v4, v2
	v_and_b32_e32 v2, 0x7f800000, v1
	v_mov_b32_e32 v3, v33
	v_cmp_ne_u64_e32 vcc, s[76:77], v[2:3]
	v_and_b32_e32 v32, 0x7fffff, v1
                                        ; implicit-def: $vgpr2
	buffer_store_dword v2, off, s[0:3], s33 offset:228 ; 4-byte Folded Spill
	s_nop 0
	buffer_store_dword v3, off, s[0:3], s33 offset:232 ; 4-byte Folded Spill
	s_and_saveexec_b64 s[28:29], vcc
	s_xor_b64 s[34:35], exec, s[28:29]
	s_cbranch_execz .LBB6_10972
; %bb.10955:                            ;   in Loop: Header=BB6_10588 Depth=4
	v_and_b32_e32 v2, 0x7fffffff, v1
	v_mov_b32_e32 v3, v33
	v_cmp_gt_u64_e32 vcc, s[78:79], v[2:3]
	v_and_b32_sdwa v5, v1, s97 dst_sel:DWORD dst_unused:UNUSED_PAD src0_sel:BYTE_3 src1_sel:DWORD
                                        ; implicit-def: $vgpr2
	buffer_store_dword v2, off, s[0:3], s33 offset:228 ; 4-byte Folded Spill
	s_nop 0
	buffer_store_dword v3, off, s[0:3], s33 offset:232 ; 4-byte Folded Spill
	s_and_saveexec_b64 s[28:29], vcc
	s_xor_b64 s[36:37], exec, s[28:29]
	s_cbranch_execz .LBB6_10969
; %bb.10956:                            ;   in Loop: Header=BB6_10588 Depth=4
	v_cmp_ne_u32_e32 vcc, 0, v1
	v_mov_b32_e32 v2, 0
	buffer_store_dword v2, off, s[0:3], s33 offset:228 ; 4-byte Folded Spill
	s_nop 0
	buffer_store_dword v3, off, s[0:3], s33 offset:232 ; 4-byte Folded Spill
	s_and_saveexec_b64 s[38:39], vcc
	s_cbranch_execz .LBB6_10968
; %bb.10957:                            ;   in Loop: Header=BB6_10588 Depth=4
	v_bfe_u32 v6, v1, 23, 8
	v_cmp_gt_u32_e64 s[28:29], s47, v6
	v_sub_u32_e32 v1, 0x71, v6
	v_cmp_eq_u32_e32 vcc, 0, v6
	v_cndmask_b32_e64 v1, 0, v1, s[28:29]
	v_mov_b32_e32 v3, 0x70
	v_cndmask_b32_e32 v7, v1, v3, vcc
	v_add_u32_e32 v3, 21, v7
	v_or_b32_e32 v2, 0x800000, v32
	v_lshlrev_b64 v[14:15], v3, -1
	v_cndmask_b32_e32 v1, v2, v32, vcc
	v_mov_b32_e32 v2, v33
	v_add_u32_e32 v3, 20, v7
	v_bfi_b32 v14, v14, 0, v1
	v_lshlrev_b64 v[17:18], v3, 1
	v_lshrrev_b64 v[1:2], v7, v[1:2]
	v_bfi_b32 v15, v15, 0, 0
	v_cmp_eq_u64_e64 s[28:29], v[14:15], v[17:18]
	v_mov_b32_e32 v3, v2
	v_mov_b32_e32 v2, v1
	s_and_saveexec_b64 s[48:49], s[28:29]
; %bb.10958:                            ;   in Loop: Header=BB6_10588 Depth=4
	v_bfe_u32 v2, v1, 21, 1
	v_add_co_u32_e64 v2, s[28:29], v1, v2
	v_add_co_u32_e64 v2, s[28:29], -1, v2
; %bb.10959:                            ;   in Loop: Header=BB6_10588 Depth=4
	s_or_b64 exec, exec, s[48:49]
	v_add_u32_e32 v3, 0xffffff81, v6
	v_mov_b32_e32 v6, 0xffffff82
	v_cndmask_b32_e32 v3, v3, v6, vcc
	v_lshrrev_b32_e32 v6, 23, v1
	v_add3_u32 v7, v7, v3, v6
	v_add_u32_e32 v6, 14, v7
	v_and_b32_e32 v2, 0x1fffff, v2
	v_add_u32_e32 v32, v2, v1
	v_cmp_ne_u32_e32 vcc, 0, v6
                                        ; implicit-def: $vgpr1_vgpr2
                                        ; implicit-def: $vgpr3
	s_and_saveexec_b64 s[28:29], vcc
	s_xor_b64 s[28:29], exec, s[28:29]
; %bb.10960:                            ;   in Loop: Header=BB6_10588 Depth=4
	v_cmp_lt_u64_e32 vcc, s[88:89], v[32:33]
	v_add_u32_e32 v1, 15, v7
	v_cndmask_b32_e32 v3, v6, v1, vcc
	v_cndmask_b32_e64 v1, 0, 1, vcc
	v_lshrrev_b64 v[1:2], v1, v[32:33]
; %bb.10961:                            ;   in Loop: Header=BB6_10588 Depth=4
	s_andn2_saveexec_b64 s[28:29], s[28:29]
; %bb.10962:                            ;   in Loop: Header=BB6_10588 Depth=4
	v_mov_b32_e32 v1, v32
	v_mov_b32_e32 v2, v33
	v_bfe_u32 v3, v32, 23, 1
; %bb.10963:                            ;   in Loop: Header=BB6_10588 Depth=4
	s_or_b64 exec, exec, s[28:29]
	v_lshrrev_b64 v[1:2], 21, v[1:2]
	v_cmp_gt_i32_e32 vcc, 32, v3
	v_cndmask_b32_e32 v2, 0, v2, vcc
	v_cndmask_b32_e32 v1, 3, v1, vcc
	v_cmp_ne_u64_e32 vcc, 0, v[1:2]
	v_cmp_ne_u32_e64 s[28:29], 0, v3
	s_or_b64 s[28:29], s[28:29], vcc
                                        ; implicit-def: $vgpr2
	buffer_store_dword v2, off, s[0:3], s33 offset:228 ; 4-byte Folded Spill
	s_nop 0
	buffer_store_dword v3, off, s[0:3], s33 offset:232 ; 4-byte Folded Spill
	s_and_saveexec_b64 s[62:63], s[28:29]
	s_xor_b64 s[28:29], exec, s[62:63]
	s_cbranch_execz .LBB6_10965
; %bb.10964:                            ;   in Loop: Header=BB6_10588 Depth=4
	v_min_i32_e32 v2, 31, v3
	v_lshl_or_b32 v2, v2, 2, v5
	v_and_or_b32 v1, v1, 3, v2
	buffer_store_dword v1, off, s[0:3], s33 offset:228 ; 4-byte Folded Spill
	s_nop 0
	buffer_store_dword v2, off, s[0:3], s33 offset:232 ; 4-byte Folded Spill
                                        ; implicit-def: $vgpr5
.LBB6_10965:                            ;   in Loop: Header=BB6_10588 Depth=4
	s_andn2_saveexec_b64 s[28:29], s[28:29]
	s_cbranch_execz .LBB6_10967
; %bb.10966:                            ;   in Loop: Header=BB6_10588 Depth=4
	v_mov_b32_e32 v1, v5
	buffer_store_dword v1, off, s[0:3], s33 offset:228 ; 4-byte Folded Spill
	s_nop 0
	buffer_store_dword v2, off, s[0:3], s33 offset:232 ; 4-byte Folded Spill
.LBB6_10967:                            ;   in Loop: Header=BB6_10588 Depth=4
	s_or_b64 exec, exec, s[28:29]
.LBB6_10968:                            ;   in Loop: Header=BB6_10588 Depth=4
	s_or_b64 exec, exec, s[38:39]
                                        ; implicit-def: $vgpr5
.LBB6_10969:                            ;   in Loop: Header=BB6_10588 Depth=4
	s_andn2_saveexec_b64 s[28:29], s[36:37]
	s_cbranch_execz .LBB6_10971
; %bb.10970:                            ;   in Loop: Header=BB6_10588 Depth=4
	v_or_b32_e32 v1, 0x7b, v5
	buffer_store_dword v1, off, s[0:3], s33 offset:228 ; 4-byte Folded Spill
	s_nop 0
	buffer_store_dword v2, off, s[0:3], s33 offset:232 ; 4-byte Folded Spill
.LBB6_10971:                            ;   in Loop: Header=BB6_10588 Depth=4
	s_or_b64 exec, exec, s[28:29]
                                        ; implicit-def: $vgpr1
.LBB6_10972:                            ;   in Loop: Header=BB6_10588 Depth=4
	s_andn2_saveexec_b64 s[28:29], s[34:35]
	s_cbranch_execz .LBB6_10978
; %bb.10973:                            ;   in Loop: Header=BB6_10588 Depth=4
	v_cmp_ne_u64_e32 vcc, 0, v[32:33]
                                        ; implicit-def: $vgpr2
	buffer_store_dword v2, off, s[0:3], s33 offset:228 ; 4-byte Folded Spill
	s_nop 0
	buffer_store_dword v3, off, s[0:3], s33 offset:232 ; 4-byte Folded Spill
	s_and_saveexec_b64 s[62:63], vcc
	s_xor_b64 vcc, exec, s[62:63]
	s_cbranch_execz .LBB6_10975
; %bb.10974:                            ;   in Loop: Header=BB6_10588 Depth=4
	v_or_b32_sdwa v1, v1, s44 dst_sel:DWORD dst_unused:UNUSED_PAD src0_sel:BYTE_3 src1_sel:DWORD
	buffer_store_dword v1, off, s[0:3], s33 offset:228 ; 4-byte Folded Spill
	s_nop 0
	buffer_store_dword v2, off, s[0:3], s33 offset:232 ; 4-byte Folded Spill
                                        ; implicit-def: $vgpr1
.LBB6_10975:                            ;   in Loop: Header=BB6_10588 Depth=4
	s_andn2_saveexec_b64 s[34:35], vcc
	s_cbranch_execz .LBB6_10977
; %bb.10976:                            ;   in Loop: Header=BB6_10588 Depth=4
	v_cmp_lt_i32_e32 vcc, -1, v1
	v_mov_b32_e32 v1, 0x7c
	v_cndmask_b32_e32 v1, -4, v1, vcc
	buffer_store_dword v1, off, s[0:3], s33 offset:228 ; 4-byte Folded Spill
	s_nop 0
	buffer_store_dword v2, off, s[0:3], s33 offset:232 ; 4-byte Folded Spill
.LBB6_10977:                            ;   in Loop: Header=BB6_10588 Depth=4
	s_or_b64 exec, exec, s[34:35]
.LBB6_10978:                            ;   in Loop: Header=BB6_10588 Depth=4
	s_or_b64 exec, exec, s[28:29]
	flat_load_sbyte v1, v[8:9] offset:768 glc slc
	v_mov_b32_e32 v2, 0
	s_waitcnt vmcnt(0) lgkmcnt(0)
	v_cmp_ne_u16_e32 vcc, 0, v1
	s_and_saveexec_b64 s[28:29], vcc
	s_cbranch_execz .LBB6_10986
; %bb.10979:                            ;   in Loop: Header=BB6_10588 Depth=4
	v_cmp_ne_u16_e32 vcc, s46, v1
	v_bfrev_b32_e32 v2, 1
	s_and_saveexec_b64 s[34:35], vcc
	s_cbranch_execz .LBB6_10985
; %bb.10980:                            ;   in Loop: Header=BB6_10588 Depth=4
	v_and_b32_e32 v2, 0x7c, v1
	v_and_b32_e32 v3, 3, v1
	v_cmp_ne_u32_e32 vcc, s86, v2
                                        ; implicit-def: $vgpr2
	s_and_saveexec_b64 s[62:63], vcc
	s_xor_b64 s[36:37], exec, s[62:63]
	s_cbranch_execz .LBB6_10982
; %bb.10981:                            ;   in Loop: Header=BB6_10588 Depth=4
	v_and_b32_e32 v5, 0xff, v1
	v_bfe_u32 v7, v5, 2, 5
	v_ffbh_u32_e32 v5, v3
	v_min_u32_e32 v14, 32, v5
	v_mov_b32_e32 v2, v33
	v_subrev_u32_e32 v5, 29, v14
	v_lshlrev_b64 v[5:6], v5, v[1:2]
	v_sub_u32_e32 v2, 30, v14
	v_cmp_eq_u32_e32 vcc, 0, v7
	v_and_b32_e32 v5, 3, v5
	v_cndmask_b32_e32 v2, v7, v2, vcc
	v_and_b32_sdwa v1, sext(v1), s87 dst_sel:DWORD dst_unused:UNUSED_PAD src0_sel:WORD_0 src1_sel:DWORD
	v_cndmask_b32_e32 v3, v3, v5, vcc
	v_lshl_add_u32 v1, v2, 23, v1
	v_lshl_or_b32 v1, v3, 21, v1
	v_add_u32_e32 v2, 0x38000000, v1
                                        ; implicit-def: $vgpr3
                                        ; implicit-def: $vgpr1
.LBB6_10982:                            ;   in Loop: Header=BB6_10588 Depth=4
	s_andn2_saveexec_b64 s[36:37], s[36:37]
; %bb.10983:                            ;   in Loop: Header=BB6_10588 Depth=4
	v_cmp_lt_i16_e32 vcc, -1, v1
	v_mov_b32_e32 v1, 0xff800000
	v_mov_b32_e32 v2, 0x7f800000
	v_cndmask_b32_e32 v1, v1, v2, vcc
	v_cmp_eq_u32_e32 vcc, 0, v3
	v_mov_b32_e32 v2, 0x7f800001
	v_cndmask_b32_e32 v2, v2, v1, vcc
; %bb.10984:                            ;   in Loop: Header=BB6_10588 Depth=4
	s_or_b64 exec, exec, s[36:37]
.LBB6_10985:                            ;   in Loop: Header=BB6_10588 Depth=4
	s_or_b64 exec, exec, s[34:35]
.LBB6_10986:                            ;   in Loop: Header=BB6_10588 Depth=4
	s_or_b64 exec, exec, s[28:29]
	v_mul_f32_e32 v1, v4, v2
	v_and_b32_e32 v2, 0x7f800000, v1
	v_mov_b32_e32 v3, v33
	v_cmp_ne_u64_e32 vcc, s[76:77], v[2:3]
	v_and_b32_e32 v32, 0x7fffff, v1
                                        ; implicit-def: $vgpr2
	buffer_store_dword v2, off, s[0:3], s33 offset:220 ; 4-byte Folded Spill
	s_nop 0
	buffer_store_dword v3, off, s[0:3], s33 offset:224 ; 4-byte Folded Spill
	s_and_saveexec_b64 s[28:29], vcc
	s_xor_b64 s[34:35], exec, s[28:29]
	s_cbranch_execz .LBB6_11004
; %bb.10987:                            ;   in Loop: Header=BB6_10588 Depth=4
	v_and_b32_e32 v2, 0x7fffffff, v1
	v_mov_b32_e32 v3, v33
	v_cmp_gt_u64_e32 vcc, s[78:79], v[2:3]
	v_and_b32_sdwa v5, v1, s97 dst_sel:DWORD dst_unused:UNUSED_PAD src0_sel:BYTE_3 src1_sel:DWORD
                                        ; implicit-def: $vgpr2
	buffer_store_dword v2, off, s[0:3], s33 offset:220 ; 4-byte Folded Spill
	s_nop 0
	buffer_store_dword v3, off, s[0:3], s33 offset:224 ; 4-byte Folded Spill
	s_and_saveexec_b64 s[28:29], vcc
	s_xor_b64 s[36:37], exec, s[28:29]
	s_cbranch_execz .LBB6_11001
; %bb.10988:                            ;   in Loop: Header=BB6_10588 Depth=4
	v_cmp_ne_u32_e32 vcc, 0, v1
	v_mov_b32_e32 v2, 0
	buffer_store_dword v2, off, s[0:3], s33 offset:220 ; 4-byte Folded Spill
	s_nop 0
	buffer_store_dword v3, off, s[0:3], s33 offset:224 ; 4-byte Folded Spill
	s_and_saveexec_b64 s[38:39], vcc
	s_cbranch_execz .LBB6_11000
; %bb.10989:                            ;   in Loop: Header=BB6_10588 Depth=4
	v_bfe_u32 v6, v1, 23, 8
	v_cmp_gt_u32_e64 s[28:29], s47, v6
	v_sub_u32_e32 v1, 0x71, v6
	v_cmp_eq_u32_e32 vcc, 0, v6
	v_cndmask_b32_e64 v1, 0, v1, s[28:29]
	v_mov_b32_e32 v3, 0x70
	v_cndmask_b32_e32 v7, v1, v3, vcc
	v_add_u32_e32 v3, 21, v7
	v_or_b32_e32 v2, 0x800000, v32
	v_lshlrev_b64 v[14:15], v3, -1
	v_cndmask_b32_e32 v1, v2, v32, vcc
	v_mov_b32_e32 v2, v33
	v_add_u32_e32 v3, 20, v7
	v_bfi_b32 v14, v14, 0, v1
	v_lshlrev_b64 v[17:18], v3, 1
	v_lshrrev_b64 v[1:2], v7, v[1:2]
	v_bfi_b32 v15, v15, 0, 0
	v_cmp_eq_u64_e64 s[28:29], v[14:15], v[17:18]
	v_mov_b32_e32 v3, v2
	v_mov_b32_e32 v2, v1
	s_and_saveexec_b64 s[48:49], s[28:29]
; %bb.10990:                            ;   in Loop: Header=BB6_10588 Depth=4
	v_bfe_u32 v2, v1, 21, 1
	v_add_co_u32_e64 v2, s[28:29], v1, v2
	v_add_co_u32_e64 v2, s[28:29], -1, v2
; %bb.10991:                            ;   in Loop: Header=BB6_10588 Depth=4
	s_or_b64 exec, exec, s[48:49]
	v_add_u32_e32 v3, 0xffffff81, v6
	v_mov_b32_e32 v6, 0xffffff82
	v_cndmask_b32_e32 v3, v3, v6, vcc
	v_lshrrev_b32_e32 v6, 23, v1
	v_add3_u32 v7, v7, v3, v6
	v_add_u32_e32 v6, 14, v7
	v_and_b32_e32 v2, 0x1fffff, v2
	v_add_u32_e32 v32, v2, v1
	v_cmp_ne_u32_e32 vcc, 0, v6
                                        ; implicit-def: $vgpr1_vgpr2
                                        ; implicit-def: $vgpr3
	s_and_saveexec_b64 s[28:29], vcc
	s_xor_b64 s[28:29], exec, s[28:29]
; %bb.10992:                            ;   in Loop: Header=BB6_10588 Depth=4
	v_cmp_lt_u64_e32 vcc, s[88:89], v[32:33]
	v_add_u32_e32 v1, 15, v7
	v_cndmask_b32_e32 v3, v6, v1, vcc
	v_cndmask_b32_e64 v1, 0, 1, vcc
	v_lshrrev_b64 v[1:2], v1, v[32:33]
; %bb.10993:                            ;   in Loop: Header=BB6_10588 Depth=4
	s_andn2_saveexec_b64 s[28:29], s[28:29]
; %bb.10994:                            ;   in Loop: Header=BB6_10588 Depth=4
	v_mov_b32_e32 v1, v32
	v_mov_b32_e32 v2, v33
	v_bfe_u32 v3, v32, 23, 1
; %bb.10995:                            ;   in Loop: Header=BB6_10588 Depth=4
	s_or_b64 exec, exec, s[28:29]
	v_lshrrev_b64 v[1:2], 21, v[1:2]
	v_cmp_gt_i32_e32 vcc, 32, v3
	v_cndmask_b32_e32 v2, 0, v2, vcc
	v_cndmask_b32_e32 v1, 3, v1, vcc
	v_cmp_ne_u64_e32 vcc, 0, v[1:2]
	v_cmp_ne_u32_e64 s[28:29], 0, v3
	s_or_b64 s[28:29], s[28:29], vcc
                                        ; implicit-def: $vgpr2
	buffer_store_dword v2, off, s[0:3], s33 offset:220 ; 4-byte Folded Spill
	s_nop 0
	buffer_store_dword v3, off, s[0:3], s33 offset:224 ; 4-byte Folded Spill
	s_and_saveexec_b64 s[62:63], s[28:29]
	s_xor_b64 s[28:29], exec, s[62:63]
	s_cbranch_execz .LBB6_10997
; %bb.10996:                            ;   in Loop: Header=BB6_10588 Depth=4
	v_min_i32_e32 v2, 31, v3
	v_lshl_or_b32 v2, v2, 2, v5
	v_and_or_b32 v1, v1, 3, v2
	buffer_store_dword v1, off, s[0:3], s33 offset:220 ; 4-byte Folded Spill
	s_nop 0
	buffer_store_dword v2, off, s[0:3], s33 offset:224 ; 4-byte Folded Spill
                                        ; implicit-def: $vgpr5
.LBB6_10997:                            ;   in Loop: Header=BB6_10588 Depth=4
	s_andn2_saveexec_b64 s[28:29], s[28:29]
	s_cbranch_execz .LBB6_10999
; %bb.10998:                            ;   in Loop: Header=BB6_10588 Depth=4
	v_mov_b32_e32 v1, v5
	buffer_store_dword v1, off, s[0:3], s33 offset:220 ; 4-byte Folded Spill
	s_nop 0
	buffer_store_dword v2, off, s[0:3], s33 offset:224 ; 4-byte Folded Spill
.LBB6_10999:                            ;   in Loop: Header=BB6_10588 Depth=4
	s_or_b64 exec, exec, s[28:29]
.LBB6_11000:                            ;   in Loop: Header=BB6_10588 Depth=4
	s_or_b64 exec, exec, s[38:39]
                                        ; implicit-def: $vgpr5
.LBB6_11001:                            ;   in Loop: Header=BB6_10588 Depth=4
	s_andn2_saveexec_b64 s[28:29], s[36:37]
	s_cbranch_execz .LBB6_11003
; %bb.11002:                            ;   in Loop: Header=BB6_10588 Depth=4
	v_or_b32_e32 v1, 0x7b, v5
	buffer_store_dword v1, off, s[0:3], s33 offset:220 ; 4-byte Folded Spill
	s_nop 0
	buffer_store_dword v2, off, s[0:3], s33 offset:224 ; 4-byte Folded Spill
.LBB6_11003:                            ;   in Loop: Header=BB6_10588 Depth=4
	s_or_b64 exec, exec, s[28:29]
                                        ; implicit-def: $vgpr1
.LBB6_11004:                            ;   in Loop: Header=BB6_10588 Depth=4
	s_andn2_saveexec_b64 s[28:29], s[34:35]
	s_cbranch_execz .LBB6_11010
; %bb.11005:                            ;   in Loop: Header=BB6_10588 Depth=4
	v_cmp_ne_u64_e32 vcc, 0, v[32:33]
                                        ; implicit-def: $vgpr2
	buffer_store_dword v2, off, s[0:3], s33 offset:220 ; 4-byte Folded Spill
	s_nop 0
	buffer_store_dword v3, off, s[0:3], s33 offset:224 ; 4-byte Folded Spill
	s_and_saveexec_b64 s[62:63], vcc
	s_xor_b64 vcc, exec, s[62:63]
	s_cbranch_execz .LBB6_11007
; %bb.11006:                            ;   in Loop: Header=BB6_10588 Depth=4
	v_or_b32_sdwa v1, v1, s44 dst_sel:DWORD dst_unused:UNUSED_PAD src0_sel:BYTE_3 src1_sel:DWORD
	buffer_store_dword v1, off, s[0:3], s33 offset:220 ; 4-byte Folded Spill
	s_nop 0
	buffer_store_dword v2, off, s[0:3], s33 offset:224 ; 4-byte Folded Spill
                                        ; implicit-def: $vgpr1
.LBB6_11007:                            ;   in Loop: Header=BB6_10588 Depth=4
	s_andn2_saveexec_b64 s[34:35], vcc
	s_cbranch_execz .LBB6_11009
; %bb.11008:                            ;   in Loop: Header=BB6_10588 Depth=4
	v_cmp_lt_i32_e32 vcc, -1, v1
	v_mov_b32_e32 v1, 0x7c
	v_cndmask_b32_e32 v1, -4, v1, vcc
	buffer_store_dword v1, off, s[0:3], s33 offset:220 ; 4-byte Folded Spill
	s_nop 0
	buffer_store_dword v2, off, s[0:3], s33 offset:224 ; 4-byte Folded Spill
.LBB6_11009:                            ;   in Loop: Header=BB6_10588 Depth=4
	s_or_b64 exec, exec, s[34:35]
.LBB6_11010:                            ;   in Loop: Header=BB6_10588 Depth=4
	s_or_b64 exec, exec, s[28:29]
	flat_load_sbyte v1, v[8:9] offset:832 glc slc
	v_mov_b32_e32 v2, 0
	s_waitcnt vmcnt(0) lgkmcnt(0)
	v_cmp_ne_u16_e32 vcc, 0, v1
	s_and_saveexec_b64 s[28:29], vcc
	s_cbranch_execz .LBB6_11018
; %bb.11011:                            ;   in Loop: Header=BB6_10588 Depth=4
	v_cmp_ne_u16_e32 vcc, s46, v1
	v_bfrev_b32_e32 v2, 1
	s_and_saveexec_b64 s[34:35], vcc
	s_cbranch_execz .LBB6_11017
; %bb.11012:                            ;   in Loop: Header=BB6_10588 Depth=4
	v_and_b32_e32 v2, 0x7c, v1
	v_and_b32_e32 v3, 3, v1
	v_cmp_ne_u32_e32 vcc, s86, v2
                                        ; implicit-def: $vgpr2
	s_and_saveexec_b64 s[62:63], vcc
	s_xor_b64 s[36:37], exec, s[62:63]
	s_cbranch_execz .LBB6_11014
; %bb.11013:                            ;   in Loop: Header=BB6_10588 Depth=4
	v_and_b32_e32 v5, 0xff, v1
	v_bfe_u32 v7, v5, 2, 5
	v_ffbh_u32_e32 v5, v3
	v_min_u32_e32 v14, 32, v5
	v_mov_b32_e32 v2, v33
	v_subrev_u32_e32 v5, 29, v14
	v_lshlrev_b64 v[5:6], v5, v[1:2]
	v_sub_u32_e32 v2, 30, v14
	v_cmp_eq_u32_e32 vcc, 0, v7
	v_and_b32_e32 v5, 3, v5
	v_cndmask_b32_e32 v2, v7, v2, vcc
	v_and_b32_sdwa v1, sext(v1), s87 dst_sel:DWORD dst_unused:UNUSED_PAD src0_sel:WORD_0 src1_sel:DWORD
	v_cndmask_b32_e32 v3, v3, v5, vcc
	v_lshl_add_u32 v1, v2, 23, v1
	v_lshl_or_b32 v1, v3, 21, v1
	v_add_u32_e32 v2, 0x38000000, v1
                                        ; implicit-def: $vgpr3
                                        ; implicit-def: $vgpr1
.LBB6_11014:                            ;   in Loop: Header=BB6_10588 Depth=4
	s_andn2_saveexec_b64 s[36:37], s[36:37]
; %bb.11015:                            ;   in Loop: Header=BB6_10588 Depth=4
	v_cmp_lt_i16_e32 vcc, -1, v1
	v_mov_b32_e32 v1, 0xff800000
	v_mov_b32_e32 v2, 0x7f800000
	v_cndmask_b32_e32 v1, v1, v2, vcc
	v_cmp_eq_u32_e32 vcc, 0, v3
	v_mov_b32_e32 v2, 0x7f800001
	v_cndmask_b32_e32 v2, v2, v1, vcc
; %bb.11016:                            ;   in Loop: Header=BB6_10588 Depth=4
	s_or_b64 exec, exec, s[36:37]
.LBB6_11017:                            ;   in Loop: Header=BB6_10588 Depth=4
	s_or_b64 exec, exec, s[34:35]
.LBB6_11018:                            ;   in Loop: Header=BB6_10588 Depth=4
	s_or_b64 exec, exec, s[28:29]
	v_mul_f32_e32 v1, v4, v2
	v_and_b32_e32 v2, 0x7f800000, v1
	v_mov_b32_e32 v3, v33
	v_cmp_ne_u64_e32 vcc, s[76:77], v[2:3]
	v_and_b32_e32 v32, 0x7fffff, v1
                                        ; implicit-def: $vgpr57
	s_and_saveexec_b64 s[28:29], vcc
	s_xor_b64 s[34:35], exec, s[28:29]
	s_cbranch_execz .LBB6_11036
; %bb.11019:                            ;   in Loop: Header=BB6_10588 Depth=4
	v_and_b32_e32 v2, 0x7fffffff, v1
	v_mov_b32_e32 v3, v33
	v_cmp_gt_u64_e32 vcc, s[78:79], v[2:3]
	v_and_b32_sdwa v5, v1, s97 dst_sel:DWORD dst_unused:UNUSED_PAD src0_sel:BYTE_3 src1_sel:DWORD
                                        ; implicit-def: $vgpr57
	s_and_saveexec_b64 s[28:29], vcc
	s_xor_b64 s[36:37], exec, s[28:29]
	s_cbranch_execz .LBB6_11033
; %bb.11020:                            ;   in Loop: Header=BB6_10588 Depth=4
	v_cmp_ne_u32_e32 vcc, 0, v1
	v_mov_b32_e32 v57, 0
	s_and_saveexec_b64 s[38:39], vcc
	s_cbranch_execz .LBB6_11032
; %bb.11021:                            ;   in Loop: Header=BB6_10588 Depth=4
	v_bfe_u32 v6, v1, 23, 8
	v_cmp_gt_u32_e64 s[28:29], s47, v6
	v_sub_u32_e32 v1, 0x71, v6
	v_cmp_eq_u32_e32 vcc, 0, v6
	v_cndmask_b32_e64 v1, 0, v1, s[28:29]
	v_mov_b32_e32 v3, 0x70
	v_cndmask_b32_e32 v7, v1, v3, vcc
	v_add_u32_e32 v3, 21, v7
	v_or_b32_e32 v2, 0x800000, v32
	v_lshlrev_b64 v[14:15], v3, -1
	v_cndmask_b32_e32 v1, v2, v32, vcc
	v_mov_b32_e32 v2, v33
	v_add_u32_e32 v3, 20, v7
	v_bfi_b32 v14, v14, 0, v1
	v_lshlrev_b64 v[17:18], v3, 1
	v_lshrrev_b64 v[1:2], v7, v[1:2]
	v_bfi_b32 v15, v15, 0, 0
	v_cmp_eq_u64_e64 s[28:29], v[14:15], v[17:18]
	v_mov_b32_e32 v3, v2
	v_mov_b32_e32 v2, v1
	s_and_saveexec_b64 s[48:49], s[28:29]
; %bb.11022:                            ;   in Loop: Header=BB6_10588 Depth=4
	v_bfe_u32 v2, v1, 21, 1
	v_add_co_u32_e64 v2, s[28:29], v1, v2
	v_add_co_u32_e64 v2, s[28:29], -1, v2
; %bb.11023:                            ;   in Loop: Header=BB6_10588 Depth=4
	s_or_b64 exec, exec, s[48:49]
	v_add_u32_e32 v3, 0xffffff81, v6
	v_mov_b32_e32 v6, 0xffffff82
	v_cndmask_b32_e32 v3, v3, v6, vcc
	v_lshrrev_b32_e32 v6, 23, v1
	v_add3_u32 v7, v7, v3, v6
	v_add_u32_e32 v6, 14, v7
	v_and_b32_e32 v2, 0x1fffff, v2
	v_add_u32_e32 v32, v2, v1
	v_cmp_ne_u32_e32 vcc, 0, v6
                                        ; implicit-def: $vgpr1_vgpr2
                                        ; implicit-def: $vgpr3
	s_and_saveexec_b64 s[28:29], vcc
	s_xor_b64 s[28:29], exec, s[28:29]
; %bb.11024:                            ;   in Loop: Header=BB6_10588 Depth=4
	v_cmp_lt_u64_e32 vcc, s[88:89], v[32:33]
	v_add_u32_e32 v1, 15, v7
	v_cndmask_b32_e32 v3, v6, v1, vcc
	v_cndmask_b32_e64 v1, 0, 1, vcc
	v_lshrrev_b64 v[1:2], v1, v[32:33]
; %bb.11025:                            ;   in Loop: Header=BB6_10588 Depth=4
	s_andn2_saveexec_b64 s[28:29], s[28:29]
; %bb.11026:                            ;   in Loop: Header=BB6_10588 Depth=4
	v_mov_b32_e32 v1, v32
	v_mov_b32_e32 v2, v33
	v_bfe_u32 v3, v32, 23, 1
; %bb.11027:                            ;   in Loop: Header=BB6_10588 Depth=4
	s_or_b64 exec, exec, s[28:29]
	v_lshrrev_b64 v[1:2], 21, v[1:2]
	v_cmp_gt_i32_e32 vcc, 32, v3
	v_cndmask_b32_e32 v2, 0, v2, vcc
	v_cndmask_b32_e32 v1, 3, v1, vcc
	v_cmp_ne_u64_e32 vcc, 0, v[1:2]
	v_cmp_ne_u32_e64 s[28:29], 0, v3
	s_or_b64 s[28:29], s[28:29], vcc
                                        ; implicit-def: $vgpr57
	s_and_saveexec_b64 s[62:63], s[28:29]
	s_xor_b64 s[28:29], exec, s[62:63]
; %bb.11028:                            ;   in Loop: Header=BB6_10588 Depth=4
	v_min_i32_e32 v2, 31, v3
	v_lshl_or_b32 v2, v2, 2, v5
	v_and_or_b32 v57, v1, 3, v2
                                        ; implicit-def: $vgpr5
; %bb.11029:                            ;   in Loop: Header=BB6_10588 Depth=4
	s_andn2_saveexec_b64 s[28:29], s[28:29]
; %bb.11030:                            ;   in Loop: Header=BB6_10588 Depth=4
	v_mov_b32_e32 v57, v5
; %bb.11031:                            ;   in Loop: Header=BB6_10588 Depth=4
	s_or_b64 exec, exec, s[28:29]
.LBB6_11032:                            ;   in Loop: Header=BB6_10588 Depth=4
	s_or_b64 exec, exec, s[38:39]
                                        ; implicit-def: $vgpr5
.LBB6_11033:                            ;   in Loop: Header=BB6_10588 Depth=4
	s_andn2_saveexec_b64 s[28:29], s[36:37]
; %bb.11034:                            ;   in Loop: Header=BB6_10588 Depth=4
	v_or_b32_e32 v57, 0x7b, v5
; %bb.11035:                            ;   in Loop: Header=BB6_10588 Depth=4
	s_or_b64 exec, exec, s[28:29]
                                        ; implicit-def: $vgpr1
.LBB6_11036:                            ;   in Loop: Header=BB6_10588 Depth=4
	s_andn2_saveexec_b64 s[28:29], s[34:35]
	s_cbranch_execz .LBB6_11042
; %bb.11037:                            ;   in Loop: Header=BB6_10588 Depth=4
	v_cmp_ne_u64_e32 vcc, 0, v[32:33]
                                        ; implicit-def: $vgpr57
	s_and_saveexec_b64 s[62:63], vcc
	s_xor_b64 vcc, exec, s[62:63]
; %bb.11038:                            ;   in Loop: Header=BB6_10588 Depth=4
	v_or_b32_sdwa v57, v1, s44 dst_sel:DWORD dst_unused:UNUSED_PAD src0_sel:BYTE_3 src1_sel:DWORD
                                        ; implicit-def: $vgpr1
; %bb.11039:                            ;   in Loop: Header=BB6_10588 Depth=4
	s_andn2_saveexec_b64 s[34:35], vcc
; %bb.11040:                            ;   in Loop: Header=BB6_10588 Depth=4
	v_cmp_lt_i32_e32 vcc, -1, v1
	v_mov_b32_e32 v1, 0x7c
	v_cndmask_b32_e32 v57, -4, v1, vcc
; %bb.11041:                            ;   in Loop: Header=BB6_10588 Depth=4
	s_or_b64 exec, exec, s[34:35]
.LBB6_11042:                            ;   in Loop: Header=BB6_10588 Depth=4
	s_or_b64 exec, exec, s[28:29]
	flat_load_sbyte v1, v[8:9] offset:896 glc slc
	v_mov_b32_e32 v2, 0
	s_waitcnt vmcnt(0) lgkmcnt(0)
	v_cmp_ne_u16_e32 vcc, 0, v1
	s_and_saveexec_b64 s[28:29], vcc
	s_cbranch_execz .LBB6_11050
; %bb.11043:                            ;   in Loop: Header=BB6_10588 Depth=4
	v_cmp_ne_u16_e32 vcc, s46, v1
	v_bfrev_b32_e32 v2, 1
	s_and_saveexec_b64 s[34:35], vcc
	s_cbranch_execz .LBB6_11049
; %bb.11044:                            ;   in Loop: Header=BB6_10588 Depth=4
	v_and_b32_e32 v2, 0x7c, v1
	v_and_b32_e32 v3, 3, v1
	v_cmp_ne_u32_e32 vcc, s86, v2
                                        ; implicit-def: $vgpr2
	s_and_saveexec_b64 s[62:63], vcc
	s_xor_b64 s[36:37], exec, s[62:63]
	s_cbranch_execz .LBB6_11046
; %bb.11045:                            ;   in Loop: Header=BB6_10588 Depth=4
	v_and_b32_e32 v5, 0xff, v1
	v_bfe_u32 v7, v5, 2, 5
	v_ffbh_u32_e32 v5, v3
	v_min_u32_e32 v14, 32, v5
	v_mov_b32_e32 v2, v33
	v_subrev_u32_e32 v5, 29, v14
	v_lshlrev_b64 v[5:6], v5, v[1:2]
	v_sub_u32_e32 v2, 30, v14
	v_cmp_eq_u32_e32 vcc, 0, v7
	v_and_b32_e32 v5, 3, v5
	v_cndmask_b32_e32 v2, v7, v2, vcc
	v_and_b32_sdwa v1, sext(v1), s87 dst_sel:DWORD dst_unused:UNUSED_PAD src0_sel:WORD_0 src1_sel:DWORD
	v_cndmask_b32_e32 v3, v3, v5, vcc
	v_lshl_add_u32 v1, v2, 23, v1
	v_lshl_or_b32 v1, v3, 21, v1
	v_add_u32_e32 v2, 0x38000000, v1
                                        ; implicit-def: $vgpr3
                                        ; implicit-def: $vgpr1
.LBB6_11046:                            ;   in Loop: Header=BB6_10588 Depth=4
	s_andn2_saveexec_b64 s[36:37], s[36:37]
; %bb.11047:                            ;   in Loop: Header=BB6_10588 Depth=4
	v_cmp_lt_i16_e32 vcc, -1, v1
	v_mov_b32_e32 v1, 0xff800000
	v_mov_b32_e32 v2, 0x7f800000
	v_cndmask_b32_e32 v1, v1, v2, vcc
	v_cmp_eq_u32_e32 vcc, 0, v3
	v_mov_b32_e32 v2, 0x7f800001
	v_cndmask_b32_e32 v2, v2, v1, vcc
; %bb.11048:                            ;   in Loop: Header=BB6_10588 Depth=4
	s_or_b64 exec, exec, s[36:37]
.LBB6_11049:                            ;   in Loop: Header=BB6_10588 Depth=4
	s_or_b64 exec, exec, s[34:35]
.LBB6_11050:                            ;   in Loop: Header=BB6_10588 Depth=4
	s_or_b64 exec, exec, s[28:29]
	v_mul_f32_e32 v1, v4, v2
	v_and_b32_e32 v2, 0x7f800000, v1
	v_mov_b32_e32 v3, v33
	v_cmp_ne_u64_e32 vcc, s[76:77], v[2:3]
	v_and_b32_e32 v32, 0x7fffff, v1
                                        ; implicit-def: $vgpr2
	buffer_store_dword v2, off, s[0:3], s33 offset:212 ; 4-byte Folded Spill
	s_nop 0
	buffer_store_dword v3, off, s[0:3], s33 offset:216 ; 4-byte Folded Spill
	s_and_saveexec_b64 s[28:29], vcc
	s_xor_b64 s[34:35], exec, s[28:29]
	s_cbranch_execz .LBB6_11068
; %bb.11051:                            ;   in Loop: Header=BB6_10588 Depth=4
	v_and_b32_e32 v2, 0x7fffffff, v1
	v_mov_b32_e32 v3, v33
	v_cmp_gt_u64_e32 vcc, s[78:79], v[2:3]
	v_and_b32_sdwa v5, v1, s97 dst_sel:DWORD dst_unused:UNUSED_PAD src0_sel:BYTE_3 src1_sel:DWORD
                                        ; implicit-def: $vgpr2
	buffer_store_dword v2, off, s[0:3], s33 offset:212 ; 4-byte Folded Spill
	s_nop 0
	buffer_store_dword v3, off, s[0:3], s33 offset:216 ; 4-byte Folded Spill
	s_and_saveexec_b64 s[28:29], vcc
	s_xor_b64 s[36:37], exec, s[28:29]
	s_cbranch_execz .LBB6_11065
; %bb.11052:                            ;   in Loop: Header=BB6_10588 Depth=4
	v_cmp_ne_u32_e32 vcc, 0, v1
	v_mov_b32_e32 v2, 0
	buffer_store_dword v2, off, s[0:3], s33 offset:212 ; 4-byte Folded Spill
	s_nop 0
	buffer_store_dword v3, off, s[0:3], s33 offset:216 ; 4-byte Folded Spill
	s_and_saveexec_b64 s[38:39], vcc
	s_cbranch_execz .LBB6_11064
; %bb.11053:                            ;   in Loop: Header=BB6_10588 Depth=4
	v_bfe_u32 v6, v1, 23, 8
	v_cmp_gt_u32_e64 s[28:29], s47, v6
	v_sub_u32_e32 v1, 0x71, v6
	v_cmp_eq_u32_e32 vcc, 0, v6
	v_cndmask_b32_e64 v1, 0, v1, s[28:29]
	v_mov_b32_e32 v3, 0x70
	v_cndmask_b32_e32 v7, v1, v3, vcc
	v_add_u32_e32 v3, 21, v7
	v_or_b32_e32 v2, 0x800000, v32
	v_lshlrev_b64 v[14:15], v3, -1
	v_cndmask_b32_e32 v1, v2, v32, vcc
	v_mov_b32_e32 v2, v33
	v_add_u32_e32 v3, 20, v7
	v_bfi_b32 v14, v14, 0, v1
	v_lshlrev_b64 v[17:18], v3, 1
	v_lshrrev_b64 v[1:2], v7, v[1:2]
	v_bfi_b32 v15, v15, 0, 0
	v_cmp_eq_u64_e64 s[28:29], v[14:15], v[17:18]
	v_mov_b32_e32 v3, v2
	v_mov_b32_e32 v2, v1
	s_and_saveexec_b64 s[48:49], s[28:29]
; %bb.11054:                            ;   in Loop: Header=BB6_10588 Depth=4
	v_bfe_u32 v2, v1, 21, 1
	v_add_co_u32_e64 v2, s[28:29], v1, v2
	v_add_co_u32_e64 v2, s[28:29], -1, v2
; %bb.11055:                            ;   in Loop: Header=BB6_10588 Depth=4
	s_or_b64 exec, exec, s[48:49]
	v_add_u32_e32 v3, 0xffffff81, v6
	v_mov_b32_e32 v6, 0xffffff82
	v_cndmask_b32_e32 v3, v3, v6, vcc
	v_lshrrev_b32_e32 v6, 23, v1
	v_add3_u32 v7, v7, v3, v6
	v_add_u32_e32 v6, 14, v7
	v_and_b32_e32 v2, 0x1fffff, v2
	v_add_u32_e32 v32, v2, v1
	v_cmp_ne_u32_e32 vcc, 0, v6
                                        ; implicit-def: $vgpr1_vgpr2
                                        ; implicit-def: $vgpr3
	s_and_saveexec_b64 s[28:29], vcc
	s_xor_b64 s[28:29], exec, s[28:29]
; %bb.11056:                            ;   in Loop: Header=BB6_10588 Depth=4
	v_cmp_lt_u64_e32 vcc, s[88:89], v[32:33]
	v_add_u32_e32 v1, 15, v7
	v_cndmask_b32_e32 v3, v6, v1, vcc
	v_cndmask_b32_e64 v1, 0, 1, vcc
	v_lshrrev_b64 v[1:2], v1, v[32:33]
; %bb.11057:                            ;   in Loop: Header=BB6_10588 Depth=4
	s_andn2_saveexec_b64 s[28:29], s[28:29]
; %bb.11058:                            ;   in Loop: Header=BB6_10588 Depth=4
	v_mov_b32_e32 v1, v32
	v_mov_b32_e32 v2, v33
	v_bfe_u32 v3, v32, 23, 1
; %bb.11059:                            ;   in Loop: Header=BB6_10588 Depth=4
	s_or_b64 exec, exec, s[28:29]
	v_lshrrev_b64 v[1:2], 21, v[1:2]
	v_cmp_gt_i32_e32 vcc, 32, v3
	v_cndmask_b32_e32 v2, 0, v2, vcc
	v_cndmask_b32_e32 v1, 3, v1, vcc
	v_cmp_ne_u64_e32 vcc, 0, v[1:2]
	v_cmp_ne_u32_e64 s[28:29], 0, v3
	s_or_b64 s[28:29], s[28:29], vcc
                                        ; implicit-def: $vgpr2
	buffer_store_dword v2, off, s[0:3], s33 offset:212 ; 4-byte Folded Spill
	s_nop 0
	buffer_store_dword v3, off, s[0:3], s33 offset:216 ; 4-byte Folded Spill
	s_and_saveexec_b64 s[62:63], s[28:29]
	s_xor_b64 s[28:29], exec, s[62:63]
	s_cbranch_execz .LBB6_11061
; %bb.11060:                            ;   in Loop: Header=BB6_10588 Depth=4
	v_min_i32_e32 v2, 31, v3
	v_lshl_or_b32 v2, v2, 2, v5
	v_and_or_b32 v1, v1, 3, v2
	buffer_store_dword v1, off, s[0:3], s33 offset:212 ; 4-byte Folded Spill
	s_nop 0
	buffer_store_dword v2, off, s[0:3], s33 offset:216 ; 4-byte Folded Spill
                                        ; implicit-def: $vgpr5
.LBB6_11061:                            ;   in Loop: Header=BB6_10588 Depth=4
	s_andn2_saveexec_b64 s[28:29], s[28:29]
	s_cbranch_execz .LBB6_11063
; %bb.11062:                            ;   in Loop: Header=BB6_10588 Depth=4
	v_mov_b32_e32 v1, v5
	buffer_store_dword v1, off, s[0:3], s33 offset:212 ; 4-byte Folded Spill
	s_nop 0
	buffer_store_dword v2, off, s[0:3], s33 offset:216 ; 4-byte Folded Spill
.LBB6_11063:                            ;   in Loop: Header=BB6_10588 Depth=4
	s_or_b64 exec, exec, s[28:29]
.LBB6_11064:                            ;   in Loop: Header=BB6_10588 Depth=4
	s_or_b64 exec, exec, s[38:39]
                                        ; implicit-def: $vgpr5
.LBB6_11065:                            ;   in Loop: Header=BB6_10588 Depth=4
	s_andn2_saveexec_b64 s[28:29], s[36:37]
	s_cbranch_execz .LBB6_11067
; %bb.11066:                            ;   in Loop: Header=BB6_10588 Depth=4
	v_or_b32_e32 v1, 0x7b, v5
	buffer_store_dword v1, off, s[0:3], s33 offset:212 ; 4-byte Folded Spill
	s_nop 0
	buffer_store_dword v2, off, s[0:3], s33 offset:216 ; 4-byte Folded Spill
.LBB6_11067:                            ;   in Loop: Header=BB6_10588 Depth=4
	s_or_b64 exec, exec, s[28:29]
                                        ; implicit-def: $vgpr1
.LBB6_11068:                            ;   in Loop: Header=BB6_10588 Depth=4
	s_andn2_saveexec_b64 s[28:29], s[34:35]
	s_cbranch_execz .LBB6_11074
; %bb.11069:                            ;   in Loop: Header=BB6_10588 Depth=4
	v_cmp_ne_u64_e32 vcc, 0, v[32:33]
                                        ; implicit-def: $vgpr2
	buffer_store_dword v2, off, s[0:3], s33 offset:212 ; 4-byte Folded Spill
	s_nop 0
	buffer_store_dword v3, off, s[0:3], s33 offset:216 ; 4-byte Folded Spill
	s_and_saveexec_b64 s[62:63], vcc
	s_xor_b64 vcc, exec, s[62:63]
	s_cbranch_execz .LBB6_11071
; %bb.11070:                            ;   in Loop: Header=BB6_10588 Depth=4
	v_or_b32_sdwa v1, v1, s44 dst_sel:DWORD dst_unused:UNUSED_PAD src0_sel:BYTE_3 src1_sel:DWORD
	buffer_store_dword v1, off, s[0:3], s33 offset:212 ; 4-byte Folded Spill
	s_nop 0
	buffer_store_dword v2, off, s[0:3], s33 offset:216 ; 4-byte Folded Spill
                                        ; implicit-def: $vgpr1
.LBB6_11071:                            ;   in Loop: Header=BB6_10588 Depth=4
	s_andn2_saveexec_b64 s[34:35], vcc
	s_cbranch_execz .LBB6_11073
; %bb.11072:                            ;   in Loop: Header=BB6_10588 Depth=4
	v_cmp_lt_i32_e32 vcc, -1, v1
	v_mov_b32_e32 v1, 0x7c
	v_cndmask_b32_e32 v1, -4, v1, vcc
	buffer_store_dword v1, off, s[0:3], s33 offset:212 ; 4-byte Folded Spill
	s_nop 0
	buffer_store_dword v2, off, s[0:3], s33 offset:216 ; 4-byte Folded Spill
.LBB6_11073:                            ;   in Loop: Header=BB6_10588 Depth=4
	s_or_b64 exec, exec, s[34:35]
.LBB6_11074:                            ;   in Loop: Header=BB6_10588 Depth=4
	s_or_b64 exec, exec, s[28:29]
	flat_load_sbyte v1, v[8:9] offset:960 glc slc
	v_mov_b32_e32 v2, 0
	s_waitcnt vmcnt(0) lgkmcnt(0)
	v_cmp_ne_u16_e32 vcc, 0, v1
	s_and_saveexec_b64 s[28:29], vcc
	s_cbranch_execz .LBB6_11082
; %bb.11075:                            ;   in Loop: Header=BB6_10588 Depth=4
	v_cmp_ne_u16_e32 vcc, s46, v1
	v_bfrev_b32_e32 v2, 1
	s_and_saveexec_b64 s[34:35], vcc
	s_cbranch_execz .LBB6_11081
; %bb.11076:                            ;   in Loop: Header=BB6_10588 Depth=4
	v_and_b32_e32 v2, 0x7c, v1
	v_and_b32_e32 v3, 3, v1
	v_cmp_ne_u32_e32 vcc, s86, v2
                                        ; implicit-def: $vgpr2
	s_and_saveexec_b64 s[62:63], vcc
	s_xor_b64 s[36:37], exec, s[62:63]
	s_cbranch_execz .LBB6_11078
; %bb.11077:                            ;   in Loop: Header=BB6_10588 Depth=4
	v_and_b32_e32 v5, 0xff, v1
	v_bfe_u32 v7, v5, 2, 5
	v_ffbh_u32_e32 v5, v3
	v_min_u32_e32 v14, 32, v5
	v_mov_b32_e32 v2, v33
	v_subrev_u32_e32 v5, 29, v14
	v_lshlrev_b64 v[5:6], v5, v[1:2]
	v_sub_u32_e32 v2, 30, v14
	v_cmp_eq_u32_e32 vcc, 0, v7
	v_and_b32_e32 v5, 3, v5
	v_cndmask_b32_e32 v2, v7, v2, vcc
	v_and_b32_sdwa v1, sext(v1), s87 dst_sel:DWORD dst_unused:UNUSED_PAD src0_sel:WORD_0 src1_sel:DWORD
	v_cndmask_b32_e32 v3, v3, v5, vcc
	v_lshl_add_u32 v1, v2, 23, v1
	v_lshl_or_b32 v1, v3, 21, v1
	v_add_u32_e32 v2, 0x38000000, v1
                                        ; implicit-def: $vgpr3
                                        ; implicit-def: $vgpr1
.LBB6_11078:                            ;   in Loop: Header=BB6_10588 Depth=4
	s_andn2_saveexec_b64 s[36:37], s[36:37]
; %bb.11079:                            ;   in Loop: Header=BB6_10588 Depth=4
	v_cmp_lt_i16_e32 vcc, -1, v1
	v_mov_b32_e32 v1, 0xff800000
	v_mov_b32_e32 v2, 0x7f800000
	v_cndmask_b32_e32 v1, v1, v2, vcc
	v_cmp_eq_u32_e32 vcc, 0, v3
	v_mov_b32_e32 v2, 0x7f800001
	v_cndmask_b32_e32 v2, v2, v1, vcc
; %bb.11080:                            ;   in Loop: Header=BB6_10588 Depth=4
	s_or_b64 exec, exec, s[36:37]
.LBB6_11081:                            ;   in Loop: Header=BB6_10588 Depth=4
	s_or_b64 exec, exec, s[34:35]
.LBB6_11082:                            ;   in Loop: Header=BB6_10588 Depth=4
	s_or_b64 exec, exec, s[28:29]
	v_mul_f32_e32 v1, v4, v2
	v_and_b32_e32 v2, 0x7f800000, v1
	v_mov_b32_e32 v3, v33
	v_cmp_ne_u64_e32 vcc, s[76:77], v[2:3]
	v_and_b32_e32 v32, 0x7fffff, v1
                                        ; implicit-def: $vgpr2
	buffer_store_dword v2, off, s[0:3], s33 offset:204 ; 4-byte Folded Spill
	s_nop 0
	buffer_store_dword v3, off, s[0:3], s33 offset:208 ; 4-byte Folded Spill
	s_and_saveexec_b64 s[28:29], vcc
	s_xor_b64 s[34:35], exec, s[28:29]
	s_cbranch_execz .LBB6_11100
; %bb.11083:                            ;   in Loop: Header=BB6_10588 Depth=4
	v_and_b32_e32 v2, 0x7fffffff, v1
	v_mov_b32_e32 v3, v33
	v_cmp_gt_u64_e32 vcc, s[78:79], v[2:3]
	v_and_b32_sdwa v5, v1, s97 dst_sel:DWORD dst_unused:UNUSED_PAD src0_sel:BYTE_3 src1_sel:DWORD
                                        ; implicit-def: $vgpr2
	buffer_store_dword v2, off, s[0:3], s33 offset:204 ; 4-byte Folded Spill
	s_nop 0
	buffer_store_dword v3, off, s[0:3], s33 offset:208 ; 4-byte Folded Spill
	s_and_saveexec_b64 s[28:29], vcc
	s_xor_b64 s[36:37], exec, s[28:29]
	s_cbranch_execz .LBB6_11097
; %bb.11084:                            ;   in Loop: Header=BB6_10588 Depth=4
	v_cmp_ne_u32_e32 vcc, 0, v1
	v_mov_b32_e32 v2, 0
	buffer_store_dword v2, off, s[0:3], s33 offset:204 ; 4-byte Folded Spill
	s_nop 0
	buffer_store_dword v3, off, s[0:3], s33 offset:208 ; 4-byte Folded Spill
	s_and_saveexec_b64 s[38:39], vcc
	s_cbranch_execz .LBB6_11096
; %bb.11085:                            ;   in Loop: Header=BB6_10588 Depth=4
	v_bfe_u32 v6, v1, 23, 8
	v_cmp_gt_u32_e64 s[28:29], s47, v6
	v_sub_u32_e32 v1, 0x71, v6
	v_cmp_eq_u32_e32 vcc, 0, v6
	v_cndmask_b32_e64 v1, 0, v1, s[28:29]
	v_mov_b32_e32 v3, 0x70
	v_cndmask_b32_e32 v7, v1, v3, vcc
	v_add_u32_e32 v3, 21, v7
	v_or_b32_e32 v2, 0x800000, v32
	v_lshlrev_b64 v[14:15], v3, -1
	v_cndmask_b32_e32 v1, v2, v32, vcc
	v_mov_b32_e32 v2, v33
	v_add_u32_e32 v3, 20, v7
	v_bfi_b32 v14, v14, 0, v1
	v_lshlrev_b64 v[17:18], v3, 1
	v_lshrrev_b64 v[1:2], v7, v[1:2]
	v_bfi_b32 v15, v15, 0, 0
	v_cmp_eq_u64_e64 s[28:29], v[14:15], v[17:18]
	v_mov_b32_e32 v3, v2
	v_mov_b32_e32 v2, v1
	s_and_saveexec_b64 s[48:49], s[28:29]
; %bb.11086:                            ;   in Loop: Header=BB6_10588 Depth=4
	v_bfe_u32 v2, v1, 21, 1
	v_add_co_u32_e64 v2, s[28:29], v1, v2
	v_add_co_u32_e64 v2, s[28:29], -1, v2
; %bb.11087:                            ;   in Loop: Header=BB6_10588 Depth=4
	s_or_b64 exec, exec, s[48:49]
	v_add_u32_e32 v3, 0xffffff81, v6
	v_mov_b32_e32 v6, 0xffffff82
	v_cndmask_b32_e32 v3, v3, v6, vcc
	v_lshrrev_b32_e32 v6, 23, v1
	v_add3_u32 v7, v7, v3, v6
	v_add_u32_e32 v6, 14, v7
	v_and_b32_e32 v2, 0x1fffff, v2
	v_add_u32_e32 v32, v2, v1
	v_cmp_ne_u32_e32 vcc, 0, v6
                                        ; implicit-def: $vgpr1_vgpr2
                                        ; implicit-def: $vgpr3
	s_and_saveexec_b64 s[28:29], vcc
	s_xor_b64 s[28:29], exec, s[28:29]
; %bb.11088:                            ;   in Loop: Header=BB6_10588 Depth=4
	v_cmp_lt_u64_e32 vcc, s[88:89], v[32:33]
	v_add_u32_e32 v1, 15, v7
	v_cndmask_b32_e32 v3, v6, v1, vcc
	v_cndmask_b32_e64 v1, 0, 1, vcc
	v_lshrrev_b64 v[1:2], v1, v[32:33]
; %bb.11089:                            ;   in Loop: Header=BB6_10588 Depth=4
	s_andn2_saveexec_b64 s[28:29], s[28:29]
; %bb.11090:                            ;   in Loop: Header=BB6_10588 Depth=4
	v_mov_b32_e32 v1, v32
	v_mov_b32_e32 v2, v33
	v_bfe_u32 v3, v32, 23, 1
; %bb.11091:                            ;   in Loop: Header=BB6_10588 Depth=4
	s_or_b64 exec, exec, s[28:29]
	v_lshrrev_b64 v[1:2], 21, v[1:2]
	v_cmp_gt_i32_e32 vcc, 32, v3
	v_cndmask_b32_e32 v2, 0, v2, vcc
	v_cndmask_b32_e32 v1, 3, v1, vcc
	v_cmp_ne_u64_e32 vcc, 0, v[1:2]
	v_cmp_ne_u32_e64 s[28:29], 0, v3
	s_or_b64 s[28:29], s[28:29], vcc
                                        ; implicit-def: $vgpr2
	buffer_store_dword v2, off, s[0:3], s33 offset:204 ; 4-byte Folded Spill
	s_nop 0
	buffer_store_dword v3, off, s[0:3], s33 offset:208 ; 4-byte Folded Spill
	s_and_saveexec_b64 s[62:63], s[28:29]
	s_xor_b64 s[28:29], exec, s[62:63]
	s_cbranch_execz .LBB6_11093
; %bb.11092:                            ;   in Loop: Header=BB6_10588 Depth=4
	v_min_i32_e32 v2, 31, v3
	v_lshl_or_b32 v2, v2, 2, v5
	v_and_or_b32 v1, v1, 3, v2
	buffer_store_dword v1, off, s[0:3], s33 offset:204 ; 4-byte Folded Spill
	s_nop 0
	buffer_store_dword v2, off, s[0:3], s33 offset:208 ; 4-byte Folded Spill
                                        ; implicit-def: $vgpr5
.LBB6_11093:                            ;   in Loop: Header=BB6_10588 Depth=4
	s_andn2_saveexec_b64 s[28:29], s[28:29]
	s_cbranch_execz .LBB6_11095
; %bb.11094:                            ;   in Loop: Header=BB6_10588 Depth=4
	v_mov_b32_e32 v1, v5
	buffer_store_dword v1, off, s[0:3], s33 offset:204 ; 4-byte Folded Spill
	s_nop 0
	buffer_store_dword v2, off, s[0:3], s33 offset:208 ; 4-byte Folded Spill
.LBB6_11095:                            ;   in Loop: Header=BB6_10588 Depth=4
	s_or_b64 exec, exec, s[28:29]
.LBB6_11096:                            ;   in Loop: Header=BB6_10588 Depth=4
	s_or_b64 exec, exec, s[38:39]
                                        ; implicit-def: $vgpr5
.LBB6_11097:                            ;   in Loop: Header=BB6_10588 Depth=4
	s_andn2_saveexec_b64 s[28:29], s[36:37]
	s_cbranch_execz .LBB6_11099
; %bb.11098:                            ;   in Loop: Header=BB6_10588 Depth=4
	v_or_b32_e32 v1, 0x7b, v5
	buffer_store_dword v1, off, s[0:3], s33 offset:204 ; 4-byte Folded Spill
	s_nop 0
	buffer_store_dword v2, off, s[0:3], s33 offset:208 ; 4-byte Folded Spill
.LBB6_11099:                            ;   in Loop: Header=BB6_10588 Depth=4
	s_or_b64 exec, exec, s[28:29]
                                        ; implicit-def: $vgpr1
.LBB6_11100:                            ;   in Loop: Header=BB6_10588 Depth=4
	s_andn2_saveexec_b64 s[28:29], s[34:35]
	s_cbranch_execz .LBB6_11106
; %bb.11101:                            ;   in Loop: Header=BB6_10588 Depth=4
	v_cmp_ne_u64_e32 vcc, 0, v[32:33]
                                        ; implicit-def: $vgpr2
	buffer_store_dword v2, off, s[0:3], s33 offset:204 ; 4-byte Folded Spill
	s_nop 0
	buffer_store_dword v3, off, s[0:3], s33 offset:208 ; 4-byte Folded Spill
	s_and_saveexec_b64 s[62:63], vcc
	s_xor_b64 vcc, exec, s[62:63]
	s_cbranch_execz .LBB6_11103
; %bb.11102:                            ;   in Loop: Header=BB6_10588 Depth=4
	v_or_b32_sdwa v1, v1, s44 dst_sel:DWORD dst_unused:UNUSED_PAD src0_sel:BYTE_3 src1_sel:DWORD
	buffer_store_dword v1, off, s[0:3], s33 offset:204 ; 4-byte Folded Spill
	s_nop 0
	buffer_store_dword v2, off, s[0:3], s33 offset:208 ; 4-byte Folded Spill
                                        ; implicit-def: $vgpr1
.LBB6_11103:                            ;   in Loop: Header=BB6_10588 Depth=4
	s_andn2_saveexec_b64 s[34:35], vcc
	s_cbranch_execz .LBB6_11105
; %bb.11104:                            ;   in Loop: Header=BB6_10588 Depth=4
	v_cmp_lt_i32_e32 vcc, -1, v1
	v_mov_b32_e32 v1, 0x7c
	v_cndmask_b32_e32 v1, -4, v1, vcc
	buffer_store_dword v1, off, s[0:3], s33 offset:204 ; 4-byte Folded Spill
	s_nop 0
	buffer_store_dword v2, off, s[0:3], s33 offset:208 ; 4-byte Folded Spill
.LBB6_11105:                            ;   in Loop: Header=BB6_10588 Depth=4
	s_or_b64 exec, exec, s[34:35]
.LBB6_11106:                            ;   in Loop: Header=BB6_10588 Depth=4
	s_or_b64 exec, exec, s[28:29]
	flat_load_sbyte v1, v[8:9] offset:1024 glc slc
	v_mov_b32_e32 v2, 0
	s_waitcnt vmcnt(0) lgkmcnt(0)
	v_cmp_ne_u16_e32 vcc, 0, v1
	s_and_saveexec_b64 s[28:29], vcc
	s_cbranch_execz .LBB6_11114
; %bb.11107:                            ;   in Loop: Header=BB6_10588 Depth=4
	v_cmp_ne_u16_e32 vcc, s46, v1
	v_bfrev_b32_e32 v2, 1
	s_and_saveexec_b64 s[34:35], vcc
	s_cbranch_execz .LBB6_11113
; %bb.11108:                            ;   in Loop: Header=BB6_10588 Depth=4
	v_and_b32_e32 v2, 0x7c, v1
	v_and_b32_e32 v3, 3, v1
	v_cmp_ne_u32_e32 vcc, s86, v2
                                        ; implicit-def: $vgpr2
	s_and_saveexec_b64 s[62:63], vcc
	s_xor_b64 s[36:37], exec, s[62:63]
	s_cbranch_execz .LBB6_11110
; %bb.11109:                            ;   in Loop: Header=BB6_10588 Depth=4
	v_and_b32_e32 v5, 0xff, v1
	v_bfe_u32 v7, v5, 2, 5
	v_ffbh_u32_e32 v5, v3
	v_min_u32_e32 v14, 32, v5
	v_mov_b32_e32 v2, v33
	v_subrev_u32_e32 v5, 29, v14
	v_lshlrev_b64 v[5:6], v5, v[1:2]
	v_sub_u32_e32 v2, 30, v14
	v_cmp_eq_u32_e32 vcc, 0, v7
	v_and_b32_e32 v5, 3, v5
	v_cndmask_b32_e32 v2, v7, v2, vcc
	v_and_b32_sdwa v1, sext(v1), s87 dst_sel:DWORD dst_unused:UNUSED_PAD src0_sel:WORD_0 src1_sel:DWORD
	v_cndmask_b32_e32 v3, v3, v5, vcc
	v_lshl_add_u32 v1, v2, 23, v1
	v_lshl_or_b32 v1, v3, 21, v1
	v_add_u32_e32 v2, 0x38000000, v1
                                        ; implicit-def: $vgpr3
                                        ; implicit-def: $vgpr1
.LBB6_11110:                            ;   in Loop: Header=BB6_10588 Depth=4
	s_andn2_saveexec_b64 s[36:37], s[36:37]
; %bb.11111:                            ;   in Loop: Header=BB6_10588 Depth=4
	v_cmp_lt_i16_e32 vcc, -1, v1
	v_mov_b32_e32 v1, 0xff800000
	v_mov_b32_e32 v2, 0x7f800000
	v_cndmask_b32_e32 v1, v1, v2, vcc
	v_cmp_eq_u32_e32 vcc, 0, v3
	v_mov_b32_e32 v2, 0x7f800001
	v_cndmask_b32_e32 v2, v2, v1, vcc
; %bb.11112:                            ;   in Loop: Header=BB6_10588 Depth=4
	s_or_b64 exec, exec, s[36:37]
.LBB6_11113:                            ;   in Loop: Header=BB6_10588 Depth=4
	s_or_b64 exec, exec, s[34:35]
.LBB6_11114:                            ;   in Loop: Header=BB6_10588 Depth=4
	s_or_b64 exec, exec, s[28:29]
	v_mul_f32_e32 v1, v4, v2
	v_and_b32_e32 v2, 0x7f800000, v1
	v_mov_b32_e32 v3, v33
	v_cmp_ne_u64_e32 vcc, s[76:77], v[2:3]
	v_and_b32_e32 v32, 0x7fffff, v1
                                        ; implicit-def: $vgpr2
	buffer_store_dword v2, off, s[0:3], s33 offset:196 ; 4-byte Folded Spill
	s_nop 0
	buffer_store_dword v3, off, s[0:3], s33 offset:200 ; 4-byte Folded Spill
	s_and_saveexec_b64 s[28:29], vcc
	s_xor_b64 s[34:35], exec, s[28:29]
	s_cbranch_execz .LBB6_11132
; %bb.11115:                            ;   in Loop: Header=BB6_10588 Depth=4
	v_and_b32_e32 v2, 0x7fffffff, v1
	v_mov_b32_e32 v3, v33
	v_cmp_gt_u64_e32 vcc, s[78:79], v[2:3]
	v_and_b32_sdwa v5, v1, s97 dst_sel:DWORD dst_unused:UNUSED_PAD src0_sel:BYTE_3 src1_sel:DWORD
                                        ; implicit-def: $vgpr2
	buffer_store_dword v2, off, s[0:3], s33 offset:196 ; 4-byte Folded Spill
	s_nop 0
	buffer_store_dword v3, off, s[0:3], s33 offset:200 ; 4-byte Folded Spill
	s_and_saveexec_b64 s[28:29], vcc
	s_xor_b64 s[36:37], exec, s[28:29]
	s_cbranch_execz .LBB6_11129
; %bb.11116:                            ;   in Loop: Header=BB6_10588 Depth=4
	v_cmp_ne_u32_e32 vcc, 0, v1
	v_mov_b32_e32 v2, 0
	buffer_store_dword v2, off, s[0:3], s33 offset:196 ; 4-byte Folded Spill
	s_nop 0
	buffer_store_dword v3, off, s[0:3], s33 offset:200 ; 4-byte Folded Spill
	s_and_saveexec_b64 s[38:39], vcc
	s_cbranch_execz .LBB6_11128
; %bb.11117:                            ;   in Loop: Header=BB6_10588 Depth=4
	v_bfe_u32 v6, v1, 23, 8
	v_cmp_gt_u32_e64 s[28:29], s47, v6
	v_sub_u32_e32 v1, 0x71, v6
	v_cmp_eq_u32_e32 vcc, 0, v6
	v_cndmask_b32_e64 v1, 0, v1, s[28:29]
	v_mov_b32_e32 v3, 0x70
	v_cndmask_b32_e32 v7, v1, v3, vcc
	v_add_u32_e32 v3, 21, v7
	v_or_b32_e32 v2, 0x800000, v32
	v_lshlrev_b64 v[14:15], v3, -1
	v_cndmask_b32_e32 v1, v2, v32, vcc
	v_mov_b32_e32 v2, v33
	v_add_u32_e32 v3, 20, v7
	v_bfi_b32 v14, v14, 0, v1
	v_lshlrev_b64 v[17:18], v3, 1
	v_lshrrev_b64 v[1:2], v7, v[1:2]
	v_bfi_b32 v15, v15, 0, 0
	v_cmp_eq_u64_e64 s[28:29], v[14:15], v[17:18]
	v_mov_b32_e32 v3, v2
	v_mov_b32_e32 v2, v1
	s_and_saveexec_b64 s[48:49], s[28:29]
; %bb.11118:                            ;   in Loop: Header=BB6_10588 Depth=4
	v_bfe_u32 v2, v1, 21, 1
	v_add_co_u32_e64 v2, s[28:29], v1, v2
	v_add_co_u32_e64 v2, s[28:29], -1, v2
; %bb.11119:                            ;   in Loop: Header=BB6_10588 Depth=4
	s_or_b64 exec, exec, s[48:49]
	v_add_u32_e32 v3, 0xffffff81, v6
	v_mov_b32_e32 v6, 0xffffff82
	v_cndmask_b32_e32 v3, v3, v6, vcc
	v_lshrrev_b32_e32 v6, 23, v1
	v_add3_u32 v7, v7, v3, v6
	v_add_u32_e32 v6, 14, v7
	v_and_b32_e32 v2, 0x1fffff, v2
	v_add_u32_e32 v32, v2, v1
	v_cmp_ne_u32_e32 vcc, 0, v6
                                        ; implicit-def: $vgpr1_vgpr2
                                        ; implicit-def: $vgpr3
	s_and_saveexec_b64 s[28:29], vcc
	s_xor_b64 s[28:29], exec, s[28:29]
; %bb.11120:                            ;   in Loop: Header=BB6_10588 Depth=4
	v_cmp_lt_u64_e32 vcc, s[88:89], v[32:33]
	v_add_u32_e32 v1, 15, v7
	v_cndmask_b32_e32 v3, v6, v1, vcc
	v_cndmask_b32_e64 v1, 0, 1, vcc
	v_lshrrev_b64 v[1:2], v1, v[32:33]
; %bb.11121:                            ;   in Loop: Header=BB6_10588 Depth=4
	s_andn2_saveexec_b64 s[28:29], s[28:29]
; %bb.11122:                            ;   in Loop: Header=BB6_10588 Depth=4
	v_mov_b32_e32 v1, v32
	v_mov_b32_e32 v2, v33
	v_bfe_u32 v3, v32, 23, 1
; %bb.11123:                            ;   in Loop: Header=BB6_10588 Depth=4
	s_or_b64 exec, exec, s[28:29]
	v_lshrrev_b64 v[1:2], 21, v[1:2]
	v_cmp_gt_i32_e32 vcc, 32, v3
	v_cndmask_b32_e32 v2, 0, v2, vcc
	v_cndmask_b32_e32 v1, 3, v1, vcc
	v_cmp_ne_u64_e32 vcc, 0, v[1:2]
	v_cmp_ne_u32_e64 s[28:29], 0, v3
	s_or_b64 s[28:29], s[28:29], vcc
                                        ; implicit-def: $vgpr2
	buffer_store_dword v2, off, s[0:3], s33 offset:196 ; 4-byte Folded Spill
	s_nop 0
	buffer_store_dword v3, off, s[0:3], s33 offset:200 ; 4-byte Folded Spill
	s_and_saveexec_b64 s[62:63], s[28:29]
	s_xor_b64 s[28:29], exec, s[62:63]
	s_cbranch_execz .LBB6_11125
; %bb.11124:                            ;   in Loop: Header=BB6_10588 Depth=4
	v_min_i32_e32 v2, 31, v3
	v_lshl_or_b32 v2, v2, 2, v5
	v_and_or_b32 v1, v1, 3, v2
	buffer_store_dword v1, off, s[0:3], s33 offset:196 ; 4-byte Folded Spill
	s_nop 0
	buffer_store_dword v2, off, s[0:3], s33 offset:200 ; 4-byte Folded Spill
                                        ; implicit-def: $vgpr5
.LBB6_11125:                            ;   in Loop: Header=BB6_10588 Depth=4
	s_andn2_saveexec_b64 s[28:29], s[28:29]
	s_cbranch_execz .LBB6_11127
; %bb.11126:                            ;   in Loop: Header=BB6_10588 Depth=4
	v_mov_b32_e32 v1, v5
	buffer_store_dword v1, off, s[0:3], s33 offset:196 ; 4-byte Folded Spill
	s_nop 0
	buffer_store_dword v2, off, s[0:3], s33 offset:200 ; 4-byte Folded Spill
.LBB6_11127:                            ;   in Loop: Header=BB6_10588 Depth=4
	s_or_b64 exec, exec, s[28:29]
.LBB6_11128:                            ;   in Loop: Header=BB6_10588 Depth=4
	s_or_b64 exec, exec, s[38:39]
                                        ; implicit-def: $vgpr5
.LBB6_11129:                            ;   in Loop: Header=BB6_10588 Depth=4
	s_andn2_saveexec_b64 s[28:29], s[36:37]
	s_cbranch_execz .LBB6_11131
; %bb.11130:                            ;   in Loop: Header=BB6_10588 Depth=4
	v_or_b32_e32 v1, 0x7b, v5
	buffer_store_dword v1, off, s[0:3], s33 offset:196 ; 4-byte Folded Spill
	s_nop 0
	buffer_store_dword v2, off, s[0:3], s33 offset:200 ; 4-byte Folded Spill
.LBB6_11131:                            ;   in Loop: Header=BB6_10588 Depth=4
	s_or_b64 exec, exec, s[28:29]
                                        ; implicit-def: $vgpr1
.LBB6_11132:                            ;   in Loop: Header=BB6_10588 Depth=4
	s_andn2_saveexec_b64 s[28:29], s[34:35]
	s_cbranch_execz .LBB6_11138
; %bb.11133:                            ;   in Loop: Header=BB6_10588 Depth=4
	v_cmp_ne_u64_e32 vcc, 0, v[32:33]
                                        ; implicit-def: $vgpr2
	buffer_store_dword v2, off, s[0:3], s33 offset:196 ; 4-byte Folded Spill
	s_nop 0
	buffer_store_dword v3, off, s[0:3], s33 offset:200 ; 4-byte Folded Spill
	s_and_saveexec_b64 s[62:63], vcc
	s_xor_b64 vcc, exec, s[62:63]
	s_cbranch_execz .LBB6_11135
; %bb.11134:                            ;   in Loop: Header=BB6_10588 Depth=4
	v_or_b32_sdwa v1, v1, s44 dst_sel:DWORD dst_unused:UNUSED_PAD src0_sel:BYTE_3 src1_sel:DWORD
	buffer_store_dword v1, off, s[0:3], s33 offset:196 ; 4-byte Folded Spill
	s_nop 0
	buffer_store_dword v2, off, s[0:3], s33 offset:200 ; 4-byte Folded Spill
                                        ; implicit-def: $vgpr1
.LBB6_11135:                            ;   in Loop: Header=BB6_10588 Depth=4
	s_andn2_saveexec_b64 s[34:35], vcc
	s_cbranch_execz .LBB6_11137
; %bb.11136:                            ;   in Loop: Header=BB6_10588 Depth=4
	v_cmp_lt_i32_e32 vcc, -1, v1
	v_mov_b32_e32 v1, 0x7c
	v_cndmask_b32_e32 v1, -4, v1, vcc
	buffer_store_dword v1, off, s[0:3], s33 offset:196 ; 4-byte Folded Spill
	s_nop 0
	buffer_store_dword v2, off, s[0:3], s33 offset:200 ; 4-byte Folded Spill
.LBB6_11137:                            ;   in Loop: Header=BB6_10588 Depth=4
	s_or_b64 exec, exec, s[34:35]
.LBB6_11138:                            ;   in Loop: Header=BB6_10588 Depth=4
	s_or_b64 exec, exec, s[28:29]
	flat_load_sbyte v1, v[8:9] offset:1088 glc slc
	v_mov_b32_e32 v2, 0
	s_waitcnt vmcnt(0) lgkmcnt(0)
	v_cmp_ne_u16_e32 vcc, 0, v1
	s_and_saveexec_b64 s[28:29], vcc
	s_cbranch_execz .LBB6_11146
; %bb.11139:                            ;   in Loop: Header=BB6_10588 Depth=4
	v_cmp_ne_u16_e32 vcc, s46, v1
	v_bfrev_b32_e32 v2, 1
	s_and_saveexec_b64 s[34:35], vcc
	s_cbranch_execz .LBB6_11145
; %bb.11140:                            ;   in Loop: Header=BB6_10588 Depth=4
	v_and_b32_e32 v2, 0x7c, v1
	v_and_b32_e32 v3, 3, v1
	v_cmp_ne_u32_e32 vcc, s86, v2
                                        ; implicit-def: $vgpr2
	s_and_saveexec_b64 s[62:63], vcc
	s_xor_b64 s[36:37], exec, s[62:63]
	s_cbranch_execz .LBB6_11142
; %bb.11141:                            ;   in Loop: Header=BB6_10588 Depth=4
	v_and_b32_e32 v5, 0xff, v1
	v_bfe_u32 v7, v5, 2, 5
	v_ffbh_u32_e32 v5, v3
	v_min_u32_e32 v14, 32, v5
	v_mov_b32_e32 v2, v33
	v_subrev_u32_e32 v5, 29, v14
	v_lshlrev_b64 v[5:6], v5, v[1:2]
	v_sub_u32_e32 v2, 30, v14
	v_cmp_eq_u32_e32 vcc, 0, v7
	v_and_b32_e32 v5, 3, v5
	v_cndmask_b32_e32 v2, v7, v2, vcc
	v_and_b32_sdwa v1, sext(v1), s87 dst_sel:DWORD dst_unused:UNUSED_PAD src0_sel:WORD_0 src1_sel:DWORD
	v_cndmask_b32_e32 v3, v3, v5, vcc
	v_lshl_add_u32 v1, v2, 23, v1
	v_lshl_or_b32 v1, v3, 21, v1
	v_add_u32_e32 v2, 0x38000000, v1
                                        ; implicit-def: $vgpr3
                                        ; implicit-def: $vgpr1
.LBB6_11142:                            ;   in Loop: Header=BB6_10588 Depth=4
	s_andn2_saveexec_b64 s[36:37], s[36:37]
; %bb.11143:                            ;   in Loop: Header=BB6_10588 Depth=4
	v_cmp_lt_i16_e32 vcc, -1, v1
	v_mov_b32_e32 v1, 0xff800000
	v_mov_b32_e32 v2, 0x7f800000
	v_cndmask_b32_e32 v1, v1, v2, vcc
	v_cmp_eq_u32_e32 vcc, 0, v3
	v_mov_b32_e32 v2, 0x7f800001
	v_cndmask_b32_e32 v2, v2, v1, vcc
; %bb.11144:                            ;   in Loop: Header=BB6_10588 Depth=4
	s_or_b64 exec, exec, s[36:37]
.LBB6_11145:                            ;   in Loop: Header=BB6_10588 Depth=4
	s_or_b64 exec, exec, s[34:35]
.LBB6_11146:                            ;   in Loop: Header=BB6_10588 Depth=4
	s_or_b64 exec, exec, s[28:29]
	v_mul_f32_e32 v1, v4, v2
	v_and_b32_e32 v2, 0x7f800000, v1
	v_mov_b32_e32 v3, v33
	v_cmp_ne_u64_e32 vcc, s[76:77], v[2:3]
	v_and_b32_e32 v32, 0x7fffff, v1
                                        ; implicit-def: $vgpr2
	buffer_store_dword v2, off, s[0:3], s33 offset:188 ; 4-byte Folded Spill
	s_nop 0
	buffer_store_dword v3, off, s[0:3], s33 offset:192 ; 4-byte Folded Spill
	s_and_saveexec_b64 s[28:29], vcc
	s_xor_b64 s[34:35], exec, s[28:29]
	s_cbranch_execz .LBB6_11164
; %bb.11147:                            ;   in Loop: Header=BB6_10588 Depth=4
	v_and_b32_e32 v2, 0x7fffffff, v1
	v_mov_b32_e32 v3, v33
	v_cmp_gt_u64_e32 vcc, s[78:79], v[2:3]
	v_and_b32_sdwa v5, v1, s97 dst_sel:DWORD dst_unused:UNUSED_PAD src0_sel:BYTE_3 src1_sel:DWORD
                                        ; implicit-def: $vgpr2
	buffer_store_dword v2, off, s[0:3], s33 offset:188 ; 4-byte Folded Spill
	s_nop 0
	buffer_store_dword v3, off, s[0:3], s33 offset:192 ; 4-byte Folded Spill
	s_and_saveexec_b64 s[28:29], vcc
	s_xor_b64 s[36:37], exec, s[28:29]
	s_cbranch_execz .LBB6_11161
; %bb.11148:                            ;   in Loop: Header=BB6_10588 Depth=4
	v_cmp_ne_u32_e32 vcc, 0, v1
	v_mov_b32_e32 v2, 0
	buffer_store_dword v2, off, s[0:3], s33 offset:188 ; 4-byte Folded Spill
	s_nop 0
	buffer_store_dword v3, off, s[0:3], s33 offset:192 ; 4-byte Folded Spill
	s_and_saveexec_b64 s[38:39], vcc
	s_cbranch_execz .LBB6_11160
; %bb.11149:                            ;   in Loop: Header=BB6_10588 Depth=4
	v_bfe_u32 v6, v1, 23, 8
	v_cmp_gt_u32_e64 s[28:29], s47, v6
	v_sub_u32_e32 v1, 0x71, v6
	v_cmp_eq_u32_e32 vcc, 0, v6
	v_cndmask_b32_e64 v1, 0, v1, s[28:29]
	v_mov_b32_e32 v3, 0x70
	v_cndmask_b32_e32 v7, v1, v3, vcc
	v_add_u32_e32 v3, 21, v7
	v_or_b32_e32 v2, 0x800000, v32
	v_lshlrev_b64 v[14:15], v3, -1
	v_cndmask_b32_e32 v1, v2, v32, vcc
	v_mov_b32_e32 v2, v33
	v_add_u32_e32 v3, 20, v7
	v_bfi_b32 v14, v14, 0, v1
	v_lshlrev_b64 v[17:18], v3, 1
	v_lshrrev_b64 v[1:2], v7, v[1:2]
	v_bfi_b32 v15, v15, 0, 0
	v_cmp_eq_u64_e64 s[28:29], v[14:15], v[17:18]
	v_mov_b32_e32 v3, v2
	v_mov_b32_e32 v2, v1
	s_and_saveexec_b64 s[48:49], s[28:29]
; %bb.11150:                            ;   in Loop: Header=BB6_10588 Depth=4
	v_bfe_u32 v2, v1, 21, 1
	v_add_co_u32_e64 v2, s[28:29], v1, v2
	v_add_co_u32_e64 v2, s[28:29], -1, v2
; %bb.11151:                            ;   in Loop: Header=BB6_10588 Depth=4
	s_or_b64 exec, exec, s[48:49]
	v_add_u32_e32 v3, 0xffffff81, v6
	v_mov_b32_e32 v6, 0xffffff82
	v_cndmask_b32_e32 v3, v3, v6, vcc
	v_lshrrev_b32_e32 v6, 23, v1
	v_add3_u32 v7, v7, v3, v6
	v_add_u32_e32 v6, 14, v7
	v_and_b32_e32 v2, 0x1fffff, v2
	v_add_u32_e32 v32, v2, v1
	v_cmp_ne_u32_e32 vcc, 0, v6
                                        ; implicit-def: $vgpr1_vgpr2
                                        ; implicit-def: $vgpr3
	s_and_saveexec_b64 s[28:29], vcc
	s_xor_b64 s[28:29], exec, s[28:29]
; %bb.11152:                            ;   in Loop: Header=BB6_10588 Depth=4
	v_cmp_lt_u64_e32 vcc, s[88:89], v[32:33]
	v_add_u32_e32 v1, 15, v7
	v_cndmask_b32_e32 v3, v6, v1, vcc
	v_cndmask_b32_e64 v1, 0, 1, vcc
	v_lshrrev_b64 v[1:2], v1, v[32:33]
; %bb.11153:                            ;   in Loop: Header=BB6_10588 Depth=4
	s_andn2_saveexec_b64 s[28:29], s[28:29]
; %bb.11154:                            ;   in Loop: Header=BB6_10588 Depth=4
	v_mov_b32_e32 v1, v32
	v_mov_b32_e32 v2, v33
	v_bfe_u32 v3, v32, 23, 1
; %bb.11155:                            ;   in Loop: Header=BB6_10588 Depth=4
	s_or_b64 exec, exec, s[28:29]
	v_lshrrev_b64 v[1:2], 21, v[1:2]
	v_cmp_gt_i32_e32 vcc, 32, v3
	v_cndmask_b32_e32 v2, 0, v2, vcc
	v_cndmask_b32_e32 v1, 3, v1, vcc
	v_cmp_ne_u64_e32 vcc, 0, v[1:2]
	v_cmp_ne_u32_e64 s[28:29], 0, v3
	s_or_b64 s[28:29], s[28:29], vcc
                                        ; implicit-def: $vgpr2
	buffer_store_dword v2, off, s[0:3], s33 offset:188 ; 4-byte Folded Spill
	s_nop 0
	buffer_store_dword v3, off, s[0:3], s33 offset:192 ; 4-byte Folded Spill
	s_and_saveexec_b64 s[62:63], s[28:29]
	s_xor_b64 s[28:29], exec, s[62:63]
	s_cbranch_execz .LBB6_11157
; %bb.11156:                            ;   in Loop: Header=BB6_10588 Depth=4
	v_min_i32_e32 v2, 31, v3
	v_lshl_or_b32 v2, v2, 2, v5
	v_and_or_b32 v1, v1, 3, v2
	buffer_store_dword v1, off, s[0:3], s33 offset:188 ; 4-byte Folded Spill
	s_nop 0
	buffer_store_dword v2, off, s[0:3], s33 offset:192 ; 4-byte Folded Spill
                                        ; implicit-def: $vgpr5
.LBB6_11157:                            ;   in Loop: Header=BB6_10588 Depth=4
	s_andn2_saveexec_b64 s[28:29], s[28:29]
	s_cbranch_execz .LBB6_11159
; %bb.11158:                            ;   in Loop: Header=BB6_10588 Depth=4
	v_mov_b32_e32 v1, v5
	buffer_store_dword v1, off, s[0:3], s33 offset:188 ; 4-byte Folded Spill
	s_nop 0
	buffer_store_dword v2, off, s[0:3], s33 offset:192 ; 4-byte Folded Spill
.LBB6_11159:                            ;   in Loop: Header=BB6_10588 Depth=4
	s_or_b64 exec, exec, s[28:29]
.LBB6_11160:                            ;   in Loop: Header=BB6_10588 Depth=4
	s_or_b64 exec, exec, s[38:39]
                                        ; implicit-def: $vgpr5
.LBB6_11161:                            ;   in Loop: Header=BB6_10588 Depth=4
	s_andn2_saveexec_b64 s[28:29], s[36:37]
	s_cbranch_execz .LBB6_11163
; %bb.11162:                            ;   in Loop: Header=BB6_10588 Depth=4
	v_or_b32_e32 v1, 0x7b, v5
	buffer_store_dword v1, off, s[0:3], s33 offset:188 ; 4-byte Folded Spill
	s_nop 0
	buffer_store_dword v2, off, s[0:3], s33 offset:192 ; 4-byte Folded Spill
.LBB6_11163:                            ;   in Loop: Header=BB6_10588 Depth=4
	s_or_b64 exec, exec, s[28:29]
                                        ; implicit-def: $vgpr1
.LBB6_11164:                            ;   in Loop: Header=BB6_10588 Depth=4
	s_andn2_saveexec_b64 s[28:29], s[34:35]
	s_cbranch_execz .LBB6_11170
; %bb.11165:                            ;   in Loop: Header=BB6_10588 Depth=4
	v_cmp_ne_u64_e32 vcc, 0, v[32:33]
                                        ; implicit-def: $vgpr2
	buffer_store_dword v2, off, s[0:3], s33 offset:188 ; 4-byte Folded Spill
	s_nop 0
	buffer_store_dword v3, off, s[0:3], s33 offset:192 ; 4-byte Folded Spill
	s_and_saveexec_b64 s[62:63], vcc
	s_xor_b64 vcc, exec, s[62:63]
	s_cbranch_execz .LBB6_11167
; %bb.11166:                            ;   in Loop: Header=BB6_10588 Depth=4
	v_or_b32_sdwa v1, v1, s44 dst_sel:DWORD dst_unused:UNUSED_PAD src0_sel:BYTE_3 src1_sel:DWORD
	buffer_store_dword v1, off, s[0:3], s33 offset:188 ; 4-byte Folded Spill
	s_nop 0
	buffer_store_dword v2, off, s[0:3], s33 offset:192 ; 4-byte Folded Spill
                                        ; implicit-def: $vgpr1
.LBB6_11167:                            ;   in Loop: Header=BB6_10588 Depth=4
	s_andn2_saveexec_b64 s[34:35], vcc
	s_cbranch_execz .LBB6_11169
; %bb.11168:                            ;   in Loop: Header=BB6_10588 Depth=4
	v_cmp_lt_i32_e32 vcc, -1, v1
	v_mov_b32_e32 v1, 0x7c
	v_cndmask_b32_e32 v1, -4, v1, vcc
	buffer_store_dword v1, off, s[0:3], s33 offset:188 ; 4-byte Folded Spill
	s_nop 0
	buffer_store_dword v2, off, s[0:3], s33 offset:192 ; 4-byte Folded Spill
.LBB6_11169:                            ;   in Loop: Header=BB6_10588 Depth=4
	s_or_b64 exec, exec, s[34:35]
.LBB6_11170:                            ;   in Loop: Header=BB6_10588 Depth=4
	s_or_b64 exec, exec, s[28:29]
	flat_load_sbyte v1, v[8:9] offset:1152 glc slc
	v_mov_b32_e32 v2, 0
	s_waitcnt vmcnt(0) lgkmcnt(0)
	v_cmp_ne_u16_e32 vcc, 0, v1
	s_and_saveexec_b64 s[28:29], vcc
	s_cbranch_execz .LBB6_11178
; %bb.11171:                            ;   in Loop: Header=BB6_10588 Depth=4
	v_cmp_ne_u16_e32 vcc, s46, v1
	v_bfrev_b32_e32 v2, 1
	s_and_saveexec_b64 s[34:35], vcc
	s_cbranch_execz .LBB6_11177
; %bb.11172:                            ;   in Loop: Header=BB6_10588 Depth=4
	v_and_b32_e32 v2, 0x7c, v1
	v_and_b32_e32 v3, 3, v1
	v_cmp_ne_u32_e32 vcc, s86, v2
                                        ; implicit-def: $vgpr2
	s_and_saveexec_b64 s[62:63], vcc
	s_xor_b64 s[36:37], exec, s[62:63]
	s_cbranch_execz .LBB6_11174
; %bb.11173:                            ;   in Loop: Header=BB6_10588 Depth=4
	v_and_b32_e32 v5, 0xff, v1
	v_bfe_u32 v7, v5, 2, 5
	v_ffbh_u32_e32 v5, v3
	v_min_u32_e32 v14, 32, v5
	v_mov_b32_e32 v2, v33
	v_subrev_u32_e32 v5, 29, v14
	v_lshlrev_b64 v[5:6], v5, v[1:2]
	v_sub_u32_e32 v2, 30, v14
	v_cmp_eq_u32_e32 vcc, 0, v7
	v_and_b32_e32 v5, 3, v5
	v_cndmask_b32_e32 v2, v7, v2, vcc
	v_and_b32_sdwa v1, sext(v1), s87 dst_sel:DWORD dst_unused:UNUSED_PAD src0_sel:WORD_0 src1_sel:DWORD
	v_cndmask_b32_e32 v3, v3, v5, vcc
	v_lshl_add_u32 v1, v2, 23, v1
	v_lshl_or_b32 v1, v3, 21, v1
	v_add_u32_e32 v2, 0x38000000, v1
                                        ; implicit-def: $vgpr3
                                        ; implicit-def: $vgpr1
.LBB6_11174:                            ;   in Loop: Header=BB6_10588 Depth=4
	s_andn2_saveexec_b64 s[36:37], s[36:37]
; %bb.11175:                            ;   in Loop: Header=BB6_10588 Depth=4
	v_cmp_lt_i16_e32 vcc, -1, v1
	v_mov_b32_e32 v1, 0xff800000
	v_mov_b32_e32 v2, 0x7f800000
	v_cndmask_b32_e32 v1, v1, v2, vcc
	v_cmp_eq_u32_e32 vcc, 0, v3
	v_mov_b32_e32 v2, 0x7f800001
	v_cndmask_b32_e32 v2, v2, v1, vcc
; %bb.11176:                            ;   in Loop: Header=BB6_10588 Depth=4
	s_or_b64 exec, exec, s[36:37]
.LBB6_11177:                            ;   in Loop: Header=BB6_10588 Depth=4
	s_or_b64 exec, exec, s[34:35]
.LBB6_11178:                            ;   in Loop: Header=BB6_10588 Depth=4
	s_or_b64 exec, exec, s[28:29]
	v_mul_f32_e32 v1, v4, v2
	v_and_b32_e32 v2, 0x7f800000, v1
	v_mov_b32_e32 v3, v33
	v_cmp_ne_u64_e32 vcc, s[76:77], v[2:3]
	v_and_b32_e32 v32, 0x7fffff, v1
                                        ; implicit-def: $vgpr2
	buffer_store_dword v2, off, s[0:3], s33 offset:180 ; 4-byte Folded Spill
	s_nop 0
	buffer_store_dword v3, off, s[0:3], s33 offset:184 ; 4-byte Folded Spill
	s_and_saveexec_b64 s[28:29], vcc
	s_xor_b64 s[34:35], exec, s[28:29]
	s_cbranch_execz .LBB6_11196
; %bb.11179:                            ;   in Loop: Header=BB6_10588 Depth=4
	v_and_b32_e32 v2, 0x7fffffff, v1
	v_mov_b32_e32 v3, v33
	v_cmp_gt_u64_e32 vcc, s[78:79], v[2:3]
	v_and_b32_sdwa v5, v1, s97 dst_sel:DWORD dst_unused:UNUSED_PAD src0_sel:BYTE_3 src1_sel:DWORD
                                        ; implicit-def: $vgpr2
	buffer_store_dword v2, off, s[0:3], s33 offset:180 ; 4-byte Folded Spill
	s_nop 0
	buffer_store_dword v3, off, s[0:3], s33 offset:184 ; 4-byte Folded Spill
	s_and_saveexec_b64 s[28:29], vcc
	s_xor_b64 s[36:37], exec, s[28:29]
	s_cbranch_execz .LBB6_11193
; %bb.11180:                            ;   in Loop: Header=BB6_10588 Depth=4
	v_cmp_ne_u32_e32 vcc, 0, v1
	v_mov_b32_e32 v2, 0
	buffer_store_dword v2, off, s[0:3], s33 offset:180 ; 4-byte Folded Spill
	s_nop 0
	buffer_store_dword v3, off, s[0:3], s33 offset:184 ; 4-byte Folded Spill
	s_and_saveexec_b64 s[38:39], vcc
	s_cbranch_execz .LBB6_11192
; %bb.11181:                            ;   in Loop: Header=BB6_10588 Depth=4
	v_bfe_u32 v6, v1, 23, 8
	v_cmp_gt_u32_e64 s[28:29], s47, v6
	v_sub_u32_e32 v1, 0x71, v6
	v_cmp_eq_u32_e32 vcc, 0, v6
	v_cndmask_b32_e64 v1, 0, v1, s[28:29]
	v_mov_b32_e32 v3, 0x70
	v_cndmask_b32_e32 v7, v1, v3, vcc
	v_add_u32_e32 v3, 21, v7
	v_or_b32_e32 v2, 0x800000, v32
	v_lshlrev_b64 v[14:15], v3, -1
	v_cndmask_b32_e32 v1, v2, v32, vcc
	v_mov_b32_e32 v2, v33
	v_add_u32_e32 v3, 20, v7
	v_bfi_b32 v14, v14, 0, v1
	v_lshlrev_b64 v[17:18], v3, 1
	v_lshrrev_b64 v[1:2], v7, v[1:2]
	v_bfi_b32 v15, v15, 0, 0
	v_cmp_eq_u64_e64 s[28:29], v[14:15], v[17:18]
	v_mov_b32_e32 v3, v2
	v_mov_b32_e32 v2, v1
	s_and_saveexec_b64 s[48:49], s[28:29]
; %bb.11182:                            ;   in Loop: Header=BB6_10588 Depth=4
	v_bfe_u32 v2, v1, 21, 1
	v_add_co_u32_e64 v2, s[28:29], v1, v2
	v_add_co_u32_e64 v2, s[28:29], -1, v2
; %bb.11183:                            ;   in Loop: Header=BB6_10588 Depth=4
	s_or_b64 exec, exec, s[48:49]
	v_add_u32_e32 v3, 0xffffff81, v6
	v_mov_b32_e32 v6, 0xffffff82
	v_cndmask_b32_e32 v3, v3, v6, vcc
	v_lshrrev_b32_e32 v6, 23, v1
	v_add3_u32 v7, v7, v3, v6
	v_add_u32_e32 v6, 14, v7
	v_and_b32_e32 v2, 0x1fffff, v2
	v_add_u32_e32 v32, v2, v1
	v_cmp_ne_u32_e32 vcc, 0, v6
                                        ; implicit-def: $vgpr1_vgpr2
                                        ; implicit-def: $vgpr3
	s_and_saveexec_b64 s[28:29], vcc
	s_xor_b64 s[28:29], exec, s[28:29]
; %bb.11184:                            ;   in Loop: Header=BB6_10588 Depth=4
	v_cmp_lt_u64_e32 vcc, s[88:89], v[32:33]
	v_add_u32_e32 v1, 15, v7
	v_cndmask_b32_e32 v3, v6, v1, vcc
	v_cndmask_b32_e64 v1, 0, 1, vcc
	v_lshrrev_b64 v[1:2], v1, v[32:33]
; %bb.11185:                            ;   in Loop: Header=BB6_10588 Depth=4
	s_andn2_saveexec_b64 s[28:29], s[28:29]
; %bb.11186:                            ;   in Loop: Header=BB6_10588 Depth=4
	v_mov_b32_e32 v1, v32
	v_mov_b32_e32 v2, v33
	v_bfe_u32 v3, v32, 23, 1
; %bb.11187:                            ;   in Loop: Header=BB6_10588 Depth=4
	s_or_b64 exec, exec, s[28:29]
	v_lshrrev_b64 v[1:2], 21, v[1:2]
	v_cmp_gt_i32_e32 vcc, 32, v3
	v_cndmask_b32_e32 v2, 0, v2, vcc
	v_cndmask_b32_e32 v1, 3, v1, vcc
	v_cmp_ne_u64_e32 vcc, 0, v[1:2]
	v_cmp_ne_u32_e64 s[28:29], 0, v3
	s_or_b64 s[28:29], s[28:29], vcc
                                        ; implicit-def: $vgpr2
	buffer_store_dword v2, off, s[0:3], s33 offset:180 ; 4-byte Folded Spill
	s_nop 0
	buffer_store_dword v3, off, s[0:3], s33 offset:184 ; 4-byte Folded Spill
	s_and_saveexec_b64 s[62:63], s[28:29]
	s_xor_b64 s[28:29], exec, s[62:63]
	s_cbranch_execz .LBB6_11189
; %bb.11188:                            ;   in Loop: Header=BB6_10588 Depth=4
	v_min_i32_e32 v2, 31, v3
	v_lshl_or_b32 v2, v2, 2, v5
	v_and_or_b32 v1, v1, 3, v2
	buffer_store_dword v1, off, s[0:3], s33 offset:180 ; 4-byte Folded Spill
	s_nop 0
	buffer_store_dword v2, off, s[0:3], s33 offset:184 ; 4-byte Folded Spill
                                        ; implicit-def: $vgpr5
.LBB6_11189:                            ;   in Loop: Header=BB6_10588 Depth=4
	s_andn2_saveexec_b64 s[28:29], s[28:29]
	s_cbranch_execz .LBB6_11191
; %bb.11190:                            ;   in Loop: Header=BB6_10588 Depth=4
	v_mov_b32_e32 v1, v5
	buffer_store_dword v1, off, s[0:3], s33 offset:180 ; 4-byte Folded Spill
	s_nop 0
	buffer_store_dword v2, off, s[0:3], s33 offset:184 ; 4-byte Folded Spill
.LBB6_11191:                            ;   in Loop: Header=BB6_10588 Depth=4
	s_or_b64 exec, exec, s[28:29]
.LBB6_11192:                            ;   in Loop: Header=BB6_10588 Depth=4
	s_or_b64 exec, exec, s[38:39]
                                        ; implicit-def: $vgpr5
.LBB6_11193:                            ;   in Loop: Header=BB6_10588 Depth=4
	s_andn2_saveexec_b64 s[28:29], s[36:37]
	s_cbranch_execz .LBB6_11195
; %bb.11194:                            ;   in Loop: Header=BB6_10588 Depth=4
	v_or_b32_e32 v1, 0x7b, v5
	buffer_store_dword v1, off, s[0:3], s33 offset:180 ; 4-byte Folded Spill
	s_nop 0
	buffer_store_dword v2, off, s[0:3], s33 offset:184 ; 4-byte Folded Spill
.LBB6_11195:                            ;   in Loop: Header=BB6_10588 Depth=4
	s_or_b64 exec, exec, s[28:29]
                                        ; implicit-def: $vgpr1
.LBB6_11196:                            ;   in Loop: Header=BB6_10588 Depth=4
	s_andn2_saveexec_b64 s[28:29], s[34:35]
	s_cbranch_execz .LBB6_11202
; %bb.11197:                            ;   in Loop: Header=BB6_10588 Depth=4
	v_cmp_ne_u64_e32 vcc, 0, v[32:33]
                                        ; implicit-def: $vgpr2
	buffer_store_dword v2, off, s[0:3], s33 offset:180 ; 4-byte Folded Spill
	s_nop 0
	buffer_store_dword v3, off, s[0:3], s33 offset:184 ; 4-byte Folded Spill
	s_and_saveexec_b64 s[62:63], vcc
	s_xor_b64 vcc, exec, s[62:63]
	s_cbranch_execz .LBB6_11199
; %bb.11198:                            ;   in Loop: Header=BB6_10588 Depth=4
	v_or_b32_sdwa v1, v1, s44 dst_sel:DWORD dst_unused:UNUSED_PAD src0_sel:BYTE_3 src1_sel:DWORD
	buffer_store_dword v1, off, s[0:3], s33 offset:180 ; 4-byte Folded Spill
	s_nop 0
	buffer_store_dword v2, off, s[0:3], s33 offset:184 ; 4-byte Folded Spill
                                        ; implicit-def: $vgpr1
.LBB6_11199:                            ;   in Loop: Header=BB6_10588 Depth=4
	s_andn2_saveexec_b64 s[34:35], vcc
	s_cbranch_execz .LBB6_11201
; %bb.11200:                            ;   in Loop: Header=BB6_10588 Depth=4
	v_cmp_lt_i32_e32 vcc, -1, v1
	v_mov_b32_e32 v1, 0x7c
	v_cndmask_b32_e32 v1, -4, v1, vcc
	buffer_store_dword v1, off, s[0:3], s33 offset:180 ; 4-byte Folded Spill
	s_nop 0
	buffer_store_dword v2, off, s[0:3], s33 offset:184 ; 4-byte Folded Spill
.LBB6_11201:                            ;   in Loop: Header=BB6_10588 Depth=4
	s_or_b64 exec, exec, s[34:35]
.LBB6_11202:                            ;   in Loop: Header=BB6_10588 Depth=4
	s_or_b64 exec, exec, s[28:29]
	flat_load_sbyte v1, v[8:9] offset:1216 glc slc
	v_mov_b32_e32 v2, 0
	s_waitcnt vmcnt(0) lgkmcnt(0)
	v_cmp_ne_u16_e32 vcc, 0, v1
	s_and_saveexec_b64 s[28:29], vcc
	s_cbranch_execz .LBB6_11210
; %bb.11203:                            ;   in Loop: Header=BB6_10588 Depth=4
	v_cmp_ne_u16_e32 vcc, s46, v1
	v_bfrev_b32_e32 v2, 1
	s_and_saveexec_b64 s[34:35], vcc
	s_cbranch_execz .LBB6_11209
; %bb.11204:                            ;   in Loop: Header=BB6_10588 Depth=4
	v_and_b32_e32 v2, 0x7c, v1
	v_and_b32_e32 v3, 3, v1
	v_cmp_ne_u32_e32 vcc, s86, v2
                                        ; implicit-def: $vgpr2
	s_and_saveexec_b64 s[62:63], vcc
	s_xor_b64 s[36:37], exec, s[62:63]
	s_cbranch_execz .LBB6_11206
; %bb.11205:                            ;   in Loop: Header=BB6_10588 Depth=4
	v_and_b32_e32 v5, 0xff, v1
	v_bfe_u32 v7, v5, 2, 5
	v_ffbh_u32_e32 v5, v3
	v_min_u32_e32 v14, 32, v5
	v_mov_b32_e32 v2, v33
	v_subrev_u32_e32 v5, 29, v14
	v_lshlrev_b64 v[5:6], v5, v[1:2]
	v_sub_u32_e32 v2, 30, v14
	v_cmp_eq_u32_e32 vcc, 0, v7
	v_and_b32_e32 v5, 3, v5
	v_cndmask_b32_e32 v2, v7, v2, vcc
	v_and_b32_sdwa v1, sext(v1), s87 dst_sel:DWORD dst_unused:UNUSED_PAD src0_sel:WORD_0 src1_sel:DWORD
	v_cndmask_b32_e32 v3, v3, v5, vcc
	v_lshl_add_u32 v1, v2, 23, v1
	v_lshl_or_b32 v1, v3, 21, v1
	v_add_u32_e32 v2, 0x38000000, v1
                                        ; implicit-def: $vgpr3
                                        ; implicit-def: $vgpr1
.LBB6_11206:                            ;   in Loop: Header=BB6_10588 Depth=4
	s_andn2_saveexec_b64 s[36:37], s[36:37]
; %bb.11207:                            ;   in Loop: Header=BB6_10588 Depth=4
	v_cmp_lt_i16_e32 vcc, -1, v1
	v_mov_b32_e32 v1, 0xff800000
	v_mov_b32_e32 v2, 0x7f800000
	v_cndmask_b32_e32 v1, v1, v2, vcc
	v_cmp_eq_u32_e32 vcc, 0, v3
	v_mov_b32_e32 v2, 0x7f800001
	v_cndmask_b32_e32 v2, v2, v1, vcc
; %bb.11208:                            ;   in Loop: Header=BB6_10588 Depth=4
	s_or_b64 exec, exec, s[36:37]
.LBB6_11209:                            ;   in Loop: Header=BB6_10588 Depth=4
	s_or_b64 exec, exec, s[34:35]
.LBB6_11210:                            ;   in Loop: Header=BB6_10588 Depth=4
	s_or_b64 exec, exec, s[28:29]
	v_mul_f32_e32 v1, v4, v2
	v_and_b32_e32 v2, 0x7f800000, v1
	v_mov_b32_e32 v3, v33
	v_cmp_ne_u64_e32 vcc, s[76:77], v[2:3]
	v_and_b32_e32 v32, 0x7fffff, v1
                                        ; implicit-def: $vgpr2
	buffer_store_dword v2, off, s[0:3], s33 offset:172 ; 4-byte Folded Spill
	s_nop 0
	buffer_store_dword v3, off, s[0:3], s33 offset:176 ; 4-byte Folded Spill
	s_and_saveexec_b64 s[28:29], vcc
	s_xor_b64 s[34:35], exec, s[28:29]
	s_cbranch_execz .LBB6_11228
; %bb.11211:                            ;   in Loop: Header=BB6_10588 Depth=4
	v_and_b32_e32 v2, 0x7fffffff, v1
	v_mov_b32_e32 v3, v33
	v_cmp_gt_u64_e32 vcc, s[78:79], v[2:3]
	v_and_b32_sdwa v5, v1, s97 dst_sel:DWORD dst_unused:UNUSED_PAD src0_sel:BYTE_3 src1_sel:DWORD
                                        ; implicit-def: $vgpr2
	buffer_store_dword v2, off, s[0:3], s33 offset:172 ; 4-byte Folded Spill
	s_nop 0
	buffer_store_dword v3, off, s[0:3], s33 offset:176 ; 4-byte Folded Spill
	s_and_saveexec_b64 s[28:29], vcc
	s_xor_b64 s[36:37], exec, s[28:29]
	s_cbranch_execz .LBB6_11225
; %bb.11212:                            ;   in Loop: Header=BB6_10588 Depth=4
	v_cmp_ne_u32_e32 vcc, 0, v1
	v_mov_b32_e32 v2, 0
	buffer_store_dword v2, off, s[0:3], s33 offset:172 ; 4-byte Folded Spill
	s_nop 0
	buffer_store_dword v3, off, s[0:3], s33 offset:176 ; 4-byte Folded Spill
	s_and_saveexec_b64 s[38:39], vcc
	s_cbranch_execz .LBB6_11224
; %bb.11213:                            ;   in Loop: Header=BB6_10588 Depth=4
	v_bfe_u32 v6, v1, 23, 8
	v_cmp_gt_u32_e64 s[28:29], s47, v6
	v_sub_u32_e32 v1, 0x71, v6
	v_cmp_eq_u32_e32 vcc, 0, v6
	v_cndmask_b32_e64 v1, 0, v1, s[28:29]
	v_mov_b32_e32 v3, 0x70
	v_cndmask_b32_e32 v7, v1, v3, vcc
	v_add_u32_e32 v3, 21, v7
	v_or_b32_e32 v2, 0x800000, v32
	v_lshlrev_b64 v[14:15], v3, -1
	v_cndmask_b32_e32 v1, v2, v32, vcc
	v_mov_b32_e32 v2, v33
	v_add_u32_e32 v3, 20, v7
	v_bfi_b32 v14, v14, 0, v1
	v_lshlrev_b64 v[17:18], v3, 1
	v_lshrrev_b64 v[1:2], v7, v[1:2]
	v_bfi_b32 v15, v15, 0, 0
	v_cmp_eq_u64_e64 s[28:29], v[14:15], v[17:18]
	v_mov_b32_e32 v3, v2
	v_mov_b32_e32 v2, v1
	s_and_saveexec_b64 s[48:49], s[28:29]
; %bb.11214:                            ;   in Loop: Header=BB6_10588 Depth=4
	v_bfe_u32 v2, v1, 21, 1
	v_add_co_u32_e64 v2, s[28:29], v1, v2
	v_add_co_u32_e64 v2, s[28:29], -1, v2
; %bb.11215:                            ;   in Loop: Header=BB6_10588 Depth=4
	s_or_b64 exec, exec, s[48:49]
	v_add_u32_e32 v3, 0xffffff81, v6
	v_mov_b32_e32 v6, 0xffffff82
	v_cndmask_b32_e32 v3, v3, v6, vcc
	v_lshrrev_b32_e32 v6, 23, v1
	v_add3_u32 v7, v7, v3, v6
	v_add_u32_e32 v6, 14, v7
	v_and_b32_e32 v2, 0x1fffff, v2
	v_add_u32_e32 v32, v2, v1
	v_cmp_ne_u32_e32 vcc, 0, v6
                                        ; implicit-def: $vgpr1_vgpr2
                                        ; implicit-def: $vgpr3
	s_and_saveexec_b64 s[28:29], vcc
	s_xor_b64 s[28:29], exec, s[28:29]
; %bb.11216:                            ;   in Loop: Header=BB6_10588 Depth=4
	v_cmp_lt_u64_e32 vcc, s[88:89], v[32:33]
	v_add_u32_e32 v1, 15, v7
	v_cndmask_b32_e32 v3, v6, v1, vcc
	v_cndmask_b32_e64 v1, 0, 1, vcc
	v_lshrrev_b64 v[1:2], v1, v[32:33]
; %bb.11217:                            ;   in Loop: Header=BB6_10588 Depth=4
	s_andn2_saveexec_b64 s[28:29], s[28:29]
; %bb.11218:                            ;   in Loop: Header=BB6_10588 Depth=4
	v_mov_b32_e32 v1, v32
	v_mov_b32_e32 v2, v33
	v_bfe_u32 v3, v32, 23, 1
; %bb.11219:                            ;   in Loop: Header=BB6_10588 Depth=4
	s_or_b64 exec, exec, s[28:29]
	v_lshrrev_b64 v[1:2], 21, v[1:2]
	v_cmp_gt_i32_e32 vcc, 32, v3
	v_cndmask_b32_e32 v2, 0, v2, vcc
	v_cndmask_b32_e32 v1, 3, v1, vcc
	v_cmp_ne_u64_e32 vcc, 0, v[1:2]
	v_cmp_ne_u32_e64 s[28:29], 0, v3
	s_or_b64 s[28:29], s[28:29], vcc
                                        ; implicit-def: $vgpr2
	buffer_store_dword v2, off, s[0:3], s33 offset:172 ; 4-byte Folded Spill
	s_nop 0
	buffer_store_dword v3, off, s[0:3], s33 offset:176 ; 4-byte Folded Spill
	s_and_saveexec_b64 s[62:63], s[28:29]
	s_xor_b64 s[28:29], exec, s[62:63]
	s_cbranch_execz .LBB6_11221
; %bb.11220:                            ;   in Loop: Header=BB6_10588 Depth=4
	v_min_i32_e32 v2, 31, v3
	v_lshl_or_b32 v2, v2, 2, v5
	v_and_or_b32 v1, v1, 3, v2
	buffer_store_dword v1, off, s[0:3], s33 offset:172 ; 4-byte Folded Spill
	s_nop 0
	buffer_store_dword v2, off, s[0:3], s33 offset:176 ; 4-byte Folded Spill
                                        ; implicit-def: $vgpr5
.LBB6_11221:                            ;   in Loop: Header=BB6_10588 Depth=4
	s_andn2_saveexec_b64 s[28:29], s[28:29]
	s_cbranch_execz .LBB6_11223
; %bb.11222:                            ;   in Loop: Header=BB6_10588 Depth=4
	v_mov_b32_e32 v1, v5
	buffer_store_dword v1, off, s[0:3], s33 offset:172 ; 4-byte Folded Spill
	s_nop 0
	buffer_store_dword v2, off, s[0:3], s33 offset:176 ; 4-byte Folded Spill
.LBB6_11223:                            ;   in Loop: Header=BB6_10588 Depth=4
	s_or_b64 exec, exec, s[28:29]
.LBB6_11224:                            ;   in Loop: Header=BB6_10588 Depth=4
	s_or_b64 exec, exec, s[38:39]
                                        ; implicit-def: $vgpr5
.LBB6_11225:                            ;   in Loop: Header=BB6_10588 Depth=4
	s_andn2_saveexec_b64 s[28:29], s[36:37]
	s_cbranch_execz .LBB6_11227
; %bb.11226:                            ;   in Loop: Header=BB6_10588 Depth=4
	v_or_b32_e32 v1, 0x7b, v5
	buffer_store_dword v1, off, s[0:3], s33 offset:172 ; 4-byte Folded Spill
	s_nop 0
	buffer_store_dword v2, off, s[0:3], s33 offset:176 ; 4-byte Folded Spill
.LBB6_11227:                            ;   in Loop: Header=BB6_10588 Depth=4
	s_or_b64 exec, exec, s[28:29]
                                        ; implicit-def: $vgpr1
.LBB6_11228:                            ;   in Loop: Header=BB6_10588 Depth=4
	s_andn2_saveexec_b64 s[28:29], s[34:35]
	s_cbranch_execz .LBB6_11234
; %bb.11229:                            ;   in Loop: Header=BB6_10588 Depth=4
	v_cmp_ne_u64_e32 vcc, 0, v[32:33]
                                        ; implicit-def: $vgpr2
	buffer_store_dword v2, off, s[0:3], s33 offset:172 ; 4-byte Folded Spill
	s_nop 0
	buffer_store_dword v3, off, s[0:3], s33 offset:176 ; 4-byte Folded Spill
	s_and_saveexec_b64 s[62:63], vcc
	s_xor_b64 vcc, exec, s[62:63]
	s_cbranch_execz .LBB6_11231
; %bb.11230:                            ;   in Loop: Header=BB6_10588 Depth=4
	v_or_b32_sdwa v1, v1, s44 dst_sel:DWORD dst_unused:UNUSED_PAD src0_sel:BYTE_3 src1_sel:DWORD
	buffer_store_dword v1, off, s[0:3], s33 offset:172 ; 4-byte Folded Spill
	s_nop 0
	buffer_store_dword v2, off, s[0:3], s33 offset:176 ; 4-byte Folded Spill
                                        ; implicit-def: $vgpr1
.LBB6_11231:                            ;   in Loop: Header=BB6_10588 Depth=4
	s_andn2_saveexec_b64 s[34:35], vcc
	s_cbranch_execz .LBB6_11233
; %bb.11232:                            ;   in Loop: Header=BB6_10588 Depth=4
	v_cmp_lt_i32_e32 vcc, -1, v1
	v_mov_b32_e32 v1, 0x7c
	v_cndmask_b32_e32 v1, -4, v1, vcc
	buffer_store_dword v1, off, s[0:3], s33 offset:172 ; 4-byte Folded Spill
	s_nop 0
	buffer_store_dword v2, off, s[0:3], s33 offset:176 ; 4-byte Folded Spill
.LBB6_11233:                            ;   in Loop: Header=BB6_10588 Depth=4
	s_or_b64 exec, exec, s[34:35]
.LBB6_11234:                            ;   in Loop: Header=BB6_10588 Depth=4
	s_or_b64 exec, exec, s[28:29]
	flat_load_sbyte v1, v[8:9] offset:1280 glc slc
	v_mov_b32_e32 v2, 0
	s_waitcnt vmcnt(0) lgkmcnt(0)
	v_cmp_ne_u16_e32 vcc, 0, v1
	s_and_saveexec_b64 s[28:29], vcc
	s_cbranch_execz .LBB6_11242
; %bb.11235:                            ;   in Loop: Header=BB6_10588 Depth=4
	v_cmp_ne_u16_e32 vcc, s46, v1
	v_bfrev_b32_e32 v2, 1
	s_and_saveexec_b64 s[34:35], vcc
	s_cbranch_execz .LBB6_11241
; %bb.11236:                            ;   in Loop: Header=BB6_10588 Depth=4
	v_and_b32_e32 v2, 0x7c, v1
	v_and_b32_e32 v3, 3, v1
	v_cmp_ne_u32_e32 vcc, s86, v2
                                        ; implicit-def: $vgpr2
	s_and_saveexec_b64 s[62:63], vcc
	s_xor_b64 s[36:37], exec, s[62:63]
	s_cbranch_execz .LBB6_11238
; %bb.11237:                            ;   in Loop: Header=BB6_10588 Depth=4
	v_and_b32_e32 v5, 0xff, v1
	v_bfe_u32 v7, v5, 2, 5
	v_ffbh_u32_e32 v5, v3
	v_min_u32_e32 v14, 32, v5
	v_mov_b32_e32 v2, v33
	v_subrev_u32_e32 v5, 29, v14
	v_lshlrev_b64 v[5:6], v5, v[1:2]
	v_sub_u32_e32 v2, 30, v14
	v_cmp_eq_u32_e32 vcc, 0, v7
	v_and_b32_e32 v5, 3, v5
	v_cndmask_b32_e32 v2, v7, v2, vcc
	v_and_b32_sdwa v1, sext(v1), s87 dst_sel:DWORD dst_unused:UNUSED_PAD src0_sel:WORD_0 src1_sel:DWORD
	v_cndmask_b32_e32 v3, v3, v5, vcc
	v_lshl_add_u32 v1, v2, 23, v1
	v_lshl_or_b32 v1, v3, 21, v1
	v_add_u32_e32 v2, 0x38000000, v1
                                        ; implicit-def: $vgpr3
                                        ; implicit-def: $vgpr1
.LBB6_11238:                            ;   in Loop: Header=BB6_10588 Depth=4
	s_andn2_saveexec_b64 s[36:37], s[36:37]
; %bb.11239:                            ;   in Loop: Header=BB6_10588 Depth=4
	v_cmp_lt_i16_e32 vcc, -1, v1
	v_mov_b32_e32 v1, 0xff800000
	v_mov_b32_e32 v2, 0x7f800000
	v_cndmask_b32_e32 v1, v1, v2, vcc
	v_cmp_eq_u32_e32 vcc, 0, v3
	v_mov_b32_e32 v2, 0x7f800001
	v_cndmask_b32_e32 v2, v2, v1, vcc
; %bb.11240:                            ;   in Loop: Header=BB6_10588 Depth=4
	s_or_b64 exec, exec, s[36:37]
.LBB6_11241:                            ;   in Loop: Header=BB6_10588 Depth=4
	s_or_b64 exec, exec, s[34:35]
.LBB6_11242:                            ;   in Loop: Header=BB6_10588 Depth=4
	s_or_b64 exec, exec, s[28:29]
	v_mul_f32_e32 v1, v4, v2
	v_and_b32_e32 v2, 0x7f800000, v1
	v_mov_b32_e32 v3, v33
	v_cmp_ne_u64_e32 vcc, s[76:77], v[2:3]
	v_and_b32_e32 v32, 0x7fffff, v1
                                        ; implicit-def: $vgpr2
	buffer_store_dword v2, off, s[0:3], s33 offset:164 ; 4-byte Folded Spill
	s_nop 0
	buffer_store_dword v3, off, s[0:3], s33 offset:168 ; 4-byte Folded Spill
	s_and_saveexec_b64 s[28:29], vcc
	s_xor_b64 s[34:35], exec, s[28:29]
	s_cbranch_execz .LBB6_11260
; %bb.11243:                            ;   in Loop: Header=BB6_10588 Depth=4
	v_and_b32_e32 v2, 0x7fffffff, v1
	v_mov_b32_e32 v3, v33
	v_cmp_gt_u64_e32 vcc, s[78:79], v[2:3]
	v_and_b32_sdwa v5, v1, s97 dst_sel:DWORD dst_unused:UNUSED_PAD src0_sel:BYTE_3 src1_sel:DWORD
                                        ; implicit-def: $vgpr2
	buffer_store_dword v2, off, s[0:3], s33 offset:164 ; 4-byte Folded Spill
	s_nop 0
	buffer_store_dword v3, off, s[0:3], s33 offset:168 ; 4-byte Folded Spill
	s_and_saveexec_b64 s[28:29], vcc
	s_xor_b64 s[36:37], exec, s[28:29]
	s_cbranch_execz .LBB6_11257
; %bb.11244:                            ;   in Loop: Header=BB6_10588 Depth=4
	v_cmp_ne_u32_e32 vcc, 0, v1
	v_mov_b32_e32 v2, 0
	buffer_store_dword v2, off, s[0:3], s33 offset:164 ; 4-byte Folded Spill
	s_nop 0
	buffer_store_dword v3, off, s[0:3], s33 offset:168 ; 4-byte Folded Spill
	s_and_saveexec_b64 s[38:39], vcc
	s_cbranch_execz .LBB6_11256
; %bb.11245:                            ;   in Loop: Header=BB6_10588 Depth=4
	v_bfe_u32 v6, v1, 23, 8
	v_cmp_gt_u32_e64 s[28:29], s47, v6
	v_sub_u32_e32 v1, 0x71, v6
	v_cmp_eq_u32_e32 vcc, 0, v6
	v_cndmask_b32_e64 v1, 0, v1, s[28:29]
	v_mov_b32_e32 v3, 0x70
	v_cndmask_b32_e32 v7, v1, v3, vcc
	v_add_u32_e32 v3, 21, v7
	v_or_b32_e32 v2, 0x800000, v32
	v_lshlrev_b64 v[14:15], v3, -1
	v_cndmask_b32_e32 v1, v2, v32, vcc
	v_mov_b32_e32 v2, v33
	v_add_u32_e32 v3, 20, v7
	v_bfi_b32 v14, v14, 0, v1
	v_lshlrev_b64 v[17:18], v3, 1
	v_lshrrev_b64 v[1:2], v7, v[1:2]
	v_bfi_b32 v15, v15, 0, 0
	v_cmp_eq_u64_e64 s[28:29], v[14:15], v[17:18]
	v_mov_b32_e32 v3, v2
	v_mov_b32_e32 v2, v1
	s_and_saveexec_b64 s[48:49], s[28:29]
; %bb.11246:                            ;   in Loop: Header=BB6_10588 Depth=4
	v_bfe_u32 v2, v1, 21, 1
	v_add_co_u32_e64 v2, s[28:29], v1, v2
	v_add_co_u32_e64 v2, s[28:29], -1, v2
; %bb.11247:                            ;   in Loop: Header=BB6_10588 Depth=4
	s_or_b64 exec, exec, s[48:49]
	v_add_u32_e32 v3, 0xffffff81, v6
	v_mov_b32_e32 v6, 0xffffff82
	v_cndmask_b32_e32 v3, v3, v6, vcc
	v_lshrrev_b32_e32 v6, 23, v1
	v_add3_u32 v7, v7, v3, v6
	v_add_u32_e32 v6, 14, v7
	v_and_b32_e32 v2, 0x1fffff, v2
	v_add_u32_e32 v32, v2, v1
	v_cmp_ne_u32_e32 vcc, 0, v6
                                        ; implicit-def: $vgpr1_vgpr2
                                        ; implicit-def: $vgpr3
	s_and_saveexec_b64 s[28:29], vcc
	s_xor_b64 s[28:29], exec, s[28:29]
; %bb.11248:                            ;   in Loop: Header=BB6_10588 Depth=4
	v_cmp_lt_u64_e32 vcc, s[88:89], v[32:33]
	v_add_u32_e32 v1, 15, v7
	v_cndmask_b32_e32 v3, v6, v1, vcc
	v_cndmask_b32_e64 v1, 0, 1, vcc
	v_lshrrev_b64 v[1:2], v1, v[32:33]
; %bb.11249:                            ;   in Loop: Header=BB6_10588 Depth=4
	s_andn2_saveexec_b64 s[28:29], s[28:29]
; %bb.11250:                            ;   in Loop: Header=BB6_10588 Depth=4
	v_mov_b32_e32 v1, v32
	v_mov_b32_e32 v2, v33
	v_bfe_u32 v3, v32, 23, 1
; %bb.11251:                            ;   in Loop: Header=BB6_10588 Depth=4
	s_or_b64 exec, exec, s[28:29]
	v_lshrrev_b64 v[1:2], 21, v[1:2]
	v_cmp_gt_i32_e32 vcc, 32, v3
	v_cndmask_b32_e32 v2, 0, v2, vcc
	v_cndmask_b32_e32 v1, 3, v1, vcc
	v_cmp_ne_u64_e32 vcc, 0, v[1:2]
	v_cmp_ne_u32_e64 s[28:29], 0, v3
	s_or_b64 s[28:29], s[28:29], vcc
                                        ; implicit-def: $vgpr2
	buffer_store_dword v2, off, s[0:3], s33 offset:164 ; 4-byte Folded Spill
	s_nop 0
	buffer_store_dword v3, off, s[0:3], s33 offset:168 ; 4-byte Folded Spill
	s_and_saveexec_b64 s[62:63], s[28:29]
	s_xor_b64 s[28:29], exec, s[62:63]
	s_cbranch_execz .LBB6_11253
; %bb.11252:                            ;   in Loop: Header=BB6_10588 Depth=4
	v_min_i32_e32 v2, 31, v3
	v_lshl_or_b32 v2, v2, 2, v5
	v_and_or_b32 v1, v1, 3, v2
	buffer_store_dword v1, off, s[0:3], s33 offset:164 ; 4-byte Folded Spill
	s_nop 0
	buffer_store_dword v2, off, s[0:3], s33 offset:168 ; 4-byte Folded Spill
                                        ; implicit-def: $vgpr5
.LBB6_11253:                            ;   in Loop: Header=BB6_10588 Depth=4
	s_andn2_saveexec_b64 s[28:29], s[28:29]
	s_cbranch_execz .LBB6_11255
; %bb.11254:                            ;   in Loop: Header=BB6_10588 Depth=4
	v_mov_b32_e32 v1, v5
	buffer_store_dword v1, off, s[0:3], s33 offset:164 ; 4-byte Folded Spill
	s_nop 0
	buffer_store_dword v2, off, s[0:3], s33 offset:168 ; 4-byte Folded Spill
.LBB6_11255:                            ;   in Loop: Header=BB6_10588 Depth=4
	s_or_b64 exec, exec, s[28:29]
.LBB6_11256:                            ;   in Loop: Header=BB6_10588 Depth=4
	s_or_b64 exec, exec, s[38:39]
                                        ; implicit-def: $vgpr5
.LBB6_11257:                            ;   in Loop: Header=BB6_10588 Depth=4
	s_andn2_saveexec_b64 s[28:29], s[36:37]
	s_cbranch_execz .LBB6_11259
; %bb.11258:                            ;   in Loop: Header=BB6_10588 Depth=4
	v_or_b32_e32 v1, 0x7b, v5
	buffer_store_dword v1, off, s[0:3], s33 offset:164 ; 4-byte Folded Spill
	s_nop 0
	buffer_store_dword v2, off, s[0:3], s33 offset:168 ; 4-byte Folded Spill
.LBB6_11259:                            ;   in Loop: Header=BB6_10588 Depth=4
	s_or_b64 exec, exec, s[28:29]
                                        ; implicit-def: $vgpr1
.LBB6_11260:                            ;   in Loop: Header=BB6_10588 Depth=4
	s_andn2_saveexec_b64 s[28:29], s[34:35]
	s_cbranch_execz .LBB6_11266
; %bb.11261:                            ;   in Loop: Header=BB6_10588 Depth=4
	v_cmp_ne_u64_e32 vcc, 0, v[32:33]
                                        ; implicit-def: $vgpr2
	buffer_store_dword v2, off, s[0:3], s33 offset:164 ; 4-byte Folded Spill
	s_nop 0
	buffer_store_dword v3, off, s[0:3], s33 offset:168 ; 4-byte Folded Spill
	s_and_saveexec_b64 s[62:63], vcc
	s_xor_b64 vcc, exec, s[62:63]
	s_cbranch_execz .LBB6_11263
; %bb.11262:                            ;   in Loop: Header=BB6_10588 Depth=4
	v_or_b32_sdwa v1, v1, s44 dst_sel:DWORD dst_unused:UNUSED_PAD src0_sel:BYTE_3 src1_sel:DWORD
	buffer_store_dword v1, off, s[0:3], s33 offset:164 ; 4-byte Folded Spill
	s_nop 0
	buffer_store_dword v2, off, s[0:3], s33 offset:168 ; 4-byte Folded Spill
                                        ; implicit-def: $vgpr1
.LBB6_11263:                            ;   in Loop: Header=BB6_10588 Depth=4
	s_andn2_saveexec_b64 s[34:35], vcc
	s_cbranch_execz .LBB6_11265
; %bb.11264:                            ;   in Loop: Header=BB6_10588 Depth=4
	v_cmp_lt_i32_e32 vcc, -1, v1
	v_mov_b32_e32 v1, 0x7c
	v_cndmask_b32_e32 v1, -4, v1, vcc
	buffer_store_dword v1, off, s[0:3], s33 offset:164 ; 4-byte Folded Spill
	s_nop 0
	buffer_store_dword v2, off, s[0:3], s33 offset:168 ; 4-byte Folded Spill
.LBB6_11265:                            ;   in Loop: Header=BB6_10588 Depth=4
	s_or_b64 exec, exec, s[34:35]
.LBB6_11266:                            ;   in Loop: Header=BB6_10588 Depth=4
	s_or_b64 exec, exec, s[28:29]
	flat_load_sbyte v1, v[8:9] offset:1344 glc slc
	v_mov_b32_e32 v2, 0
	s_waitcnt vmcnt(0) lgkmcnt(0)
	v_cmp_ne_u16_e32 vcc, 0, v1
	s_and_saveexec_b64 s[28:29], vcc
	s_cbranch_execz .LBB6_11274
; %bb.11267:                            ;   in Loop: Header=BB6_10588 Depth=4
	v_cmp_ne_u16_e32 vcc, s46, v1
	v_bfrev_b32_e32 v2, 1
	s_and_saveexec_b64 s[34:35], vcc
	s_cbranch_execz .LBB6_11273
; %bb.11268:                            ;   in Loop: Header=BB6_10588 Depth=4
	v_and_b32_e32 v2, 0x7c, v1
	v_and_b32_e32 v3, 3, v1
	v_cmp_ne_u32_e32 vcc, s86, v2
                                        ; implicit-def: $vgpr2
	s_and_saveexec_b64 s[62:63], vcc
	s_xor_b64 s[36:37], exec, s[62:63]
	s_cbranch_execz .LBB6_11270
; %bb.11269:                            ;   in Loop: Header=BB6_10588 Depth=4
	v_and_b32_e32 v5, 0xff, v1
	v_bfe_u32 v7, v5, 2, 5
	v_ffbh_u32_e32 v5, v3
	v_min_u32_e32 v14, 32, v5
	v_mov_b32_e32 v2, v33
	v_subrev_u32_e32 v5, 29, v14
	v_lshlrev_b64 v[5:6], v5, v[1:2]
	v_sub_u32_e32 v2, 30, v14
	v_cmp_eq_u32_e32 vcc, 0, v7
	v_and_b32_e32 v5, 3, v5
	v_cndmask_b32_e32 v2, v7, v2, vcc
	v_and_b32_sdwa v1, sext(v1), s87 dst_sel:DWORD dst_unused:UNUSED_PAD src0_sel:WORD_0 src1_sel:DWORD
	v_cndmask_b32_e32 v3, v3, v5, vcc
	v_lshl_add_u32 v1, v2, 23, v1
	v_lshl_or_b32 v1, v3, 21, v1
	v_add_u32_e32 v2, 0x38000000, v1
                                        ; implicit-def: $vgpr3
                                        ; implicit-def: $vgpr1
.LBB6_11270:                            ;   in Loop: Header=BB6_10588 Depth=4
	s_andn2_saveexec_b64 s[36:37], s[36:37]
; %bb.11271:                            ;   in Loop: Header=BB6_10588 Depth=4
	v_cmp_lt_i16_e32 vcc, -1, v1
	v_mov_b32_e32 v1, 0xff800000
	v_mov_b32_e32 v2, 0x7f800000
	v_cndmask_b32_e32 v1, v1, v2, vcc
	v_cmp_eq_u32_e32 vcc, 0, v3
	v_mov_b32_e32 v2, 0x7f800001
	v_cndmask_b32_e32 v2, v2, v1, vcc
; %bb.11272:                            ;   in Loop: Header=BB6_10588 Depth=4
	s_or_b64 exec, exec, s[36:37]
.LBB6_11273:                            ;   in Loop: Header=BB6_10588 Depth=4
	s_or_b64 exec, exec, s[34:35]
.LBB6_11274:                            ;   in Loop: Header=BB6_10588 Depth=4
	s_or_b64 exec, exec, s[28:29]
	v_mul_f32_e32 v1, v4, v2
	v_and_b32_e32 v2, 0x7f800000, v1
	v_mov_b32_e32 v3, v33
	v_cmp_ne_u64_e32 vcc, s[76:77], v[2:3]
	v_and_b32_e32 v32, 0x7fffff, v1
                                        ; implicit-def: $vgpr2
	buffer_store_dword v2, off, s[0:3], s33 offset:156 ; 4-byte Folded Spill
	s_nop 0
	buffer_store_dword v3, off, s[0:3], s33 offset:160 ; 4-byte Folded Spill
	s_and_saveexec_b64 s[28:29], vcc
	s_xor_b64 s[34:35], exec, s[28:29]
	s_cbranch_execz .LBB6_11292
; %bb.11275:                            ;   in Loop: Header=BB6_10588 Depth=4
	v_and_b32_e32 v2, 0x7fffffff, v1
	v_mov_b32_e32 v3, v33
	v_cmp_gt_u64_e32 vcc, s[78:79], v[2:3]
	v_and_b32_sdwa v5, v1, s97 dst_sel:DWORD dst_unused:UNUSED_PAD src0_sel:BYTE_3 src1_sel:DWORD
                                        ; implicit-def: $vgpr2
	buffer_store_dword v2, off, s[0:3], s33 offset:156 ; 4-byte Folded Spill
	s_nop 0
	buffer_store_dword v3, off, s[0:3], s33 offset:160 ; 4-byte Folded Spill
	s_and_saveexec_b64 s[28:29], vcc
	s_xor_b64 s[36:37], exec, s[28:29]
	s_cbranch_execz .LBB6_11289
; %bb.11276:                            ;   in Loop: Header=BB6_10588 Depth=4
	v_cmp_ne_u32_e32 vcc, 0, v1
	v_mov_b32_e32 v2, 0
	buffer_store_dword v2, off, s[0:3], s33 offset:156 ; 4-byte Folded Spill
	s_nop 0
	buffer_store_dword v3, off, s[0:3], s33 offset:160 ; 4-byte Folded Spill
	s_and_saveexec_b64 s[38:39], vcc
	s_cbranch_execz .LBB6_11288
; %bb.11277:                            ;   in Loop: Header=BB6_10588 Depth=4
	v_bfe_u32 v6, v1, 23, 8
	v_cmp_gt_u32_e64 s[28:29], s47, v6
	v_sub_u32_e32 v1, 0x71, v6
	v_cmp_eq_u32_e32 vcc, 0, v6
	v_cndmask_b32_e64 v1, 0, v1, s[28:29]
	v_mov_b32_e32 v3, 0x70
	v_cndmask_b32_e32 v7, v1, v3, vcc
	v_add_u32_e32 v3, 21, v7
	v_or_b32_e32 v2, 0x800000, v32
	v_lshlrev_b64 v[14:15], v3, -1
	v_cndmask_b32_e32 v1, v2, v32, vcc
	v_mov_b32_e32 v2, v33
	v_add_u32_e32 v3, 20, v7
	v_bfi_b32 v14, v14, 0, v1
	v_lshlrev_b64 v[17:18], v3, 1
	v_lshrrev_b64 v[1:2], v7, v[1:2]
	v_bfi_b32 v15, v15, 0, 0
	v_cmp_eq_u64_e64 s[28:29], v[14:15], v[17:18]
	v_mov_b32_e32 v3, v2
	v_mov_b32_e32 v2, v1
	s_and_saveexec_b64 s[48:49], s[28:29]
; %bb.11278:                            ;   in Loop: Header=BB6_10588 Depth=4
	v_bfe_u32 v2, v1, 21, 1
	v_add_co_u32_e64 v2, s[28:29], v1, v2
	v_add_co_u32_e64 v2, s[28:29], -1, v2
; %bb.11279:                            ;   in Loop: Header=BB6_10588 Depth=4
	s_or_b64 exec, exec, s[48:49]
	v_add_u32_e32 v3, 0xffffff81, v6
	v_mov_b32_e32 v6, 0xffffff82
	v_cndmask_b32_e32 v3, v3, v6, vcc
	v_lshrrev_b32_e32 v6, 23, v1
	v_add3_u32 v7, v7, v3, v6
	v_add_u32_e32 v6, 14, v7
	v_and_b32_e32 v2, 0x1fffff, v2
	v_add_u32_e32 v32, v2, v1
	v_cmp_ne_u32_e32 vcc, 0, v6
                                        ; implicit-def: $vgpr1_vgpr2
                                        ; implicit-def: $vgpr3
	s_and_saveexec_b64 s[28:29], vcc
	s_xor_b64 s[28:29], exec, s[28:29]
; %bb.11280:                            ;   in Loop: Header=BB6_10588 Depth=4
	v_cmp_lt_u64_e32 vcc, s[88:89], v[32:33]
	v_add_u32_e32 v1, 15, v7
	v_cndmask_b32_e32 v3, v6, v1, vcc
	v_cndmask_b32_e64 v1, 0, 1, vcc
	v_lshrrev_b64 v[1:2], v1, v[32:33]
; %bb.11281:                            ;   in Loop: Header=BB6_10588 Depth=4
	s_andn2_saveexec_b64 s[28:29], s[28:29]
; %bb.11282:                            ;   in Loop: Header=BB6_10588 Depth=4
	v_mov_b32_e32 v1, v32
	v_mov_b32_e32 v2, v33
	v_bfe_u32 v3, v32, 23, 1
; %bb.11283:                            ;   in Loop: Header=BB6_10588 Depth=4
	s_or_b64 exec, exec, s[28:29]
	v_lshrrev_b64 v[1:2], 21, v[1:2]
	v_cmp_gt_i32_e32 vcc, 32, v3
	v_cndmask_b32_e32 v2, 0, v2, vcc
	v_cndmask_b32_e32 v1, 3, v1, vcc
	v_cmp_ne_u64_e32 vcc, 0, v[1:2]
	v_cmp_ne_u32_e64 s[28:29], 0, v3
	s_or_b64 s[28:29], s[28:29], vcc
                                        ; implicit-def: $vgpr2
	buffer_store_dword v2, off, s[0:3], s33 offset:156 ; 4-byte Folded Spill
	s_nop 0
	buffer_store_dword v3, off, s[0:3], s33 offset:160 ; 4-byte Folded Spill
	s_and_saveexec_b64 s[62:63], s[28:29]
	s_xor_b64 s[28:29], exec, s[62:63]
	s_cbranch_execz .LBB6_11285
; %bb.11284:                            ;   in Loop: Header=BB6_10588 Depth=4
	v_min_i32_e32 v2, 31, v3
	v_lshl_or_b32 v2, v2, 2, v5
	v_and_or_b32 v1, v1, 3, v2
	buffer_store_dword v1, off, s[0:3], s33 offset:156 ; 4-byte Folded Spill
	s_nop 0
	buffer_store_dword v2, off, s[0:3], s33 offset:160 ; 4-byte Folded Spill
                                        ; implicit-def: $vgpr5
.LBB6_11285:                            ;   in Loop: Header=BB6_10588 Depth=4
	s_andn2_saveexec_b64 s[28:29], s[28:29]
	s_cbranch_execz .LBB6_11287
; %bb.11286:                            ;   in Loop: Header=BB6_10588 Depth=4
	v_mov_b32_e32 v1, v5
	buffer_store_dword v1, off, s[0:3], s33 offset:156 ; 4-byte Folded Spill
	s_nop 0
	buffer_store_dword v2, off, s[0:3], s33 offset:160 ; 4-byte Folded Spill
.LBB6_11287:                            ;   in Loop: Header=BB6_10588 Depth=4
	s_or_b64 exec, exec, s[28:29]
.LBB6_11288:                            ;   in Loop: Header=BB6_10588 Depth=4
	s_or_b64 exec, exec, s[38:39]
                                        ; implicit-def: $vgpr5
.LBB6_11289:                            ;   in Loop: Header=BB6_10588 Depth=4
	s_andn2_saveexec_b64 s[28:29], s[36:37]
	s_cbranch_execz .LBB6_11291
; %bb.11290:                            ;   in Loop: Header=BB6_10588 Depth=4
	v_or_b32_e32 v1, 0x7b, v5
	buffer_store_dword v1, off, s[0:3], s33 offset:156 ; 4-byte Folded Spill
	s_nop 0
	buffer_store_dword v2, off, s[0:3], s33 offset:160 ; 4-byte Folded Spill
.LBB6_11291:                            ;   in Loop: Header=BB6_10588 Depth=4
	s_or_b64 exec, exec, s[28:29]
                                        ; implicit-def: $vgpr1
.LBB6_11292:                            ;   in Loop: Header=BB6_10588 Depth=4
	s_andn2_saveexec_b64 s[28:29], s[34:35]
	s_cbranch_execz .LBB6_11298
; %bb.11293:                            ;   in Loop: Header=BB6_10588 Depth=4
	v_cmp_ne_u64_e32 vcc, 0, v[32:33]
                                        ; implicit-def: $vgpr2
	buffer_store_dword v2, off, s[0:3], s33 offset:156 ; 4-byte Folded Spill
	s_nop 0
	buffer_store_dword v3, off, s[0:3], s33 offset:160 ; 4-byte Folded Spill
	s_and_saveexec_b64 s[62:63], vcc
	s_xor_b64 vcc, exec, s[62:63]
	s_cbranch_execz .LBB6_11295
; %bb.11294:                            ;   in Loop: Header=BB6_10588 Depth=4
	v_or_b32_sdwa v1, v1, s44 dst_sel:DWORD dst_unused:UNUSED_PAD src0_sel:BYTE_3 src1_sel:DWORD
	buffer_store_dword v1, off, s[0:3], s33 offset:156 ; 4-byte Folded Spill
	s_nop 0
	buffer_store_dword v2, off, s[0:3], s33 offset:160 ; 4-byte Folded Spill
                                        ; implicit-def: $vgpr1
.LBB6_11295:                            ;   in Loop: Header=BB6_10588 Depth=4
	s_andn2_saveexec_b64 s[34:35], vcc
	s_cbranch_execz .LBB6_11297
; %bb.11296:                            ;   in Loop: Header=BB6_10588 Depth=4
	v_cmp_lt_i32_e32 vcc, -1, v1
	v_mov_b32_e32 v1, 0x7c
	v_cndmask_b32_e32 v1, -4, v1, vcc
	buffer_store_dword v1, off, s[0:3], s33 offset:156 ; 4-byte Folded Spill
	s_nop 0
	buffer_store_dword v2, off, s[0:3], s33 offset:160 ; 4-byte Folded Spill
.LBB6_11297:                            ;   in Loop: Header=BB6_10588 Depth=4
	s_or_b64 exec, exec, s[34:35]
.LBB6_11298:                            ;   in Loop: Header=BB6_10588 Depth=4
	s_or_b64 exec, exec, s[28:29]
	flat_load_sbyte v1, v[8:9] offset:1408 glc slc
	v_mov_b32_e32 v2, 0
	s_waitcnt vmcnt(0) lgkmcnt(0)
	v_cmp_ne_u16_e32 vcc, 0, v1
	s_and_saveexec_b64 s[28:29], vcc
	s_cbranch_execz .LBB6_11306
; %bb.11299:                            ;   in Loop: Header=BB6_10588 Depth=4
	v_cmp_ne_u16_e32 vcc, s46, v1
	v_bfrev_b32_e32 v2, 1
	s_and_saveexec_b64 s[34:35], vcc
	s_cbranch_execz .LBB6_11305
; %bb.11300:                            ;   in Loop: Header=BB6_10588 Depth=4
	v_and_b32_e32 v2, 0x7c, v1
	v_and_b32_e32 v3, 3, v1
	v_cmp_ne_u32_e32 vcc, s86, v2
                                        ; implicit-def: $vgpr2
	s_and_saveexec_b64 s[62:63], vcc
	s_xor_b64 s[36:37], exec, s[62:63]
	s_cbranch_execz .LBB6_11302
; %bb.11301:                            ;   in Loop: Header=BB6_10588 Depth=4
	v_and_b32_e32 v5, 0xff, v1
	v_bfe_u32 v7, v5, 2, 5
	v_ffbh_u32_e32 v5, v3
	v_min_u32_e32 v14, 32, v5
	v_mov_b32_e32 v2, v33
	v_subrev_u32_e32 v5, 29, v14
	v_lshlrev_b64 v[5:6], v5, v[1:2]
	v_sub_u32_e32 v2, 30, v14
	v_cmp_eq_u32_e32 vcc, 0, v7
	v_and_b32_e32 v5, 3, v5
	v_cndmask_b32_e32 v2, v7, v2, vcc
	v_and_b32_sdwa v1, sext(v1), s87 dst_sel:DWORD dst_unused:UNUSED_PAD src0_sel:WORD_0 src1_sel:DWORD
	v_cndmask_b32_e32 v3, v3, v5, vcc
	v_lshl_add_u32 v1, v2, 23, v1
	v_lshl_or_b32 v1, v3, 21, v1
	v_add_u32_e32 v2, 0x38000000, v1
                                        ; implicit-def: $vgpr3
                                        ; implicit-def: $vgpr1
.LBB6_11302:                            ;   in Loop: Header=BB6_10588 Depth=4
	s_andn2_saveexec_b64 s[36:37], s[36:37]
; %bb.11303:                            ;   in Loop: Header=BB6_10588 Depth=4
	v_cmp_lt_i16_e32 vcc, -1, v1
	v_mov_b32_e32 v1, 0xff800000
	v_mov_b32_e32 v2, 0x7f800000
	v_cndmask_b32_e32 v1, v1, v2, vcc
	v_cmp_eq_u32_e32 vcc, 0, v3
	v_mov_b32_e32 v2, 0x7f800001
	v_cndmask_b32_e32 v2, v2, v1, vcc
; %bb.11304:                            ;   in Loop: Header=BB6_10588 Depth=4
	s_or_b64 exec, exec, s[36:37]
.LBB6_11305:                            ;   in Loop: Header=BB6_10588 Depth=4
	s_or_b64 exec, exec, s[34:35]
.LBB6_11306:                            ;   in Loop: Header=BB6_10588 Depth=4
	s_or_b64 exec, exec, s[28:29]
	v_mul_f32_e32 v1, v4, v2
	v_and_b32_e32 v2, 0x7f800000, v1
	v_mov_b32_e32 v3, v33
	v_cmp_ne_u64_e32 vcc, s[76:77], v[2:3]
	v_and_b32_e32 v32, 0x7fffff, v1
                                        ; implicit-def: $vgpr2
	buffer_store_dword v2, off, s[0:3], s33 offset:148 ; 4-byte Folded Spill
	s_nop 0
	buffer_store_dword v3, off, s[0:3], s33 offset:152 ; 4-byte Folded Spill
	s_and_saveexec_b64 s[28:29], vcc
	s_xor_b64 s[34:35], exec, s[28:29]
	s_cbranch_execz .LBB6_11324
; %bb.11307:                            ;   in Loop: Header=BB6_10588 Depth=4
	v_and_b32_e32 v2, 0x7fffffff, v1
	v_mov_b32_e32 v3, v33
	v_cmp_gt_u64_e32 vcc, s[78:79], v[2:3]
	v_and_b32_sdwa v5, v1, s97 dst_sel:DWORD dst_unused:UNUSED_PAD src0_sel:BYTE_3 src1_sel:DWORD
                                        ; implicit-def: $vgpr2
	buffer_store_dword v2, off, s[0:3], s33 offset:148 ; 4-byte Folded Spill
	s_nop 0
	buffer_store_dword v3, off, s[0:3], s33 offset:152 ; 4-byte Folded Spill
	s_and_saveexec_b64 s[28:29], vcc
	s_xor_b64 s[36:37], exec, s[28:29]
	s_cbranch_execz .LBB6_11321
; %bb.11308:                            ;   in Loop: Header=BB6_10588 Depth=4
	v_cmp_ne_u32_e32 vcc, 0, v1
	v_mov_b32_e32 v2, 0
	buffer_store_dword v2, off, s[0:3], s33 offset:148 ; 4-byte Folded Spill
	s_nop 0
	buffer_store_dword v3, off, s[0:3], s33 offset:152 ; 4-byte Folded Spill
	s_and_saveexec_b64 s[38:39], vcc
	s_cbranch_execz .LBB6_11320
; %bb.11309:                            ;   in Loop: Header=BB6_10588 Depth=4
	v_bfe_u32 v6, v1, 23, 8
	v_cmp_gt_u32_e64 s[28:29], s47, v6
	v_sub_u32_e32 v1, 0x71, v6
	v_cmp_eq_u32_e32 vcc, 0, v6
	v_cndmask_b32_e64 v1, 0, v1, s[28:29]
	v_mov_b32_e32 v3, 0x70
	v_cndmask_b32_e32 v7, v1, v3, vcc
	v_add_u32_e32 v3, 21, v7
	v_or_b32_e32 v2, 0x800000, v32
	v_lshlrev_b64 v[14:15], v3, -1
	v_cndmask_b32_e32 v1, v2, v32, vcc
	v_mov_b32_e32 v2, v33
	v_add_u32_e32 v3, 20, v7
	v_bfi_b32 v14, v14, 0, v1
	v_lshlrev_b64 v[17:18], v3, 1
	v_lshrrev_b64 v[1:2], v7, v[1:2]
	v_bfi_b32 v15, v15, 0, 0
	v_cmp_eq_u64_e64 s[28:29], v[14:15], v[17:18]
	v_mov_b32_e32 v3, v2
	v_mov_b32_e32 v2, v1
	s_and_saveexec_b64 s[48:49], s[28:29]
; %bb.11310:                            ;   in Loop: Header=BB6_10588 Depth=4
	v_bfe_u32 v2, v1, 21, 1
	v_add_co_u32_e64 v2, s[28:29], v1, v2
	v_add_co_u32_e64 v2, s[28:29], -1, v2
; %bb.11311:                            ;   in Loop: Header=BB6_10588 Depth=4
	s_or_b64 exec, exec, s[48:49]
	v_add_u32_e32 v3, 0xffffff81, v6
	v_mov_b32_e32 v6, 0xffffff82
	v_cndmask_b32_e32 v3, v3, v6, vcc
	v_lshrrev_b32_e32 v6, 23, v1
	v_add3_u32 v7, v7, v3, v6
	v_add_u32_e32 v6, 14, v7
	v_and_b32_e32 v2, 0x1fffff, v2
	v_add_u32_e32 v32, v2, v1
	v_cmp_ne_u32_e32 vcc, 0, v6
                                        ; implicit-def: $vgpr1_vgpr2
                                        ; implicit-def: $vgpr3
	s_and_saveexec_b64 s[28:29], vcc
	s_xor_b64 s[28:29], exec, s[28:29]
; %bb.11312:                            ;   in Loop: Header=BB6_10588 Depth=4
	v_cmp_lt_u64_e32 vcc, s[88:89], v[32:33]
	v_add_u32_e32 v1, 15, v7
	v_cndmask_b32_e32 v3, v6, v1, vcc
	v_cndmask_b32_e64 v1, 0, 1, vcc
	v_lshrrev_b64 v[1:2], v1, v[32:33]
; %bb.11313:                            ;   in Loop: Header=BB6_10588 Depth=4
	s_andn2_saveexec_b64 s[28:29], s[28:29]
; %bb.11314:                            ;   in Loop: Header=BB6_10588 Depth=4
	v_mov_b32_e32 v1, v32
	v_mov_b32_e32 v2, v33
	v_bfe_u32 v3, v32, 23, 1
; %bb.11315:                            ;   in Loop: Header=BB6_10588 Depth=4
	s_or_b64 exec, exec, s[28:29]
	v_lshrrev_b64 v[1:2], 21, v[1:2]
	v_cmp_gt_i32_e32 vcc, 32, v3
	v_cndmask_b32_e32 v2, 0, v2, vcc
	v_cndmask_b32_e32 v1, 3, v1, vcc
	v_cmp_ne_u64_e32 vcc, 0, v[1:2]
	v_cmp_ne_u32_e64 s[28:29], 0, v3
	s_or_b64 s[28:29], s[28:29], vcc
                                        ; implicit-def: $vgpr2
	buffer_store_dword v2, off, s[0:3], s33 offset:148 ; 4-byte Folded Spill
	s_nop 0
	buffer_store_dword v3, off, s[0:3], s33 offset:152 ; 4-byte Folded Spill
	s_and_saveexec_b64 s[62:63], s[28:29]
	s_xor_b64 s[28:29], exec, s[62:63]
	s_cbranch_execz .LBB6_11317
; %bb.11316:                            ;   in Loop: Header=BB6_10588 Depth=4
	v_min_i32_e32 v2, 31, v3
	v_lshl_or_b32 v2, v2, 2, v5
	v_and_or_b32 v1, v1, 3, v2
	buffer_store_dword v1, off, s[0:3], s33 offset:148 ; 4-byte Folded Spill
	s_nop 0
	buffer_store_dword v2, off, s[0:3], s33 offset:152 ; 4-byte Folded Spill
                                        ; implicit-def: $vgpr5
.LBB6_11317:                            ;   in Loop: Header=BB6_10588 Depth=4
	s_andn2_saveexec_b64 s[28:29], s[28:29]
	s_cbranch_execz .LBB6_11319
; %bb.11318:                            ;   in Loop: Header=BB6_10588 Depth=4
	v_mov_b32_e32 v1, v5
	buffer_store_dword v1, off, s[0:3], s33 offset:148 ; 4-byte Folded Spill
	s_nop 0
	buffer_store_dword v2, off, s[0:3], s33 offset:152 ; 4-byte Folded Spill
.LBB6_11319:                            ;   in Loop: Header=BB6_10588 Depth=4
	s_or_b64 exec, exec, s[28:29]
.LBB6_11320:                            ;   in Loop: Header=BB6_10588 Depth=4
	s_or_b64 exec, exec, s[38:39]
                                        ; implicit-def: $vgpr5
.LBB6_11321:                            ;   in Loop: Header=BB6_10588 Depth=4
	s_andn2_saveexec_b64 s[28:29], s[36:37]
	s_cbranch_execz .LBB6_11323
; %bb.11322:                            ;   in Loop: Header=BB6_10588 Depth=4
	v_or_b32_e32 v1, 0x7b, v5
	buffer_store_dword v1, off, s[0:3], s33 offset:148 ; 4-byte Folded Spill
	s_nop 0
	buffer_store_dword v2, off, s[0:3], s33 offset:152 ; 4-byte Folded Spill
.LBB6_11323:                            ;   in Loop: Header=BB6_10588 Depth=4
	s_or_b64 exec, exec, s[28:29]
                                        ; implicit-def: $vgpr1
.LBB6_11324:                            ;   in Loop: Header=BB6_10588 Depth=4
	s_andn2_saveexec_b64 s[28:29], s[34:35]
	s_cbranch_execz .LBB6_11330
; %bb.11325:                            ;   in Loop: Header=BB6_10588 Depth=4
	v_cmp_ne_u64_e32 vcc, 0, v[32:33]
                                        ; implicit-def: $vgpr2
	buffer_store_dword v2, off, s[0:3], s33 offset:148 ; 4-byte Folded Spill
	s_nop 0
	buffer_store_dword v3, off, s[0:3], s33 offset:152 ; 4-byte Folded Spill
	s_and_saveexec_b64 s[62:63], vcc
	s_xor_b64 vcc, exec, s[62:63]
	s_cbranch_execz .LBB6_11327
; %bb.11326:                            ;   in Loop: Header=BB6_10588 Depth=4
	v_or_b32_sdwa v1, v1, s44 dst_sel:DWORD dst_unused:UNUSED_PAD src0_sel:BYTE_3 src1_sel:DWORD
	buffer_store_dword v1, off, s[0:3], s33 offset:148 ; 4-byte Folded Spill
	s_nop 0
	buffer_store_dword v2, off, s[0:3], s33 offset:152 ; 4-byte Folded Spill
                                        ; implicit-def: $vgpr1
.LBB6_11327:                            ;   in Loop: Header=BB6_10588 Depth=4
	s_andn2_saveexec_b64 s[34:35], vcc
	s_cbranch_execz .LBB6_11329
; %bb.11328:                            ;   in Loop: Header=BB6_10588 Depth=4
	v_cmp_lt_i32_e32 vcc, -1, v1
	v_mov_b32_e32 v1, 0x7c
	v_cndmask_b32_e32 v1, -4, v1, vcc
	buffer_store_dword v1, off, s[0:3], s33 offset:148 ; 4-byte Folded Spill
	s_nop 0
	buffer_store_dword v2, off, s[0:3], s33 offset:152 ; 4-byte Folded Spill
.LBB6_11329:                            ;   in Loop: Header=BB6_10588 Depth=4
	s_or_b64 exec, exec, s[34:35]
.LBB6_11330:                            ;   in Loop: Header=BB6_10588 Depth=4
	s_or_b64 exec, exec, s[28:29]
	flat_load_sbyte v1, v[8:9] offset:1472 glc slc
	v_mov_b32_e32 v2, 0
	s_waitcnt vmcnt(0) lgkmcnt(0)
	v_cmp_ne_u16_e32 vcc, 0, v1
	s_and_saveexec_b64 s[28:29], vcc
	s_cbranch_execz .LBB6_11338
; %bb.11331:                            ;   in Loop: Header=BB6_10588 Depth=4
	v_cmp_ne_u16_e32 vcc, s46, v1
	v_bfrev_b32_e32 v2, 1
	s_and_saveexec_b64 s[34:35], vcc
	s_cbranch_execz .LBB6_11337
; %bb.11332:                            ;   in Loop: Header=BB6_10588 Depth=4
	v_and_b32_e32 v2, 0x7c, v1
	v_and_b32_e32 v3, 3, v1
	v_cmp_ne_u32_e32 vcc, s86, v2
                                        ; implicit-def: $vgpr2
	s_and_saveexec_b64 s[62:63], vcc
	s_xor_b64 s[36:37], exec, s[62:63]
	s_cbranch_execz .LBB6_11334
; %bb.11333:                            ;   in Loop: Header=BB6_10588 Depth=4
	v_and_b32_e32 v5, 0xff, v1
	v_bfe_u32 v7, v5, 2, 5
	v_ffbh_u32_e32 v5, v3
	v_min_u32_e32 v14, 32, v5
	v_mov_b32_e32 v2, v33
	v_subrev_u32_e32 v5, 29, v14
	v_lshlrev_b64 v[5:6], v5, v[1:2]
	v_sub_u32_e32 v2, 30, v14
	v_cmp_eq_u32_e32 vcc, 0, v7
	v_and_b32_e32 v5, 3, v5
	v_cndmask_b32_e32 v2, v7, v2, vcc
	v_and_b32_sdwa v1, sext(v1), s87 dst_sel:DWORD dst_unused:UNUSED_PAD src0_sel:WORD_0 src1_sel:DWORD
	v_cndmask_b32_e32 v3, v3, v5, vcc
	v_lshl_add_u32 v1, v2, 23, v1
	v_lshl_or_b32 v1, v3, 21, v1
	v_add_u32_e32 v2, 0x38000000, v1
                                        ; implicit-def: $vgpr3
                                        ; implicit-def: $vgpr1
.LBB6_11334:                            ;   in Loop: Header=BB6_10588 Depth=4
	s_andn2_saveexec_b64 s[36:37], s[36:37]
; %bb.11335:                            ;   in Loop: Header=BB6_10588 Depth=4
	v_cmp_lt_i16_e32 vcc, -1, v1
	v_mov_b32_e32 v1, 0xff800000
	v_mov_b32_e32 v2, 0x7f800000
	v_cndmask_b32_e32 v1, v1, v2, vcc
	v_cmp_eq_u32_e32 vcc, 0, v3
	v_mov_b32_e32 v2, 0x7f800001
	v_cndmask_b32_e32 v2, v2, v1, vcc
; %bb.11336:                            ;   in Loop: Header=BB6_10588 Depth=4
	s_or_b64 exec, exec, s[36:37]
.LBB6_11337:                            ;   in Loop: Header=BB6_10588 Depth=4
	s_or_b64 exec, exec, s[34:35]
.LBB6_11338:                            ;   in Loop: Header=BB6_10588 Depth=4
	s_or_b64 exec, exec, s[28:29]
	v_mul_f32_e32 v1, v4, v2
	v_and_b32_e32 v2, 0x7f800000, v1
	v_mov_b32_e32 v3, v33
	v_cmp_ne_u64_e32 vcc, s[76:77], v[2:3]
	v_and_b32_e32 v32, 0x7fffff, v1
                                        ; implicit-def: $vgpr2
	buffer_store_dword v2, off, s[0:3], s33 offset:140 ; 4-byte Folded Spill
	s_nop 0
	buffer_store_dword v3, off, s[0:3], s33 offset:144 ; 4-byte Folded Spill
	s_and_saveexec_b64 s[28:29], vcc
	s_xor_b64 s[34:35], exec, s[28:29]
	s_cbranch_execz .LBB6_11356
; %bb.11339:                            ;   in Loop: Header=BB6_10588 Depth=4
	v_and_b32_e32 v2, 0x7fffffff, v1
	v_mov_b32_e32 v3, v33
	v_cmp_gt_u64_e32 vcc, s[78:79], v[2:3]
	v_and_b32_sdwa v5, v1, s97 dst_sel:DWORD dst_unused:UNUSED_PAD src0_sel:BYTE_3 src1_sel:DWORD
                                        ; implicit-def: $vgpr2
	buffer_store_dword v2, off, s[0:3], s33 offset:140 ; 4-byte Folded Spill
	s_nop 0
	buffer_store_dword v3, off, s[0:3], s33 offset:144 ; 4-byte Folded Spill
	s_and_saveexec_b64 s[28:29], vcc
	s_xor_b64 s[36:37], exec, s[28:29]
	s_cbranch_execz .LBB6_11353
; %bb.11340:                            ;   in Loop: Header=BB6_10588 Depth=4
	v_cmp_ne_u32_e32 vcc, 0, v1
	v_mov_b32_e32 v2, 0
	buffer_store_dword v2, off, s[0:3], s33 offset:140 ; 4-byte Folded Spill
	s_nop 0
	buffer_store_dword v3, off, s[0:3], s33 offset:144 ; 4-byte Folded Spill
	s_and_saveexec_b64 s[38:39], vcc
	s_cbranch_execz .LBB6_11352
; %bb.11341:                            ;   in Loop: Header=BB6_10588 Depth=4
	v_bfe_u32 v6, v1, 23, 8
	v_cmp_gt_u32_e64 s[28:29], s47, v6
	v_sub_u32_e32 v1, 0x71, v6
	v_cmp_eq_u32_e32 vcc, 0, v6
	v_cndmask_b32_e64 v1, 0, v1, s[28:29]
	v_mov_b32_e32 v3, 0x70
	v_cndmask_b32_e32 v7, v1, v3, vcc
	v_add_u32_e32 v3, 21, v7
	v_or_b32_e32 v2, 0x800000, v32
	v_lshlrev_b64 v[14:15], v3, -1
	v_cndmask_b32_e32 v1, v2, v32, vcc
	v_mov_b32_e32 v2, v33
	v_add_u32_e32 v3, 20, v7
	v_bfi_b32 v14, v14, 0, v1
	v_lshlrev_b64 v[17:18], v3, 1
	v_lshrrev_b64 v[1:2], v7, v[1:2]
	v_bfi_b32 v15, v15, 0, 0
	v_cmp_eq_u64_e64 s[28:29], v[14:15], v[17:18]
	v_mov_b32_e32 v3, v2
	v_mov_b32_e32 v2, v1
	s_and_saveexec_b64 s[48:49], s[28:29]
; %bb.11342:                            ;   in Loop: Header=BB6_10588 Depth=4
	v_bfe_u32 v2, v1, 21, 1
	v_add_co_u32_e64 v2, s[28:29], v1, v2
	v_add_co_u32_e64 v2, s[28:29], -1, v2
; %bb.11343:                            ;   in Loop: Header=BB6_10588 Depth=4
	s_or_b64 exec, exec, s[48:49]
	v_add_u32_e32 v3, 0xffffff81, v6
	v_mov_b32_e32 v6, 0xffffff82
	v_cndmask_b32_e32 v3, v3, v6, vcc
	v_lshrrev_b32_e32 v6, 23, v1
	v_add3_u32 v7, v7, v3, v6
	v_add_u32_e32 v6, 14, v7
	v_and_b32_e32 v2, 0x1fffff, v2
	v_add_u32_e32 v32, v2, v1
	v_cmp_ne_u32_e32 vcc, 0, v6
                                        ; implicit-def: $vgpr1_vgpr2
                                        ; implicit-def: $vgpr3
	s_and_saveexec_b64 s[28:29], vcc
	s_xor_b64 s[28:29], exec, s[28:29]
; %bb.11344:                            ;   in Loop: Header=BB6_10588 Depth=4
	v_cmp_lt_u64_e32 vcc, s[88:89], v[32:33]
	v_add_u32_e32 v1, 15, v7
	v_cndmask_b32_e32 v3, v6, v1, vcc
	v_cndmask_b32_e64 v1, 0, 1, vcc
	v_lshrrev_b64 v[1:2], v1, v[32:33]
; %bb.11345:                            ;   in Loop: Header=BB6_10588 Depth=4
	s_andn2_saveexec_b64 s[28:29], s[28:29]
; %bb.11346:                            ;   in Loop: Header=BB6_10588 Depth=4
	v_mov_b32_e32 v1, v32
	v_mov_b32_e32 v2, v33
	v_bfe_u32 v3, v32, 23, 1
; %bb.11347:                            ;   in Loop: Header=BB6_10588 Depth=4
	s_or_b64 exec, exec, s[28:29]
	v_lshrrev_b64 v[1:2], 21, v[1:2]
	v_cmp_gt_i32_e32 vcc, 32, v3
	v_cndmask_b32_e32 v2, 0, v2, vcc
	v_cndmask_b32_e32 v1, 3, v1, vcc
	v_cmp_ne_u64_e32 vcc, 0, v[1:2]
	v_cmp_ne_u32_e64 s[28:29], 0, v3
	s_or_b64 s[28:29], s[28:29], vcc
                                        ; implicit-def: $vgpr2
	buffer_store_dword v2, off, s[0:3], s33 offset:140 ; 4-byte Folded Spill
	s_nop 0
	buffer_store_dword v3, off, s[0:3], s33 offset:144 ; 4-byte Folded Spill
	s_and_saveexec_b64 s[62:63], s[28:29]
	s_xor_b64 s[28:29], exec, s[62:63]
	s_cbranch_execz .LBB6_11349
; %bb.11348:                            ;   in Loop: Header=BB6_10588 Depth=4
	v_min_i32_e32 v2, 31, v3
	v_lshl_or_b32 v2, v2, 2, v5
	v_and_or_b32 v1, v1, 3, v2
	buffer_store_dword v1, off, s[0:3], s33 offset:140 ; 4-byte Folded Spill
	s_nop 0
	buffer_store_dword v2, off, s[0:3], s33 offset:144 ; 4-byte Folded Spill
                                        ; implicit-def: $vgpr5
.LBB6_11349:                            ;   in Loop: Header=BB6_10588 Depth=4
	s_andn2_saveexec_b64 s[28:29], s[28:29]
	s_cbranch_execz .LBB6_11351
; %bb.11350:                            ;   in Loop: Header=BB6_10588 Depth=4
	v_mov_b32_e32 v1, v5
	buffer_store_dword v1, off, s[0:3], s33 offset:140 ; 4-byte Folded Spill
	s_nop 0
	buffer_store_dword v2, off, s[0:3], s33 offset:144 ; 4-byte Folded Spill
.LBB6_11351:                            ;   in Loop: Header=BB6_10588 Depth=4
	s_or_b64 exec, exec, s[28:29]
.LBB6_11352:                            ;   in Loop: Header=BB6_10588 Depth=4
	s_or_b64 exec, exec, s[38:39]
                                        ; implicit-def: $vgpr5
.LBB6_11353:                            ;   in Loop: Header=BB6_10588 Depth=4
	s_andn2_saveexec_b64 s[28:29], s[36:37]
	s_cbranch_execz .LBB6_11355
; %bb.11354:                            ;   in Loop: Header=BB6_10588 Depth=4
	v_or_b32_e32 v1, 0x7b, v5
	buffer_store_dword v1, off, s[0:3], s33 offset:140 ; 4-byte Folded Spill
	s_nop 0
	buffer_store_dword v2, off, s[0:3], s33 offset:144 ; 4-byte Folded Spill
.LBB6_11355:                            ;   in Loop: Header=BB6_10588 Depth=4
	s_or_b64 exec, exec, s[28:29]
                                        ; implicit-def: $vgpr1
.LBB6_11356:                            ;   in Loop: Header=BB6_10588 Depth=4
	s_andn2_saveexec_b64 s[28:29], s[34:35]
	s_cbranch_execz .LBB6_11362
; %bb.11357:                            ;   in Loop: Header=BB6_10588 Depth=4
	v_cmp_ne_u64_e32 vcc, 0, v[32:33]
                                        ; implicit-def: $vgpr2
	buffer_store_dword v2, off, s[0:3], s33 offset:140 ; 4-byte Folded Spill
	s_nop 0
	buffer_store_dword v3, off, s[0:3], s33 offset:144 ; 4-byte Folded Spill
	s_and_saveexec_b64 s[62:63], vcc
	s_xor_b64 vcc, exec, s[62:63]
	s_cbranch_execz .LBB6_11359
; %bb.11358:                            ;   in Loop: Header=BB6_10588 Depth=4
	v_or_b32_sdwa v1, v1, s44 dst_sel:DWORD dst_unused:UNUSED_PAD src0_sel:BYTE_3 src1_sel:DWORD
	buffer_store_dword v1, off, s[0:3], s33 offset:140 ; 4-byte Folded Spill
	s_nop 0
	buffer_store_dword v2, off, s[0:3], s33 offset:144 ; 4-byte Folded Spill
                                        ; implicit-def: $vgpr1
.LBB6_11359:                            ;   in Loop: Header=BB6_10588 Depth=4
	s_andn2_saveexec_b64 s[34:35], vcc
	s_cbranch_execz .LBB6_11361
; %bb.11360:                            ;   in Loop: Header=BB6_10588 Depth=4
	v_cmp_lt_i32_e32 vcc, -1, v1
	v_mov_b32_e32 v1, 0x7c
	v_cndmask_b32_e32 v1, -4, v1, vcc
	buffer_store_dword v1, off, s[0:3], s33 offset:140 ; 4-byte Folded Spill
	s_nop 0
	buffer_store_dword v2, off, s[0:3], s33 offset:144 ; 4-byte Folded Spill
.LBB6_11361:                            ;   in Loop: Header=BB6_10588 Depth=4
	s_or_b64 exec, exec, s[34:35]
.LBB6_11362:                            ;   in Loop: Header=BB6_10588 Depth=4
	s_or_b64 exec, exec, s[28:29]
	flat_load_sbyte v1, v[8:9] offset:1536 glc slc
	v_mov_b32_e32 v2, 0
	s_waitcnt vmcnt(0) lgkmcnt(0)
	v_cmp_ne_u16_e32 vcc, 0, v1
	s_and_saveexec_b64 s[28:29], vcc
	s_cbranch_execz .LBB6_11370
; %bb.11363:                            ;   in Loop: Header=BB6_10588 Depth=4
	v_cmp_ne_u16_e32 vcc, s46, v1
	v_bfrev_b32_e32 v2, 1
	s_and_saveexec_b64 s[34:35], vcc
	s_cbranch_execz .LBB6_11369
; %bb.11364:                            ;   in Loop: Header=BB6_10588 Depth=4
	v_and_b32_e32 v2, 0x7c, v1
	v_and_b32_e32 v3, 3, v1
	v_cmp_ne_u32_e32 vcc, s86, v2
                                        ; implicit-def: $vgpr2
	s_and_saveexec_b64 s[62:63], vcc
	s_xor_b64 s[36:37], exec, s[62:63]
	s_cbranch_execz .LBB6_11366
; %bb.11365:                            ;   in Loop: Header=BB6_10588 Depth=4
	v_and_b32_e32 v5, 0xff, v1
	v_bfe_u32 v7, v5, 2, 5
	v_ffbh_u32_e32 v5, v3
	v_min_u32_e32 v14, 32, v5
	v_mov_b32_e32 v2, v33
	v_subrev_u32_e32 v5, 29, v14
	v_lshlrev_b64 v[5:6], v5, v[1:2]
	v_sub_u32_e32 v2, 30, v14
	v_cmp_eq_u32_e32 vcc, 0, v7
	v_and_b32_e32 v5, 3, v5
	v_cndmask_b32_e32 v2, v7, v2, vcc
	v_and_b32_sdwa v1, sext(v1), s87 dst_sel:DWORD dst_unused:UNUSED_PAD src0_sel:WORD_0 src1_sel:DWORD
	v_cndmask_b32_e32 v3, v3, v5, vcc
	v_lshl_add_u32 v1, v2, 23, v1
	v_lshl_or_b32 v1, v3, 21, v1
	v_add_u32_e32 v2, 0x38000000, v1
                                        ; implicit-def: $vgpr3
                                        ; implicit-def: $vgpr1
.LBB6_11366:                            ;   in Loop: Header=BB6_10588 Depth=4
	s_andn2_saveexec_b64 s[36:37], s[36:37]
; %bb.11367:                            ;   in Loop: Header=BB6_10588 Depth=4
	v_cmp_lt_i16_e32 vcc, -1, v1
	v_mov_b32_e32 v1, 0xff800000
	v_mov_b32_e32 v2, 0x7f800000
	v_cndmask_b32_e32 v1, v1, v2, vcc
	v_cmp_eq_u32_e32 vcc, 0, v3
	v_mov_b32_e32 v2, 0x7f800001
	v_cndmask_b32_e32 v2, v2, v1, vcc
; %bb.11368:                            ;   in Loop: Header=BB6_10588 Depth=4
	s_or_b64 exec, exec, s[36:37]
.LBB6_11369:                            ;   in Loop: Header=BB6_10588 Depth=4
	s_or_b64 exec, exec, s[34:35]
.LBB6_11370:                            ;   in Loop: Header=BB6_10588 Depth=4
	s_or_b64 exec, exec, s[28:29]
	v_mul_f32_e32 v1, v4, v2
	v_and_b32_e32 v2, 0x7f800000, v1
	v_mov_b32_e32 v3, v33
	v_cmp_ne_u64_e32 vcc, s[76:77], v[2:3]
	v_and_b32_e32 v32, 0x7fffff, v1
                                        ; implicit-def: $vgpr2
	buffer_store_dword v2, off, s[0:3], s33 offset:132 ; 4-byte Folded Spill
	s_nop 0
	buffer_store_dword v3, off, s[0:3], s33 offset:136 ; 4-byte Folded Spill
	s_and_saveexec_b64 s[28:29], vcc
	s_xor_b64 s[34:35], exec, s[28:29]
	s_cbranch_execz .LBB6_11388
; %bb.11371:                            ;   in Loop: Header=BB6_10588 Depth=4
	v_and_b32_e32 v2, 0x7fffffff, v1
	v_mov_b32_e32 v3, v33
	v_cmp_gt_u64_e32 vcc, s[78:79], v[2:3]
	v_and_b32_sdwa v5, v1, s97 dst_sel:DWORD dst_unused:UNUSED_PAD src0_sel:BYTE_3 src1_sel:DWORD
                                        ; implicit-def: $vgpr2
	buffer_store_dword v2, off, s[0:3], s33 offset:132 ; 4-byte Folded Spill
	s_nop 0
	buffer_store_dword v3, off, s[0:3], s33 offset:136 ; 4-byte Folded Spill
	s_and_saveexec_b64 s[28:29], vcc
	s_xor_b64 s[36:37], exec, s[28:29]
	s_cbranch_execz .LBB6_11385
; %bb.11372:                            ;   in Loop: Header=BB6_10588 Depth=4
	v_cmp_ne_u32_e32 vcc, 0, v1
	v_mov_b32_e32 v2, 0
	buffer_store_dword v2, off, s[0:3], s33 offset:132 ; 4-byte Folded Spill
	s_nop 0
	buffer_store_dword v3, off, s[0:3], s33 offset:136 ; 4-byte Folded Spill
	s_and_saveexec_b64 s[38:39], vcc
	s_cbranch_execz .LBB6_11384
; %bb.11373:                            ;   in Loop: Header=BB6_10588 Depth=4
	v_bfe_u32 v6, v1, 23, 8
	v_cmp_gt_u32_e64 s[28:29], s47, v6
	v_sub_u32_e32 v1, 0x71, v6
	v_cmp_eq_u32_e32 vcc, 0, v6
	v_cndmask_b32_e64 v1, 0, v1, s[28:29]
	v_mov_b32_e32 v3, 0x70
	v_cndmask_b32_e32 v7, v1, v3, vcc
	v_add_u32_e32 v3, 21, v7
	v_or_b32_e32 v2, 0x800000, v32
	v_lshlrev_b64 v[14:15], v3, -1
	v_cndmask_b32_e32 v1, v2, v32, vcc
	v_mov_b32_e32 v2, v33
	v_add_u32_e32 v3, 20, v7
	v_bfi_b32 v14, v14, 0, v1
	v_lshlrev_b64 v[17:18], v3, 1
	v_lshrrev_b64 v[1:2], v7, v[1:2]
	v_bfi_b32 v15, v15, 0, 0
	v_cmp_eq_u64_e64 s[28:29], v[14:15], v[17:18]
	v_mov_b32_e32 v3, v2
	v_mov_b32_e32 v2, v1
	s_and_saveexec_b64 s[48:49], s[28:29]
; %bb.11374:                            ;   in Loop: Header=BB6_10588 Depth=4
	v_bfe_u32 v2, v1, 21, 1
	v_add_co_u32_e64 v2, s[28:29], v1, v2
	v_add_co_u32_e64 v2, s[28:29], -1, v2
; %bb.11375:                            ;   in Loop: Header=BB6_10588 Depth=4
	s_or_b64 exec, exec, s[48:49]
	v_add_u32_e32 v3, 0xffffff81, v6
	v_mov_b32_e32 v6, 0xffffff82
	v_cndmask_b32_e32 v3, v3, v6, vcc
	v_lshrrev_b32_e32 v6, 23, v1
	v_add3_u32 v7, v7, v3, v6
	v_add_u32_e32 v6, 14, v7
	v_and_b32_e32 v2, 0x1fffff, v2
	v_add_u32_e32 v32, v2, v1
	v_cmp_ne_u32_e32 vcc, 0, v6
                                        ; implicit-def: $vgpr1_vgpr2
                                        ; implicit-def: $vgpr3
	s_and_saveexec_b64 s[28:29], vcc
	s_xor_b64 s[28:29], exec, s[28:29]
; %bb.11376:                            ;   in Loop: Header=BB6_10588 Depth=4
	v_cmp_lt_u64_e32 vcc, s[88:89], v[32:33]
	v_add_u32_e32 v1, 15, v7
	v_cndmask_b32_e32 v3, v6, v1, vcc
	v_cndmask_b32_e64 v1, 0, 1, vcc
	v_lshrrev_b64 v[1:2], v1, v[32:33]
; %bb.11377:                            ;   in Loop: Header=BB6_10588 Depth=4
	s_andn2_saveexec_b64 s[28:29], s[28:29]
; %bb.11378:                            ;   in Loop: Header=BB6_10588 Depth=4
	v_mov_b32_e32 v1, v32
	v_mov_b32_e32 v2, v33
	v_bfe_u32 v3, v32, 23, 1
; %bb.11379:                            ;   in Loop: Header=BB6_10588 Depth=4
	s_or_b64 exec, exec, s[28:29]
	v_lshrrev_b64 v[1:2], 21, v[1:2]
	v_cmp_gt_i32_e32 vcc, 32, v3
	v_cndmask_b32_e32 v2, 0, v2, vcc
	v_cndmask_b32_e32 v1, 3, v1, vcc
	v_cmp_ne_u64_e32 vcc, 0, v[1:2]
	v_cmp_ne_u32_e64 s[28:29], 0, v3
	s_or_b64 s[28:29], s[28:29], vcc
                                        ; implicit-def: $vgpr2
	buffer_store_dword v2, off, s[0:3], s33 offset:132 ; 4-byte Folded Spill
	s_nop 0
	buffer_store_dword v3, off, s[0:3], s33 offset:136 ; 4-byte Folded Spill
	s_and_saveexec_b64 s[62:63], s[28:29]
	s_xor_b64 s[28:29], exec, s[62:63]
	s_cbranch_execz .LBB6_11381
; %bb.11380:                            ;   in Loop: Header=BB6_10588 Depth=4
	v_min_i32_e32 v2, 31, v3
	v_lshl_or_b32 v2, v2, 2, v5
	v_and_or_b32 v1, v1, 3, v2
	buffer_store_dword v1, off, s[0:3], s33 offset:132 ; 4-byte Folded Spill
	s_nop 0
	buffer_store_dword v2, off, s[0:3], s33 offset:136 ; 4-byte Folded Spill
                                        ; implicit-def: $vgpr5
.LBB6_11381:                            ;   in Loop: Header=BB6_10588 Depth=4
	s_andn2_saveexec_b64 s[28:29], s[28:29]
	s_cbranch_execz .LBB6_11383
; %bb.11382:                            ;   in Loop: Header=BB6_10588 Depth=4
	v_mov_b32_e32 v1, v5
	buffer_store_dword v1, off, s[0:3], s33 offset:132 ; 4-byte Folded Spill
	s_nop 0
	buffer_store_dword v2, off, s[0:3], s33 offset:136 ; 4-byte Folded Spill
.LBB6_11383:                            ;   in Loop: Header=BB6_10588 Depth=4
	s_or_b64 exec, exec, s[28:29]
.LBB6_11384:                            ;   in Loop: Header=BB6_10588 Depth=4
	s_or_b64 exec, exec, s[38:39]
                                        ; implicit-def: $vgpr5
.LBB6_11385:                            ;   in Loop: Header=BB6_10588 Depth=4
	s_andn2_saveexec_b64 s[28:29], s[36:37]
	s_cbranch_execz .LBB6_11387
; %bb.11386:                            ;   in Loop: Header=BB6_10588 Depth=4
	v_or_b32_e32 v1, 0x7b, v5
	buffer_store_dword v1, off, s[0:3], s33 offset:132 ; 4-byte Folded Spill
	s_nop 0
	buffer_store_dword v2, off, s[0:3], s33 offset:136 ; 4-byte Folded Spill
.LBB6_11387:                            ;   in Loop: Header=BB6_10588 Depth=4
	s_or_b64 exec, exec, s[28:29]
                                        ; implicit-def: $vgpr1
.LBB6_11388:                            ;   in Loop: Header=BB6_10588 Depth=4
	s_andn2_saveexec_b64 s[28:29], s[34:35]
	s_cbranch_execz .LBB6_11394
; %bb.11389:                            ;   in Loop: Header=BB6_10588 Depth=4
	v_cmp_ne_u64_e32 vcc, 0, v[32:33]
                                        ; implicit-def: $vgpr2
	buffer_store_dword v2, off, s[0:3], s33 offset:132 ; 4-byte Folded Spill
	s_nop 0
	buffer_store_dword v3, off, s[0:3], s33 offset:136 ; 4-byte Folded Spill
	s_and_saveexec_b64 s[62:63], vcc
	s_xor_b64 vcc, exec, s[62:63]
	s_cbranch_execz .LBB6_11391
; %bb.11390:                            ;   in Loop: Header=BB6_10588 Depth=4
	v_or_b32_sdwa v1, v1, s44 dst_sel:DWORD dst_unused:UNUSED_PAD src0_sel:BYTE_3 src1_sel:DWORD
	buffer_store_dword v1, off, s[0:3], s33 offset:132 ; 4-byte Folded Spill
	s_nop 0
	buffer_store_dword v2, off, s[0:3], s33 offset:136 ; 4-byte Folded Spill
                                        ; implicit-def: $vgpr1
.LBB6_11391:                            ;   in Loop: Header=BB6_10588 Depth=4
	s_andn2_saveexec_b64 s[34:35], vcc
	s_cbranch_execz .LBB6_11393
; %bb.11392:                            ;   in Loop: Header=BB6_10588 Depth=4
	v_cmp_lt_i32_e32 vcc, -1, v1
	v_mov_b32_e32 v1, 0x7c
	v_cndmask_b32_e32 v1, -4, v1, vcc
	buffer_store_dword v1, off, s[0:3], s33 offset:132 ; 4-byte Folded Spill
	s_nop 0
	buffer_store_dword v2, off, s[0:3], s33 offset:136 ; 4-byte Folded Spill
.LBB6_11393:                            ;   in Loop: Header=BB6_10588 Depth=4
	s_or_b64 exec, exec, s[34:35]
.LBB6_11394:                            ;   in Loop: Header=BB6_10588 Depth=4
	s_or_b64 exec, exec, s[28:29]
	flat_load_sbyte v1, v[8:9] offset:1600 glc slc
	v_mov_b32_e32 v2, 0
	s_waitcnt vmcnt(0) lgkmcnt(0)
	v_cmp_ne_u16_e32 vcc, 0, v1
	s_and_saveexec_b64 s[28:29], vcc
	s_cbranch_execz .LBB6_11402
; %bb.11395:                            ;   in Loop: Header=BB6_10588 Depth=4
	v_cmp_ne_u16_e32 vcc, s46, v1
	v_bfrev_b32_e32 v2, 1
	s_and_saveexec_b64 s[34:35], vcc
	s_cbranch_execz .LBB6_11401
; %bb.11396:                            ;   in Loop: Header=BB6_10588 Depth=4
	v_and_b32_e32 v2, 0x7c, v1
	v_and_b32_e32 v3, 3, v1
	v_cmp_ne_u32_e32 vcc, s86, v2
                                        ; implicit-def: $vgpr2
	s_and_saveexec_b64 s[62:63], vcc
	s_xor_b64 s[36:37], exec, s[62:63]
	s_cbranch_execz .LBB6_11398
; %bb.11397:                            ;   in Loop: Header=BB6_10588 Depth=4
	v_and_b32_e32 v5, 0xff, v1
	v_bfe_u32 v7, v5, 2, 5
	v_ffbh_u32_e32 v5, v3
	v_min_u32_e32 v14, 32, v5
	v_mov_b32_e32 v2, v33
	v_subrev_u32_e32 v5, 29, v14
	v_lshlrev_b64 v[5:6], v5, v[1:2]
	v_sub_u32_e32 v2, 30, v14
	v_cmp_eq_u32_e32 vcc, 0, v7
	v_and_b32_e32 v5, 3, v5
	v_cndmask_b32_e32 v2, v7, v2, vcc
	v_and_b32_sdwa v1, sext(v1), s87 dst_sel:DWORD dst_unused:UNUSED_PAD src0_sel:WORD_0 src1_sel:DWORD
	v_cndmask_b32_e32 v3, v3, v5, vcc
	v_lshl_add_u32 v1, v2, 23, v1
	v_lshl_or_b32 v1, v3, 21, v1
	v_add_u32_e32 v2, 0x38000000, v1
                                        ; implicit-def: $vgpr3
                                        ; implicit-def: $vgpr1
.LBB6_11398:                            ;   in Loop: Header=BB6_10588 Depth=4
	s_andn2_saveexec_b64 s[36:37], s[36:37]
; %bb.11399:                            ;   in Loop: Header=BB6_10588 Depth=4
	v_cmp_lt_i16_e32 vcc, -1, v1
	v_mov_b32_e32 v1, 0xff800000
	v_mov_b32_e32 v2, 0x7f800000
	v_cndmask_b32_e32 v1, v1, v2, vcc
	v_cmp_eq_u32_e32 vcc, 0, v3
	v_mov_b32_e32 v2, 0x7f800001
	v_cndmask_b32_e32 v2, v2, v1, vcc
; %bb.11400:                            ;   in Loop: Header=BB6_10588 Depth=4
	s_or_b64 exec, exec, s[36:37]
.LBB6_11401:                            ;   in Loop: Header=BB6_10588 Depth=4
	s_or_b64 exec, exec, s[34:35]
.LBB6_11402:                            ;   in Loop: Header=BB6_10588 Depth=4
	s_or_b64 exec, exec, s[28:29]
	v_mul_f32_e32 v1, v4, v2
	v_and_b32_e32 v2, 0x7f800000, v1
	v_mov_b32_e32 v3, v33
	v_cmp_ne_u64_e32 vcc, s[76:77], v[2:3]
	v_and_b32_e32 v32, 0x7fffff, v1
                                        ; implicit-def: $vgpr2
	buffer_store_dword v2, off, s[0:3], s33 offset:124 ; 4-byte Folded Spill
	s_nop 0
	buffer_store_dword v3, off, s[0:3], s33 offset:128 ; 4-byte Folded Spill
	s_and_saveexec_b64 s[28:29], vcc
	s_xor_b64 s[34:35], exec, s[28:29]
	s_cbranch_execz .LBB6_11420
; %bb.11403:                            ;   in Loop: Header=BB6_10588 Depth=4
	v_and_b32_e32 v2, 0x7fffffff, v1
	v_mov_b32_e32 v3, v33
	v_cmp_gt_u64_e32 vcc, s[78:79], v[2:3]
	v_and_b32_sdwa v5, v1, s97 dst_sel:DWORD dst_unused:UNUSED_PAD src0_sel:BYTE_3 src1_sel:DWORD
                                        ; implicit-def: $vgpr2
	buffer_store_dword v2, off, s[0:3], s33 offset:124 ; 4-byte Folded Spill
	s_nop 0
	buffer_store_dword v3, off, s[0:3], s33 offset:128 ; 4-byte Folded Spill
	s_and_saveexec_b64 s[28:29], vcc
	s_xor_b64 s[36:37], exec, s[28:29]
	s_cbranch_execz .LBB6_11417
; %bb.11404:                            ;   in Loop: Header=BB6_10588 Depth=4
	v_cmp_ne_u32_e32 vcc, 0, v1
	v_mov_b32_e32 v2, 0
	buffer_store_dword v2, off, s[0:3], s33 offset:124 ; 4-byte Folded Spill
	s_nop 0
	buffer_store_dword v3, off, s[0:3], s33 offset:128 ; 4-byte Folded Spill
	s_and_saveexec_b64 s[38:39], vcc
	s_cbranch_execz .LBB6_11416
; %bb.11405:                            ;   in Loop: Header=BB6_10588 Depth=4
	v_bfe_u32 v6, v1, 23, 8
	v_cmp_gt_u32_e64 s[28:29], s47, v6
	v_sub_u32_e32 v1, 0x71, v6
	v_cmp_eq_u32_e32 vcc, 0, v6
	v_cndmask_b32_e64 v1, 0, v1, s[28:29]
	v_mov_b32_e32 v3, 0x70
	v_cndmask_b32_e32 v7, v1, v3, vcc
	v_add_u32_e32 v3, 21, v7
	v_or_b32_e32 v2, 0x800000, v32
	v_lshlrev_b64 v[14:15], v3, -1
	v_cndmask_b32_e32 v1, v2, v32, vcc
	v_mov_b32_e32 v2, v33
	v_add_u32_e32 v3, 20, v7
	v_bfi_b32 v14, v14, 0, v1
	v_lshlrev_b64 v[17:18], v3, 1
	v_lshrrev_b64 v[1:2], v7, v[1:2]
	v_bfi_b32 v15, v15, 0, 0
	v_cmp_eq_u64_e64 s[28:29], v[14:15], v[17:18]
	v_mov_b32_e32 v3, v2
	v_mov_b32_e32 v2, v1
	s_and_saveexec_b64 s[48:49], s[28:29]
; %bb.11406:                            ;   in Loop: Header=BB6_10588 Depth=4
	v_bfe_u32 v2, v1, 21, 1
	v_add_co_u32_e64 v2, s[28:29], v1, v2
	v_add_co_u32_e64 v2, s[28:29], -1, v2
; %bb.11407:                            ;   in Loop: Header=BB6_10588 Depth=4
	s_or_b64 exec, exec, s[48:49]
	v_add_u32_e32 v3, 0xffffff81, v6
	v_mov_b32_e32 v6, 0xffffff82
	v_cndmask_b32_e32 v3, v3, v6, vcc
	v_lshrrev_b32_e32 v6, 23, v1
	v_add3_u32 v7, v7, v3, v6
	v_add_u32_e32 v6, 14, v7
	v_and_b32_e32 v2, 0x1fffff, v2
	v_add_u32_e32 v32, v2, v1
	v_cmp_ne_u32_e32 vcc, 0, v6
                                        ; implicit-def: $vgpr1_vgpr2
                                        ; implicit-def: $vgpr3
	s_and_saveexec_b64 s[28:29], vcc
	s_xor_b64 s[28:29], exec, s[28:29]
; %bb.11408:                            ;   in Loop: Header=BB6_10588 Depth=4
	v_cmp_lt_u64_e32 vcc, s[88:89], v[32:33]
	v_add_u32_e32 v1, 15, v7
	v_cndmask_b32_e32 v3, v6, v1, vcc
	v_cndmask_b32_e64 v1, 0, 1, vcc
	v_lshrrev_b64 v[1:2], v1, v[32:33]
; %bb.11409:                            ;   in Loop: Header=BB6_10588 Depth=4
	s_andn2_saveexec_b64 s[28:29], s[28:29]
; %bb.11410:                            ;   in Loop: Header=BB6_10588 Depth=4
	v_mov_b32_e32 v1, v32
	v_mov_b32_e32 v2, v33
	v_bfe_u32 v3, v32, 23, 1
; %bb.11411:                            ;   in Loop: Header=BB6_10588 Depth=4
	s_or_b64 exec, exec, s[28:29]
	v_lshrrev_b64 v[1:2], 21, v[1:2]
	v_cmp_gt_i32_e32 vcc, 32, v3
	v_cndmask_b32_e32 v2, 0, v2, vcc
	v_cndmask_b32_e32 v1, 3, v1, vcc
	v_cmp_ne_u64_e32 vcc, 0, v[1:2]
	v_cmp_ne_u32_e64 s[28:29], 0, v3
	s_or_b64 s[28:29], s[28:29], vcc
                                        ; implicit-def: $vgpr2
	buffer_store_dword v2, off, s[0:3], s33 offset:124 ; 4-byte Folded Spill
	s_nop 0
	buffer_store_dword v3, off, s[0:3], s33 offset:128 ; 4-byte Folded Spill
	s_and_saveexec_b64 s[62:63], s[28:29]
	s_xor_b64 s[28:29], exec, s[62:63]
	s_cbranch_execz .LBB6_11413
; %bb.11412:                            ;   in Loop: Header=BB6_10588 Depth=4
	v_min_i32_e32 v2, 31, v3
	v_lshl_or_b32 v2, v2, 2, v5
	v_and_or_b32 v1, v1, 3, v2
	buffer_store_dword v1, off, s[0:3], s33 offset:124 ; 4-byte Folded Spill
	s_nop 0
	buffer_store_dword v2, off, s[0:3], s33 offset:128 ; 4-byte Folded Spill
                                        ; implicit-def: $vgpr5
.LBB6_11413:                            ;   in Loop: Header=BB6_10588 Depth=4
	s_andn2_saveexec_b64 s[28:29], s[28:29]
	s_cbranch_execz .LBB6_11415
; %bb.11414:                            ;   in Loop: Header=BB6_10588 Depth=4
	v_mov_b32_e32 v1, v5
	buffer_store_dword v1, off, s[0:3], s33 offset:124 ; 4-byte Folded Spill
	s_nop 0
	buffer_store_dword v2, off, s[0:3], s33 offset:128 ; 4-byte Folded Spill
.LBB6_11415:                            ;   in Loop: Header=BB6_10588 Depth=4
	s_or_b64 exec, exec, s[28:29]
.LBB6_11416:                            ;   in Loop: Header=BB6_10588 Depth=4
	s_or_b64 exec, exec, s[38:39]
                                        ; implicit-def: $vgpr5
.LBB6_11417:                            ;   in Loop: Header=BB6_10588 Depth=4
	s_andn2_saveexec_b64 s[28:29], s[36:37]
	s_cbranch_execz .LBB6_11419
; %bb.11418:                            ;   in Loop: Header=BB6_10588 Depth=4
	v_or_b32_e32 v1, 0x7b, v5
	buffer_store_dword v1, off, s[0:3], s33 offset:124 ; 4-byte Folded Spill
	s_nop 0
	buffer_store_dword v2, off, s[0:3], s33 offset:128 ; 4-byte Folded Spill
.LBB6_11419:                            ;   in Loop: Header=BB6_10588 Depth=4
	s_or_b64 exec, exec, s[28:29]
                                        ; implicit-def: $vgpr1
.LBB6_11420:                            ;   in Loop: Header=BB6_10588 Depth=4
	s_andn2_saveexec_b64 s[28:29], s[34:35]
	s_cbranch_execz .LBB6_11426
; %bb.11421:                            ;   in Loop: Header=BB6_10588 Depth=4
	v_cmp_ne_u64_e32 vcc, 0, v[32:33]
                                        ; implicit-def: $vgpr2
	buffer_store_dword v2, off, s[0:3], s33 offset:124 ; 4-byte Folded Spill
	s_nop 0
	buffer_store_dword v3, off, s[0:3], s33 offset:128 ; 4-byte Folded Spill
	s_and_saveexec_b64 s[62:63], vcc
	s_xor_b64 vcc, exec, s[62:63]
	s_cbranch_execz .LBB6_11423
; %bb.11422:                            ;   in Loop: Header=BB6_10588 Depth=4
	v_or_b32_sdwa v1, v1, s44 dst_sel:DWORD dst_unused:UNUSED_PAD src0_sel:BYTE_3 src1_sel:DWORD
	buffer_store_dword v1, off, s[0:3], s33 offset:124 ; 4-byte Folded Spill
	s_nop 0
	buffer_store_dword v2, off, s[0:3], s33 offset:128 ; 4-byte Folded Spill
                                        ; implicit-def: $vgpr1
.LBB6_11423:                            ;   in Loop: Header=BB6_10588 Depth=4
	s_andn2_saveexec_b64 s[34:35], vcc
	s_cbranch_execz .LBB6_11425
; %bb.11424:                            ;   in Loop: Header=BB6_10588 Depth=4
	v_cmp_lt_i32_e32 vcc, -1, v1
	v_mov_b32_e32 v1, 0x7c
	v_cndmask_b32_e32 v1, -4, v1, vcc
	buffer_store_dword v1, off, s[0:3], s33 offset:124 ; 4-byte Folded Spill
	s_nop 0
	buffer_store_dword v2, off, s[0:3], s33 offset:128 ; 4-byte Folded Spill
.LBB6_11425:                            ;   in Loop: Header=BB6_10588 Depth=4
	s_or_b64 exec, exec, s[34:35]
.LBB6_11426:                            ;   in Loop: Header=BB6_10588 Depth=4
	s_or_b64 exec, exec, s[28:29]
	flat_load_sbyte v1, v[8:9] offset:1664 glc slc
	v_mov_b32_e32 v2, 0
	s_waitcnt vmcnt(0) lgkmcnt(0)
	v_cmp_ne_u16_e32 vcc, 0, v1
	s_and_saveexec_b64 s[28:29], vcc
	s_cbranch_execz .LBB6_11434
; %bb.11427:                            ;   in Loop: Header=BB6_10588 Depth=4
	v_cmp_ne_u16_e32 vcc, s46, v1
	v_bfrev_b32_e32 v2, 1
	s_and_saveexec_b64 s[34:35], vcc
	s_cbranch_execz .LBB6_11433
; %bb.11428:                            ;   in Loop: Header=BB6_10588 Depth=4
	v_and_b32_e32 v2, 0x7c, v1
	v_and_b32_e32 v3, 3, v1
	v_cmp_ne_u32_e32 vcc, s86, v2
                                        ; implicit-def: $vgpr2
	s_and_saveexec_b64 s[62:63], vcc
	s_xor_b64 s[36:37], exec, s[62:63]
	s_cbranch_execz .LBB6_11430
; %bb.11429:                            ;   in Loop: Header=BB6_10588 Depth=4
	v_and_b32_e32 v5, 0xff, v1
	v_bfe_u32 v7, v5, 2, 5
	v_ffbh_u32_e32 v5, v3
	v_min_u32_e32 v14, 32, v5
	v_mov_b32_e32 v2, v33
	v_subrev_u32_e32 v5, 29, v14
	v_lshlrev_b64 v[5:6], v5, v[1:2]
	v_sub_u32_e32 v2, 30, v14
	v_cmp_eq_u32_e32 vcc, 0, v7
	v_and_b32_e32 v5, 3, v5
	v_cndmask_b32_e32 v2, v7, v2, vcc
	v_and_b32_sdwa v1, sext(v1), s87 dst_sel:DWORD dst_unused:UNUSED_PAD src0_sel:WORD_0 src1_sel:DWORD
	v_cndmask_b32_e32 v3, v3, v5, vcc
	v_lshl_add_u32 v1, v2, 23, v1
	v_lshl_or_b32 v1, v3, 21, v1
	v_add_u32_e32 v2, 0x38000000, v1
                                        ; implicit-def: $vgpr3
                                        ; implicit-def: $vgpr1
.LBB6_11430:                            ;   in Loop: Header=BB6_10588 Depth=4
	s_andn2_saveexec_b64 s[36:37], s[36:37]
; %bb.11431:                            ;   in Loop: Header=BB6_10588 Depth=4
	v_cmp_lt_i16_e32 vcc, -1, v1
	v_mov_b32_e32 v1, 0xff800000
	v_mov_b32_e32 v2, 0x7f800000
	v_cndmask_b32_e32 v1, v1, v2, vcc
	v_cmp_eq_u32_e32 vcc, 0, v3
	v_mov_b32_e32 v2, 0x7f800001
	v_cndmask_b32_e32 v2, v2, v1, vcc
; %bb.11432:                            ;   in Loop: Header=BB6_10588 Depth=4
	s_or_b64 exec, exec, s[36:37]
.LBB6_11433:                            ;   in Loop: Header=BB6_10588 Depth=4
	s_or_b64 exec, exec, s[34:35]
.LBB6_11434:                            ;   in Loop: Header=BB6_10588 Depth=4
	s_or_b64 exec, exec, s[28:29]
	v_mul_f32_e32 v1, v4, v2
	v_and_b32_e32 v2, 0x7f800000, v1
	v_mov_b32_e32 v3, v33
	v_cmp_ne_u64_e32 vcc, s[76:77], v[2:3]
	v_and_b32_e32 v32, 0x7fffff, v1
                                        ; implicit-def: $vgpr2
	buffer_store_dword v2, off, s[0:3], s33 offset:116 ; 4-byte Folded Spill
	s_nop 0
	buffer_store_dword v3, off, s[0:3], s33 offset:120 ; 4-byte Folded Spill
	s_and_saveexec_b64 s[28:29], vcc
	s_xor_b64 s[34:35], exec, s[28:29]
	s_cbranch_execz .LBB6_11452
; %bb.11435:                            ;   in Loop: Header=BB6_10588 Depth=4
	v_and_b32_e32 v2, 0x7fffffff, v1
	v_mov_b32_e32 v3, v33
	v_cmp_gt_u64_e32 vcc, s[78:79], v[2:3]
	v_and_b32_sdwa v5, v1, s97 dst_sel:DWORD dst_unused:UNUSED_PAD src0_sel:BYTE_3 src1_sel:DWORD
                                        ; implicit-def: $vgpr2
	buffer_store_dword v2, off, s[0:3], s33 offset:116 ; 4-byte Folded Spill
	s_nop 0
	buffer_store_dword v3, off, s[0:3], s33 offset:120 ; 4-byte Folded Spill
	s_and_saveexec_b64 s[28:29], vcc
	s_xor_b64 s[36:37], exec, s[28:29]
	s_cbranch_execz .LBB6_11449
; %bb.11436:                            ;   in Loop: Header=BB6_10588 Depth=4
	v_cmp_ne_u32_e32 vcc, 0, v1
	v_mov_b32_e32 v2, 0
	buffer_store_dword v2, off, s[0:3], s33 offset:116 ; 4-byte Folded Spill
	s_nop 0
	buffer_store_dword v3, off, s[0:3], s33 offset:120 ; 4-byte Folded Spill
	s_and_saveexec_b64 s[38:39], vcc
	s_cbranch_execz .LBB6_11448
; %bb.11437:                            ;   in Loop: Header=BB6_10588 Depth=4
	v_bfe_u32 v6, v1, 23, 8
	v_cmp_gt_u32_e64 s[28:29], s47, v6
	v_sub_u32_e32 v1, 0x71, v6
	v_cmp_eq_u32_e32 vcc, 0, v6
	v_cndmask_b32_e64 v1, 0, v1, s[28:29]
	v_mov_b32_e32 v3, 0x70
	v_cndmask_b32_e32 v7, v1, v3, vcc
	v_add_u32_e32 v3, 21, v7
	v_or_b32_e32 v2, 0x800000, v32
	v_lshlrev_b64 v[14:15], v3, -1
	v_cndmask_b32_e32 v1, v2, v32, vcc
	v_mov_b32_e32 v2, v33
	v_add_u32_e32 v3, 20, v7
	v_bfi_b32 v14, v14, 0, v1
	v_lshlrev_b64 v[17:18], v3, 1
	v_lshrrev_b64 v[1:2], v7, v[1:2]
	v_bfi_b32 v15, v15, 0, 0
	v_cmp_eq_u64_e64 s[28:29], v[14:15], v[17:18]
	v_mov_b32_e32 v3, v2
	v_mov_b32_e32 v2, v1
	s_and_saveexec_b64 s[48:49], s[28:29]
; %bb.11438:                            ;   in Loop: Header=BB6_10588 Depth=4
	v_bfe_u32 v2, v1, 21, 1
	v_add_co_u32_e64 v2, s[28:29], v1, v2
	v_add_co_u32_e64 v2, s[28:29], -1, v2
; %bb.11439:                            ;   in Loop: Header=BB6_10588 Depth=4
	s_or_b64 exec, exec, s[48:49]
	v_add_u32_e32 v3, 0xffffff81, v6
	v_mov_b32_e32 v6, 0xffffff82
	v_cndmask_b32_e32 v3, v3, v6, vcc
	v_lshrrev_b32_e32 v6, 23, v1
	v_add3_u32 v7, v7, v3, v6
	v_add_u32_e32 v6, 14, v7
	v_and_b32_e32 v2, 0x1fffff, v2
	v_add_u32_e32 v32, v2, v1
	v_cmp_ne_u32_e32 vcc, 0, v6
                                        ; implicit-def: $vgpr1_vgpr2
                                        ; implicit-def: $vgpr3
	s_and_saveexec_b64 s[28:29], vcc
	s_xor_b64 s[28:29], exec, s[28:29]
; %bb.11440:                            ;   in Loop: Header=BB6_10588 Depth=4
	v_cmp_lt_u64_e32 vcc, s[88:89], v[32:33]
	v_add_u32_e32 v1, 15, v7
	v_cndmask_b32_e32 v3, v6, v1, vcc
	v_cndmask_b32_e64 v1, 0, 1, vcc
	v_lshrrev_b64 v[1:2], v1, v[32:33]
; %bb.11441:                            ;   in Loop: Header=BB6_10588 Depth=4
	s_andn2_saveexec_b64 s[28:29], s[28:29]
; %bb.11442:                            ;   in Loop: Header=BB6_10588 Depth=4
	v_mov_b32_e32 v1, v32
	v_mov_b32_e32 v2, v33
	v_bfe_u32 v3, v32, 23, 1
; %bb.11443:                            ;   in Loop: Header=BB6_10588 Depth=4
	s_or_b64 exec, exec, s[28:29]
	v_lshrrev_b64 v[1:2], 21, v[1:2]
	v_cmp_gt_i32_e32 vcc, 32, v3
	v_cndmask_b32_e32 v2, 0, v2, vcc
	v_cndmask_b32_e32 v1, 3, v1, vcc
	v_cmp_ne_u64_e32 vcc, 0, v[1:2]
	v_cmp_ne_u32_e64 s[28:29], 0, v3
	s_or_b64 s[28:29], s[28:29], vcc
                                        ; implicit-def: $vgpr2
	buffer_store_dword v2, off, s[0:3], s33 offset:116 ; 4-byte Folded Spill
	s_nop 0
	buffer_store_dword v3, off, s[0:3], s33 offset:120 ; 4-byte Folded Spill
	s_and_saveexec_b64 s[62:63], s[28:29]
	s_xor_b64 s[28:29], exec, s[62:63]
	s_cbranch_execz .LBB6_11445
; %bb.11444:                            ;   in Loop: Header=BB6_10588 Depth=4
	v_min_i32_e32 v2, 31, v3
	v_lshl_or_b32 v2, v2, 2, v5
	v_and_or_b32 v1, v1, 3, v2
	buffer_store_dword v1, off, s[0:3], s33 offset:116 ; 4-byte Folded Spill
	s_nop 0
	buffer_store_dword v2, off, s[0:3], s33 offset:120 ; 4-byte Folded Spill
                                        ; implicit-def: $vgpr5
.LBB6_11445:                            ;   in Loop: Header=BB6_10588 Depth=4
	s_andn2_saveexec_b64 s[28:29], s[28:29]
	s_cbranch_execz .LBB6_11447
; %bb.11446:                            ;   in Loop: Header=BB6_10588 Depth=4
	v_mov_b32_e32 v1, v5
	buffer_store_dword v1, off, s[0:3], s33 offset:116 ; 4-byte Folded Spill
	s_nop 0
	buffer_store_dword v2, off, s[0:3], s33 offset:120 ; 4-byte Folded Spill
.LBB6_11447:                            ;   in Loop: Header=BB6_10588 Depth=4
	s_or_b64 exec, exec, s[28:29]
.LBB6_11448:                            ;   in Loop: Header=BB6_10588 Depth=4
	s_or_b64 exec, exec, s[38:39]
                                        ; implicit-def: $vgpr5
.LBB6_11449:                            ;   in Loop: Header=BB6_10588 Depth=4
	s_andn2_saveexec_b64 s[28:29], s[36:37]
	s_cbranch_execz .LBB6_11451
; %bb.11450:                            ;   in Loop: Header=BB6_10588 Depth=4
	v_or_b32_e32 v1, 0x7b, v5
	buffer_store_dword v1, off, s[0:3], s33 offset:116 ; 4-byte Folded Spill
	s_nop 0
	buffer_store_dword v2, off, s[0:3], s33 offset:120 ; 4-byte Folded Spill
.LBB6_11451:                            ;   in Loop: Header=BB6_10588 Depth=4
	s_or_b64 exec, exec, s[28:29]
                                        ; implicit-def: $vgpr1
.LBB6_11452:                            ;   in Loop: Header=BB6_10588 Depth=4
	s_andn2_saveexec_b64 s[28:29], s[34:35]
	s_cbranch_execz .LBB6_11458
; %bb.11453:                            ;   in Loop: Header=BB6_10588 Depth=4
	v_cmp_ne_u64_e32 vcc, 0, v[32:33]
                                        ; implicit-def: $vgpr2
	buffer_store_dword v2, off, s[0:3], s33 offset:116 ; 4-byte Folded Spill
	s_nop 0
	buffer_store_dword v3, off, s[0:3], s33 offset:120 ; 4-byte Folded Spill
	s_and_saveexec_b64 s[62:63], vcc
	s_xor_b64 vcc, exec, s[62:63]
	s_cbranch_execz .LBB6_11455
; %bb.11454:                            ;   in Loop: Header=BB6_10588 Depth=4
	v_or_b32_sdwa v1, v1, s44 dst_sel:DWORD dst_unused:UNUSED_PAD src0_sel:BYTE_3 src1_sel:DWORD
	buffer_store_dword v1, off, s[0:3], s33 offset:116 ; 4-byte Folded Spill
	s_nop 0
	buffer_store_dword v2, off, s[0:3], s33 offset:120 ; 4-byte Folded Spill
                                        ; implicit-def: $vgpr1
.LBB6_11455:                            ;   in Loop: Header=BB6_10588 Depth=4
	s_andn2_saveexec_b64 s[34:35], vcc
	s_cbranch_execz .LBB6_11457
; %bb.11456:                            ;   in Loop: Header=BB6_10588 Depth=4
	v_cmp_lt_i32_e32 vcc, -1, v1
	v_mov_b32_e32 v1, 0x7c
	v_cndmask_b32_e32 v1, -4, v1, vcc
	buffer_store_dword v1, off, s[0:3], s33 offset:116 ; 4-byte Folded Spill
	s_nop 0
	buffer_store_dword v2, off, s[0:3], s33 offset:120 ; 4-byte Folded Spill
.LBB6_11457:                            ;   in Loop: Header=BB6_10588 Depth=4
	s_or_b64 exec, exec, s[34:35]
.LBB6_11458:                            ;   in Loop: Header=BB6_10588 Depth=4
	s_or_b64 exec, exec, s[28:29]
	flat_load_sbyte v1, v[8:9] offset:1728 glc slc
	v_mov_b32_e32 v2, 0
	s_waitcnt vmcnt(0) lgkmcnt(0)
	v_cmp_ne_u16_e32 vcc, 0, v1
	s_and_saveexec_b64 s[28:29], vcc
	s_cbranch_execz .LBB6_11466
; %bb.11459:                            ;   in Loop: Header=BB6_10588 Depth=4
	v_cmp_ne_u16_e32 vcc, s46, v1
	v_bfrev_b32_e32 v2, 1
	s_and_saveexec_b64 s[34:35], vcc
	s_cbranch_execz .LBB6_11465
; %bb.11460:                            ;   in Loop: Header=BB6_10588 Depth=4
	v_and_b32_e32 v2, 0x7c, v1
	v_and_b32_e32 v3, 3, v1
	v_cmp_ne_u32_e32 vcc, s86, v2
                                        ; implicit-def: $vgpr2
	s_and_saveexec_b64 s[62:63], vcc
	s_xor_b64 s[36:37], exec, s[62:63]
	s_cbranch_execz .LBB6_11462
; %bb.11461:                            ;   in Loop: Header=BB6_10588 Depth=4
	v_and_b32_e32 v5, 0xff, v1
	v_bfe_u32 v7, v5, 2, 5
	v_ffbh_u32_e32 v5, v3
	v_min_u32_e32 v14, 32, v5
	v_mov_b32_e32 v2, v33
	v_subrev_u32_e32 v5, 29, v14
	v_lshlrev_b64 v[5:6], v5, v[1:2]
	v_sub_u32_e32 v2, 30, v14
	v_cmp_eq_u32_e32 vcc, 0, v7
	v_and_b32_e32 v5, 3, v5
	v_cndmask_b32_e32 v2, v7, v2, vcc
	v_and_b32_sdwa v1, sext(v1), s87 dst_sel:DWORD dst_unused:UNUSED_PAD src0_sel:WORD_0 src1_sel:DWORD
	v_cndmask_b32_e32 v3, v3, v5, vcc
	v_lshl_add_u32 v1, v2, 23, v1
	v_lshl_or_b32 v1, v3, 21, v1
	v_add_u32_e32 v2, 0x38000000, v1
                                        ; implicit-def: $vgpr3
                                        ; implicit-def: $vgpr1
.LBB6_11462:                            ;   in Loop: Header=BB6_10588 Depth=4
	s_andn2_saveexec_b64 s[36:37], s[36:37]
; %bb.11463:                            ;   in Loop: Header=BB6_10588 Depth=4
	v_cmp_lt_i16_e32 vcc, -1, v1
	v_mov_b32_e32 v1, 0xff800000
	v_mov_b32_e32 v2, 0x7f800000
	v_cndmask_b32_e32 v1, v1, v2, vcc
	v_cmp_eq_u32_e32 vcc, 0, v3
	v_mov_b32_e32 v2, 0x7f800001
	v_cndmask_b32_e32 v2, v2, v1, vcc
; %bb.11464:                            ;   in Loop: Header=BB6_10588 Depth=4
	s_or_b64 exec, exec, s[36:37]
.LBB6_11465:                            ;   in Loop: Header=BB6_10588 Depth=4
	s_or_b64 exec, exec, s[34:35]
.LBB6_11466:                            ;   in Loop: Header=BB6_10588 Depth=4
	s_or_b64 exec, exec, s[28:29]
	v_mul_f32_e32 v1, v4, v2
	v_and_b32_e32 v2, 0x7f800000, v1
	v_mov_b32_e32 v3, v33
	v_cmp_ne_u64_e32 vcc, s[76:77], v[2:3]
	v_and_b32_e32 v32, 0x7fffff, v1
                                        ; implicit-def: $vgpr2
	buffer_store_dword v2, off, s[0:3], s33 offset:108 ; 4-byte Folded Spill
	s_nop 0
	buffer_store_dword v3, off, s[0:3], s33 offset:112 ; 4-byte Folded Spill
	s_and_saveexec_b64 s[28:29], vcc
	s_xor_b64 s[34:35], exec, s[28:29]
	s_cbranch_execz .LBB6_11484
; %bb.11467:                            ;   in Loop: Header=BB6_10588 Depth=4
	v_and_b32_e32 v2, 0x7fffffff, v1
	v_mov_b32_e32 v3, v33
	v_cmp_gt_u64_e32 vcc, s[78:79], v[2:3]
	v_and_b32_sdwa v5, v1, s97 dst_sel:DWORD dst_unused:UNUSED_PAD src0_sel:BYTE_3 src1_sel:DWORD
                                        ; implicit-def: $vgpr2
	buffer_store_dword v2, off, s[0:3], s33 offset:108 ; 4-byte Folded Spill
	s_nop 0
	buffer_store_dword v3, off, s[0:3], s33 offset:112 ; 4-byte Folded Spill
	s_and_saveexec_b64 s[28:29], vcc
	s_xor_b64 s[36:37], exec, s[28:29]
	s_cbranch_execz .LBB6_11481
; %bb.11468:                            ;   in Loop: Header=BB6_10588 Depth=4
	v_cmp_ne_u32_e32 vcc, 0, v1
	v_mov_b32_e32 v2, 0
	buffer_store_dword v2, off, s[0:3], s33 offset:108 ; 4-byte Folded Spill
	s_nop 0
	buffer_store_dword v3, off, s[0:3], s33 offset:112 ; 4-byte Folded Spill
	s_and_saveexec_b64 s[38:39], vcc
	s_cbranch_execz .LBB6_11480
; %bb.11469:                            ;   in Loop: Header=BB6_10588 Depth=4
	v_bfe_u32 v6, v1, 23, 8
	v_cmp_gt_u32_e64 s[28:29], s47, v6
	v_sub_u32_e32 v1, 0x71, v6
	v_cmp_eq_u32_e32 vcc, 0, v6
	v_cndmask_b32_e64 v1, 0, v1, s[28:29]
	v_mov_b32_e32 v3, 0x70
	v_cndmask_b32_e32 v7, v1, v3, vcc
	v_add_u32_e32 v3, 21, v7
	v_or_b32_e32 v2, 0x800000, v32
	v_lshlrev_b64 v[14:15], v3, -1
	v_cndmask_b32_e32 v1, v2, v32, vcc
	v_mov_b32_e32 v2, v33
	v_add_u32_e32 v3, 20, v7
	v_bfi_b32 v14, v14, 0, v1
	v_lshlrev_b64 v[17:18], v3, 1
	v_lshrrev_b64 v[1:2], v7, v[1:2]
	v_bfi_b32 v15, v15, 0, 0
	v_cmp_eq_u64_e64 s[28:29], v[14:15], v[17:18]
	v_mov_b32_e32 v3, v2
	v_mov_b32_e32 v2, v1
	s_and_saveexec_b64 s[48:49], s[28:29]
; %bb.11470:                            ;   in Loop: Header=BB6_10588 Depth=4
	v_bfe_u32 v2, v1, 21, 1
	v_add_co_u32_e64 v2, s[28:29], v1, v2
	v_add_co_u32_e64 v2, s[28:29], -1, v2
; %bb.11471:                            ;   in Loop: Header=BB6_10588 Depth=4
	s_or_b64 exec, exec, s[48:49]
	v_add_u32_e32 v3, 0xffffff81, v6
	v_mov_b32_e32 v6, 0xffffff82
	v_cndmask_b32_e32 v3, v3, v6, vcc
	v_lshrrev_b32_e32 v6, 23, v1
	v_add3_u32 v7, v7, v3, v6
	v_add_u32_e32 v6, 14, v7
	v_and_b32_e32 v2, 0x1fffff, v2
	v_add_u32_e32 v32, v2, v1
	v_cmp_ne_u32_e32 vcc, 0, v6
                                        ; implicit-def: $vgpr1_vgpr2
                                        ; implicit-def: $vgpr3
	s_and_saveexec_b64 s[28:29], vcc
	s_xor_b64 s[28:29], exec, s[28:29]
; %bb.11472:                            ;   in Loop: Header=BB6_10588 Depth=4
	v_cmp_lt_u64_e32 vcc, s[88:89], v[32:33]
	v_add_u32_e32 v1, 15, v7
	v_cndmask_b32_e32 v3, v6, v1, vcc
	v_cndmask_b32_e64 v1, 0, 1, vcc
	v_lshrrev_b64 v[1:2], v1, v[32:33]
; %bb.11473:                            ;   in Loop: Header=BB6_10588 Depth=4
	s_andn2_saveexec_b64 s[28:29], s[28:29]
; %bb.11474:                            ;   in Loop: Header=BB6_10588 Depth=4
	v_mov_b32_e32 v1, v32
	v_mov_b32_e32 v2, v33
	v_bfe_u32 v3, v32, 23, 1
; %bb.11475:                            ;   in Loop: Header=BB6_10588 Depth=4
	s_or_b64 exec, exec, s[28:29]
	v_lshrrev_b64 v[1:2], 21, v[1:2]
	v_cmp_gt_i32_e32 vcc, 32, v3
	v_cndmask_b32_e32 v2, 0, v2, vcc
	v_cndmask_b32_e32 v1, 3, v1, vcc
	v_cmp_ne_u64_e32 vcc, 0, v[1:2]
	v_cmp_ne_u32_e64 s[28:29], 0, v3
	s_or_b64 s[28:29], s[28:29], vcc
                                        ; implicit-def: $vgpr2
	buffer_store_dword v2, off, s[0:3], s33 offset:108 ; 4-byte Folded Spill
	s_nop 0
	buffer_store_dword v3, off, s[0:3], s33 offset:112 ; 4-byte Folded Spill
	s_and_saveexec_b64 s[62:63], s[28:29]
	s_xor_b64 s[28:29], exec, s[62:63]
	s_cbranch_execz .LBB6_11477
; %bb.11476:                            ;   in Loop: Header=BB6_10588 Depth=4
	v_min_i32_e32 v2, 31, v3
	v_lshl_or_b32 v2, v2, 2, v5
	v_and_or_b32 v1, v1, 3, v2
	buffer_store_dword v1, off, s[0:3], s33 offset:108 ; 4-byte Folded Spill
	s_nop 0
	buffer_store_dword v2, off, s[0:3], s33 offset:112 ; 4-byte Folded Spill
                                        ; implicit-def: $vgpr5
.LBB6_11477:                            ;   in Loop: Header=BB6_10588 Depth=4
	s_andn2_saveexec_b64 s[28:29], s[28:29]
	s_cbranch_execz .LBB6_11479
; %bb.11478:                            ;   in Loop: Header=BB6_10588 Depth=4
	v_mov_b32_e32 v1, v5
	buffer_store_dword v1, off, s[0:3], s33 offset:108 ; 4-byte Folded Spill
	s_nop 0
	buffer_store_dword v2, off, s[0:3], s33 offset:112 ; 4-byte Folded Spill
.LBB6_11479:                            ;   in Loop: Header=BB6_10588 Depth=4
	s_or_b64 exec, exec, s[28:29]
.LBB6_11480:                            ;   in Loop: Header=BB6_10588 Depth=4
	s_or_b64 exec, exec, s[38:39]
                                        ; implicit-def: $vgpr5
.LBB6_11481:                            ;   in Loop: Header=BB6_10588 Depth=4
	s_andn2_saveexec_b64 s[28:29], s[36:37]
	s_cbranch_execz .LBB6_11483
; %bb.11482:                            ;   in Loop: Header=BB6_10588 Depth=4
	v_or_b32_e32 v1, 0x7b, v5
	buffer_store_dword v1, off, s[0:3], s33 offset:108 ; 4-byte Folded Spill
	s_nop 0
	buffer_store_dword v2, off, s[0:3], s33 offset:112 ; 4-byte Folded Spill
.LBB6_11483:                            ;   in Loop: Header=BB6_10588 Depth=4
	s_or_b64 exec, exec, s[28:29]
                                        ; implicit-def: $vgpr1
.LBB6_11484:                            ;   in Loop: Header=BB6_10588 Depth=4
	s_andn2_saveexec_b64 s[28:29], s[34:35]
	s_cbranch_execz .LBB6_11490
; %bb.11485:                            ;   in Loop: Header=BB6_10588 Depth=4
	v_cmp_ne_u64_e32 vcc, 0, v[32:33]
                                        ; implicit-def: $vgpr2
	buffer_store_dword v2, off, s[0:3], s33 offset:108 ; 4-byte Folded Spill
	s_nop 0
	buffer_store_dword v3, off, s[0:3], s33 offset:112 ; 4-byte Folded Spill
	s_and_saveexec_b64 s[62:63], vcc
	s_xor_b64 vcc, exec, s[62:63]
	s_cbranch_execz .LBB6_11487
; %bb.11486:                            ;   in Loop: Header=BB6_10588 Depth=4
	v_or_b32_sdwa v1, v1, s44 dst_sel:DWORD dst_unused:UNUSED_PAD src0_sel:BYTE_3 src1_sel:DWORD
	buffer_store_dword v1, off, s[0:3], s33 offset:108 ; 4-byte Folded Spill
	s_nop 0
	buffer_store_dword v2, off, s[0:3], s33 offset:112 ; 4-byte Folded Spill
                                        ; implicit-def: $vgpr1
.LBB6_11487:                            ;   in Loop: Header=BB6_10588 Depth=4
	s_andn2_saveexec_b64 s[34:35], vcc
	s_cbranch_execz .LBB6_11489
; %bb.11488:                            ;   in Loop: Header=BB6_10588 Depth=4
	v_cmp_lt_i32_e32 vcc, -1, v1
	v_mov_b32_e32 v1, 0x7c
	v_cndmask_b32_e32 v1, -4, v1, vcc
	buffer_store_dword v1, off, s[0:3], s33 offset:108 ; 4-byte Folded Spill
	s_nop 0
	buffer_store_dword v2, off, s[0:3], s33 offset:112 ; 4-byte Folded Spill
.LBB6_11489:                            ;   in Loop: Header=BB6_10588 Depth=4
	s_or_b64 exec, exec, s[34:35]
.LBB6_11490:                            ;   in Loop: Header=BB6_10588 Depth=4
	s_or_b64 exec, exec, s[28:29]
	flat_load_sbyte v1, v[8:9] offset:1792 glc slc
	v_mov_b32_e32 v2, 0
	s_waitcnt vmcnt(0) lgkmcnt(0)
	v_cmp_ne_u16_e32 vcc, 0, v1
	s_and_saveexec_b64 s[28:29], vcc
	s_cbranch_execz .LBB6_11498
; %bb.11491:                            ;   in Loop: Header=BB6_10588 Depth=4
	v_cmp_ne_u16_e32 vcc, s46, v1
	v_bfrev_b32_e32 v2, 1
	s_and_saveexec_b64 s[34:35], vcc
	s_cbranch_execz .LBB6_11497
; %bb.11492:                            ;   in Loop: Header=BB6_10588 Depth=4
	v_and_b32_e32 v2, 0x7c, v1
	v_and_b32_e32 v3, 3, v1
	v_cmp_ne_u32_e32 vcc, s86, v2
                                        ; implicit-def: $vgpr2
	s_and_saveexec_b64 s[62:63], vcc
	s_xor_b64 s[36:37], exec, s[62:63]
	s_cbranch_execz .LBB6_11494
; %bb.11493:                            ;   in Loop: Header=BB6_10588 Depth=4
	v_and_b32_e32 v5, 0xff, v1
	v_bfe_u32 v7, v5, 2, 5
	v_ffbh_u32_e32 v5, v3
	v_min_u32_e32 v14, 32, v5
	v_mov_b32_e32 v2, v33
	v_subrev_u32_e32 v5, 29, v14
	v_lshlrev_b64 v[5:6], v5, v[1:2]
	v_sub_u32_e32 v2, 30, v14
	v_cmp_eq_u32_e32 vcc, 0, v7
	v_and_b32_e32 v5, 3, v5
	v_cndmask_b32_e32 v2, v7, v2, vcc
	v_and_b32_sdwa v1, sext(v1), s87 dst_sel:DWORD dst_unused:UNUSED_PAD src0_sel:WORD_0 src1_sel:DWORD
	v_cndmask_b32_e32 v3, v3, v5, vcc
	v_lshl_add_u32 v1, v2, 23, v1
	v_lshl_or_b32 v1, v3, 21, v1
	v_add_u32_e32 v2, 0x38000000, v1
                                        ; implicit-def: $vgpr3
                                        ; implicit-def: $vgpr1
.LBB6_11494:                            ;   in Loop: Header=BB6_10588 Depth=4
	s_andn2_saveexec_b64 s[36:37], s[36:37]
; %bb.11495:                            ;   in Loop: Header=BB6_10588 Depth=4
	v_cmp_lt_i16_e32 vcc, -1, v1
	v_mov_b32_e32 v1, 0xff800000
	v_mov_b32_e32 v2, 0x7f800000
	v_cndmask_b32_e32 v1, v1, v2, vcc
	v_cmp_eq_u32_e32 vcc, 0, v3
	v_mov_b32_e32 v2, 0x7f800001
	v_cndmask_b32_e32 v2, v2, v1, vcc
; %bb.11496:                            ;   in Loop: Header=BB6_10588 Depth=4
	s_or_b64 exec, exec, s[36:37]
.LBB6_11497:                            ;   in Loop: Header=BB6_10588 Depth=4
	s_or_b64 exec, exec, s[34:35]
.LBB6_11498:                            ;   in Loop: Header=BB6_10588 Depth=4
	s_or_b64 exec, exec, s[28:29]
	v_mul_f32_e32 v1, v4, v2
	v_and_b32_e32 v2, 0x7f800000, v1
	v_mov_b32_e32 v3, v33
	v_cmp_ne_u64_e32 vcc, s[76:77], v[2:3]
	v_and_b32_e32 v32, 0x7fffff, v1
                                        ; implicit-def: $vgpr2
	buffer_store_dword v2, off, s[0:3], s33 offset:100 ; 4-byte Folded Spill
	s_nop 0
	buffer_store_dword v3, off, s[0:3], s33 offset:104 ; 4-byte Folded Spill
	s_and_saveexec_b64 s[28:29], vcc
	s_xor_b64 s[34:35], exec, s[28:29]
	s_cbranch_execz .LBB6_11516
; %bb.11499:                            ;   in Loop: Header=BB6_10588 Depth=4
	v_and_b32_e32 v2, 0x7fffffff, v1
	v_mov_b32_e32 v3, v33
	v_cmp_gt_u64_e32 vcc, s[78:79], v[2:3]
	v_and_b32_sdwa v5, v1, s97 dst_sel:DWORD dst_unused:UNUSED_PAD src0_sel:BYTE_3 src1_sel:DWORD
                                        ; implicit-def: $vgpr2
	buffer_store_dword v2, off, s[0:3], s33 offset:100 ; 4-byte Folded Spill
	s_nop 0
	buffer_store_dword v3, off, s[0:3], s33 offset:104 ; 4-byte Folded Spill
	s_and_saveexec_b64 s[28:29], vcc
	s_xor_b64 s[36:37], exec, s[28:29]
	s_cbranch_execz .LBB6_11513
; %bb.11500:                            ;   in Loop: Header=BB6_10588 Depth=4
	v_cmp_ne_u32_e32 vcc, 0, v1
	v_mov_b32_e32 v2, 0
	buffer_store_dword v2, off, s[0:3], s33 offset:100 ; 4-byte Folded Spill
	s_nop 0
	buffer_store_dword v3, off, s[0:3], s33 offset:104 ; 4-byte Folded Spill
	s_and_saveexec_b64 s[38:39], vcc
	s_cbranch_execz .LBB6_11512
; %bb.11501:                            ;   in Loop: Header=BB6_10588 Depth=4
	v_bfe_u32 v6, v1, 23, 8
	v_cmp_gt_u32_e64 s[28:29], s47, v6
	v_sub_u32_e32 v1, 0x71, v6
	v_cmp_eq_u32_e32 vcc, 0, v6
	v_cndmask_b32_e64 v1, 0, v1, s[28:29]
	v_mov_b32_e32 v3, 0x70
	v_cndmask_b32_e32 v7, v1, v3, vcc
	v_add_u32_e32 v3, 21, v7
	v_or_b32_e32 v2, 0x800000, v32
	v_lshlrev_b64 v[14:15], v3, -1
	v_cndmask_b32_e32 v1, v2, v32, vcc
	v_mov_b32_e32 v2, v33
	v_add_u32_e32 v3, 20, v7
	v_bfi_b32 v14, v14, 0, v1
	v_lshlrev_b64 v[17:18], v3, 1
	v_lshrrev_b64 v[1:2], v7, v[1:2]
	v_bfi_b32 v15, v15, 0, 0
	v_cmp_eq_u64_e64 s[28:29], v[14:15], v[17:18]
	v_mov_b32_e32 v3, v2
	v_mov_b32_e32 v2, v1
	s_and_saveexec_b64 s[48:49], s[28:29]
; %bb.11502:                            ;   in Loop: Header=BB6_10588 Depth=4
	v_bfe_u32 v2, v1, 21, 1
	v_add_co_u32_e64 v2, s[28:29], v1, v2
	v_add_co_u32_e64 v2, s[28:29], -1, v2
; %bb.11503:                            ;   in Loop: Header=BB6_10588 Depth=4
	s_or_b64 exec, exec, s[48:49]
	v_add_u32_e32 v3, 0xffffff81, v6
	v_mov_b32_e32 v6, 0xffffff82
	v_cndmask_b32_e32 v3, v3, v6, vcc
	v_lshrrev_b32_e32 v6, 23, v1
	v_add3_u32 v7, v7, v3, v6
	v_add_u32_e32 v6, 14, v7
	v_and_b32_e32 v2, 0x1fffff, v2
	v_add_u32_e32 v32, v2, v1
	v_cmp_ne_u32_e32 vcc, 0, v6
                                        ; implicit-def: $vgpr1_vgpr2
                                        ; implicit-def: $vgpr3
	s_and_saveexec_b64 s[28:29], vcc
	s_xor_b64 s[28:29], exec, s[28:29]
; %bb.11504:                            ;   in Loop: Header=BB6_10588 Depth=4
	v_cmp_lt_u64_e32 vcc, s[88:89], v[32:33]
	v_add_u32_e32 v1, 15, v7
	v_cndmask_b32_e32 v3, v6, v1, vcc
	v_cndmask_b32_e64 v1, 0, 1, vcc
	v_lshrrev_b64 v[1:2], v1, v[32:33]
; %bb.11505:                            ;   in Loop: Header=BB6_10588 Depth=4
	s_andn2_saveexec_b64 s[28:29], s[28:29]
; %bb.11506:                            ;   in Loop: Header=BB6_10588 Depth=4
	v_mov_b32_e32 v1, v32
	v_mov_b32_e32 v2, v33
	v_bfe_u32 v3, v32, 23, 1
; %bb.11507:                            ;   in Loop: Header=BB6_10588 Depth=4
	s_or_b64 exec, exec, s[28:29]
	v_lshrrev_b64 v[1:2], 21, v[1:2]
	v_cmp_gt_i32_e32 vcc, 32, v3
	v_cndmask_b32_e32 v2, 0, v2, vcc
	v_cndmask_b32_e32 v1, 3, v1, vcc
	v_cmp_ne_u64_e32 vcc, 0, v[1:2]
	v_cmp_ne_u32_e64 s[28:29], 0, v3
	s_or_b64 s[28:29], s[28:29], vcc
                                        ; implicit-def: $vgpr2
	buffer_store_dword v2, off, s[0:3], s33 offset:100 ; 4-byte Folded Spill
	s_nop 0
	buffer_store_dword v3, off, s[0:3], s33 offset:104 ; 4-byte Folded Spill
	s_and_saveexec_b64 s[62:63], s[28:29]
	s_xor_b64 s[28:29], exec, s[62:63]
	s_cbranch_execz .LBB6_11509
; %bb.11508:                            ;   in Loop: Header=BB6_10588 Depth=4
	v_min_i32_e32 v2, 31, v3
	v_lshl_or_b32 v2, v2, 2, v5
	v_and_or_b32 v1, v1, 3, v2
	buffer_store_dword v1, off, s[0:3], s33 offset:100 ; 4-byte Folded Spill
	s_nop 0
	buffer_store_dword v2, off, s[0:3], s33 offset:104 ; 4-byte Folded Spill
                                        ; implicit-def: $vgpr5
.LBB6_11509:                            ;   in Loop: Header=BB6_10588 Depth=4
	s_andn2_saveexec_b64 s[28:29], s[28:29]
	s_cbranch_execz .LBB6_11511
; %bb.11510:                            ;   in Loop: Header=BB6_10588 Depth=4
	v_mov_b32_e32 v1, v5
	buffer_store_dword v1, off, s[0:3], s33 offset:100 ; 4-byte Folded Spill
	s_nop 0
	buffer_store_dword v2, off, s[0:3], s33 offset:104 ; 4-byte Folded Spill
.LBB6_11511:                            ;   in Loop: Header=BB6_10588 Depth=4
	s_or_b64 exec, exec, s[28:29]
.LBB6_11512:                            ;   in Loop: Header=BB6_10588 Depth=4
	s_or_b64 exec, exec, s[38:39]
                                        ; implicit-def: $vgpr5
.LBB6_11513:                            ;   in Loop: Header=BB6_10588 Depth=4
	s_andn2_saveexec_b64 s[28:29], s[36:37]
	s_cbranch_execz .LBB6_11515
; %bb.11514:                            ;   in Loop: Header=BB6_10588 Depth=4
	v_or_b32_e32 v1, 0x7b, v5
	buffer_store_dword v1, off, s[0:3], s33 offset:100 ; 4-byte Folded Spill
	s_nop 0
	buffer_store_dword v2, off, s[0:3], s33 offset:104 ; 4-byte Folded Spill
.LBB6_11515:                            ;   in Loop: Header=BB6_10588 Depth=4
	s_or_b64 exec, exec, s[28:29]
                                        ; implicit-def: $vgpr1
.LBB6_11516:                            ;   in Loop: Header=BB6_10588 Depth=4
	s_andn2_saveexec_b64 s[28:29], s[34:35]
	s_cbranch_execz .LBB6_11522
; %bb.11517:                            ;   in Loop: Header=BB6_10588 Depth=4
	v_cmp_ne_u64_e32 vcc, 0, v[32:33]
                                        ; implicit-def: $vgpr2
	buffer_store_dword v2, off, s[0:3], s33 offset:100 ; 4-byte Folded Spill
	s_nop 0
	buffer_store_dword v3, off, s[0:3], s33 offset:104 ; 4-byte Folded Spill
	s_and_saveexec_b64 s[62:63], vcc
	s_xor_b64 vcc, exec, s[62:63]
	s_cbranch_execz .LBB6_11519
; %bb.11518:                            ;   in Loop: Header=BB6_10588 Depth=4
	v_or_b32_sdwa v1, v1, s44 dst_sel:DWORD dst_unused:UNUSED_PAD src0_sel:BYTE_3 src1_sel:DWORD
	buffer_store_dword v1, off, s[0:3], s33 offset:100 ; 4-byte Folded Spill
	s_nop 0
	buffer_store_dword v2, off, s[0:3], s33 offset:104 ; 4-byte Folded Spill
                                        ; implicit-def: $vgpr1
.LBB6_11519:                            ;   in Loop: Header=BB6_10588 Depth=4
	s_andn2_saveexec_b64 s[34:35], vcc
	s_cbranch_execz .LBB6_11521
; %bb.11520:                            ;   in Loop: Header=BB6_10588 Depth=4
	v_cmp_lt_i32_e32 vcc, -1, v1
	v_mov_b32_e32 v1, 0x7c
	v_cndmask_b32_e32 v1, -4, v1, vcc
	buffer_store_dword v1, off, s[0:3], s33 offset:100 ; 4-byte Folded Spill
	s_nop 0
	buffer_store_dword v2, off, s[0:3], s33 offset:104 ; 4-byte Folded Spill
.LBB6_11521:                            ;   in Loop: Header=BB6_10588 Depth=4
	s_or_b64 exec, exec, s[34:35]
.LBB6_11522:                            ;   in Loop: Header=BB6_10588 Depth=4
	s_or_b64 exec, exec, s[28:29]
	flat_load_sbyte v1, v[8:9] offset:1856 glc slc
	v_mov_b32_e32 v2, 0
	s_waitcnt vmcnt(0) lgkmcnt(0)
	v_cmp_ne_u16_e32 vcc, 0, v1
	s_and_saveexec_b64 s[28:29], vcc
	s_cbranch_execz .LBB6_11530
; %bb.11523:                            ;   in Loop: Header=BB6_10588 Depth=4
	v_cmp_ne_u16_e32 vcc, s46, v1
	v_bfrev_b32_e32 v2, 1
	s_and_saveexec_b64 s[34:35], vcc
	s_cbranch_execz .LBB6_11529
; %bb.11524:                            ;   in Loop: Header=BB6_10588 Depth=4
	v_and_b32_e32 v2, 0x7c, v1
	v_and_b32_e32 v3, 3, v1
	v_cmp_ne_u32_e32 vcc, s86, v2
                                        ; implicit-def: $vgpr2
	s_and_saveexec_b64 s[62:63], vcc
	s_xor_b64 s[36:37], exec, s[62:63]
	s_cbranch_execz .LBB6_11526
; %bb.11525:                            ;   in Loop: Header=BB6_10588 Depth=4
	v_and_b32_e32 v5, 0xff, v1
	v_bfe_u32 v7, v5, 2, 5
	v_ffbh_u32_e32 v5, v3
	v_min_u32_e32 v14, 32, v5
	v_mov_b32_e32 v2, v33
	v_subrev_u32_e32 v5, 29, v14
	v_lshlrev_b64 v[5:6], v5, v[1:2]
	v_sub_u32_e32 v2, 30, v14
	v_cmp_eq_u32_e32 vcc, 0, v7
	v_and_b32_e32 v5, 3, v5
	v_cndmask_b32_e32 v2, v7, v2, vcc
	v_and_b32_sdwa v1, sext(v1), s87 dst_sel:DWORD dst_unused:UNUSED_PAD src0_sel:WORD_0 src1_sel:DWORD
	v_cndmask_b32_e32 v3, v3, v5, vcc
	v_lshl_add_u32 v1, v2, 23, v1
	v_lshl_or_b32 v1, v3, 21, v1
	v_add_u32_e32 v2, 0x38000000, v1
                                        ; implicit-def: $vgpr3
                                        ; implicit-def: $vgpr1
.LBB6_11526:                            ;   in Loop: Header=BB6_10588 Depth=4
	s_andn2_saveexec_b64 s[36:37], s[36:37]
; %bb.11527:                            ;   in Loop: Header=BB6_10588 Depth=4
	v_cmp_lt_i16_e32 vcc, -1, v1
	v_mov_b32_e32 v1, 0xff800000
	v_mov_b32_e32 v2, 0x7f800000
	v_cndmask_b32_e32 v1, v1, v2, vcc
	v_cmp_eq_u32_e32 vcc, 0, v3
	v_mov_b32_e32 v2, 0x7f800001
	v_cndmask_b32_e32 v2, v2, v1, vcc
; %bb.11528:                            ;   in Loop: Header=BB6_10588 Depth=4
	s_or_b64 exec, exec, s[36:37]
.LBB6_11529:                            ;   in Loop: Header=BB6_10588 Depth=4
	s_or_b64 exec, exec, s[34:35]
.LBB6_11530:                            ;   in Loop: Header=BB6_10588 Depth=4
	s_or_b64 exec, exec, s[28:29]
	v_mul_f32_e32 v1, v4, v2
	v_and_b32_e32 v2, 0x7f800000, v1
	v_mov_b32_e32 v3, v33
	v_cmp_ne_u64_e32 vcc, s[76:77], v[2:3]
	v_and_b32_e32 v32, 0x7fffff, v1
                                        ; implicit-def: $vgpr2
	buffer_store_dword v2, off, s[0:3], s33 offset:92 ; 4-byte Folded Spill
	s_nop 0
	buffer_store_dword v3, off, s[0:3], s33 offset:96 ; 4-byte Folded Spill
	s_and_saveexec_b64 s[28:29], vcc
	s_xor_b64 s[34:35], exec, s[28:29]
	s_cbranch_execz .LBB6_11548
; %bb.11531:                            ;   in Loop: Header=BB6_10588 Depth=4
	v_and_b32_e32 v2, 0x7fffffff, v1
	v_mov_b32_e32 v3, v33
	v_cmp_gt_u64_e32 vcc, s[78:79], v[2:3]
	v_and_b32_sdwa v5, v1, s97 dst_sel:DWORD dst_unused:UNUSED_PAD src0_sel:BYTE_3 src1_sel:DWORD
                                        ; implicit-def: $vgpr2
	buffer_store_dword v2, off, s[0:3], s33 offset:92 ; 4-byte Folded Spill
	s_nop 0
	buffer_store_dword v3, off, s[0:3], s33 offset:96 ; 4-byte Folded Spill
	s_and_saveexec_b64 s[28:29], vcc
	s_xor_b64 s[36:37], exec, s[28:29]
	s_cbranch_execz .LBB6_11545
; %bb.11532:                            ;   in Loop: Header=BB6_10588 Depth=4
	v_cmp_ne_u32_e32 vcc, 0, v1
	v_mov_b32_e32 v2, 0
	buffer_store_dword v2, off, s[0:3], s33 offset:92 ; 4-byte Folded Spill
	s_nop 0
	buffer_store_dword v3, off, s[0:3], s33 offset:96 ; 4-byte Folded Spill
	s_and_saveexec_b64 s[38:39], vcc
	s_cbranch_execz .LBB6_11544
; %bb.11533:                            ;   in Loop: Header=BB6_10588 Depth=4
	v_bfe_u32 v6, v1, 23, 8
	v_cmp_gt_u32_e64 s[28:29], s47, v6
	v_sub_u32_e32 v1, 0x71, v6
	v_cmp_eq_u32_e32 vcc, 0, v6
	v_cndmask_b32_e64 v1, 0, v1, s[28:29]
	v_mov_b32_e32 v3, 0x70
	v_cndmask_b32_e32 v7, v1, v3, vcc
	v_add_u32_e32 v3, 21, v7
	v_or_b32_e32 v2, 0x800000, v32
	v_lshlrev_b64 v[14:15], v3, -1
	v_cndmask_b32_e32 v1, v2, v32, vcc
	v_mov_b32_e32 v2, v33
	v_add_u32_e32 v3, 20, v7
	v_bfi_b32 v14, v14, 0, v1
	v_lshlrev_b64 v[17:18], v3, 1
	v_lshrrev_b64 v[1:2], v7, v[1:2]
	v_bfi_b32 v15, v15, 0, 0
	v_cmp_eq_u64_e64 s[28:29], v[14:15], v[17:18]
	v_mov_b32_e32 v3, v2
	v_mov_b32_e32 v2, v1
	s_and_saveexec_b64 s[48:49], s[28:29]
; %bb.11534:                            ;   in Loop: Header=BB6_10588 Depth=4
	v_bfe_u32 v2, v1, 21, 1
	v_add_co_u32_e64 v2, s[28:29], v1, v2
	v_add_co_u32_e64 v2, s[28:29], -1, v2
; %bb.11535:                            ;   in Loop: Header=BB6_10588 Depth=4
	s_or_b64 exec, exec, s[48:49]
	v_add_u32_e32 v3, 0xffffff81, v6
	v_mov_b32_e32 v6, 0xffffff82
	v_cndmask_b32_e32 v3, v3, v6, vcc
	v_lshrrev_b32_e32 v6, 23, v1
	v_add3_u32 v7, v7, v3, v6
	v_add_u32_e32 v6, 14, v7
	v_and_b32_e32 v2, 0x1fffff, v2
	v_add_u32_e32 v32, v2, v1
	v_cmp_ne_u32_e32 vcc, 0, v6
                                        ; implicit-def: $vgpr1_vgpr2
                                        ; implicit-def: $vgpr3
	s_and_saveexec_b64 s[28:29], vcc
	s_xor_b64 s[28:29], exec, s[28:29]
; %bb.11536:                            ;   in Loop: Header=BB6_10588 Depth=4
	v_cmp_lt_u64_e32 vcc, s[88:89], v[32:33]
	v_add_u32_e32 v1, 15, v7
	v_cndmask_b32_e32 v3, v6, v1, vcc
	v_cndmask_b32_e64 v1, 0, 1, vcc
	v_lshrrev_b64 v[1:2], v1, v[32:33]
; %bb.11537:                            ;   in Loop: Header=BB6_10588 Depth=4
	s_andn2_saveexec_b64 s[28:29], s[28:29]
; %bb.11538:                            ;   in Loop: Header=BB6_10588 Depth=4
	v_mov_b32_e32 v1, v32
	v_mov_b32_e32 v2, v33
	v_bfe_u32 v3, v32, 23, 1
; %bb.11539:                            ;   in Loop: Header=BB6_10588 Depth=4
	s_or_b64 exec, exec, s[28:29]
	v_lshrrev_b64 v[1:2], 21, v[1:2]
	v_cmp_gt_i32_e32 vcc, 32, v3
	v_cndmask_b32_e32 v2, 0, v2, vcc
	v_cndmask_b32_e32 v1, 3, v1, vcc
	v_cmp_ne_u64_e32 vcc, 0, v[1:2]
	v_cmp_ne_u32_e64 s[28:29], 0, v3
	s_or_b64 s[28:29], s[28:29], vcc
                                        ; implicit-def: $vgpr2
	buffer_store_dword v2, off, s[0:3], s33 offset:92 ; 4-byte Folded Spill
	s_nop 0
	buffer_store_dword v3, off, s[0:3], s33 offset:96 ; 4-byte Folded Spill
	s_and_saveexec_b64 s[62:63], s[28:29]
	s_xor_b64 s[28:29], exec, s[62:63]
	s_cbranch_execz .LBB6_11541
; %bb.11540:                            ;   in Loop: Header=BB6_10588 Depth=4
	v_min_i32_e32 v2, 31, v3
	v_lshl_or_b32 v2, v2, 2, v5
	v_and_or_b32 v1, v1, 3, v2
	buffer_store_dword v1, off, s[0:3], s33 offset:92 ; 4-byte Folded Spill
	s_nop 0
	buffer_store_dword v2, off, s[0:3], s33 offset:96 ; 4-byte Folded Spill
                                        ; implicit-def: $vgpr5
.LBB6_11541:                            ;   in Loop: Header=BB6_10588 Depth=4
	s_andn2_saveexec_b64 s[28:29], s[28:29]
	s_cbranch_execz .LBB6_11543
; %bb.11542:                            ;   in Loop: Header=BB6_10588 Depth=4
	v_mov_b32_e32 v1, v5
	buffer_store_dword v1, off, s[0:3], s33 offset:92 ; 4-byte Folded Spill
	s_nop 0
	buffer_store_dword v2, off, s[0:3], s33 offset:96 ; 4-byte Folded Spill
.LBB6_11543:                            ;   in Loop: Header=BB6_10588 Depth=4
	s_or_b64 exec, exec, s[28:29]
.LBB6_11544:                            ;   in Loop: Header=BB6_10588 Depth=4
	s_or_b64 exec, exec, s[38:39]
                                        ; implicit-def: $vgpr5
.LBB6_11545:                            ;   in Loop: Header=BB6_10588 Depth=4
	s_andn2_saveexec_b64 s[28:29], s[36:37]
	s_cbranch_execz .LBB6_11547
; %bb.11546:                            ;   in Loop: Header=BB6_10588 Depth=4
	v_or_b32_e32 v1, 0x7b, v5
	buffer_store_dword v1, off, s[0:3], s33 offset:92 ; 4-byte Folded Spill
	s_nop 0
	buffer_store_dword v2, off, s[0:3], s33 offset:96 ; 4-byte Folded Spill
.LBB6_11547:                            ;   in Loop: Header=BB6_10588 Depth=4
	s_or_b64 exec, exec, s[28:29]
                                        ; implicit-def: $vgpr1
.LBB6_11548:                            ;   in Loop: Header=BB6_10588 Depth=4
	s_andn2_saveexec_b64 s[28:29], s[34:35]
	s_cbranch_execz .LBB6_11554
; %bb.11549:                            ;   in Loop: Header=BB6_10588 Depth=4
	v_cmp_ne_u64_e32 vcc, 0, v[32:33]
                                        ; implicit-def: $vgpr2
	buffer_store_dword v2, off, s[0:3], s33 offset:92 ; 4-byte Folded Spill
	s_nop 0
	buffer_store_dword v3, off, s[0:3], s33 offset:96 ; 4-byte Folded Spill
	s_and_saveexec_b64 s[62:63], vcc
	s_xor_b64 vcc, exec, s[62:63]
	s_cbranch_execz .LBB6_11551
; %bb.11550:                            ;   in Loop: Header=BB6_10588 Depth=4
	v_or_b32_sdwa v1, v1, s44 dst_sel:DWORD dst_unused:UNUSED_PAD src0_sel:BYTE_3 src1_sel:DWORD
	buffer_store_dword v1, off, s[0:3], s33 offset:92 ; 4-byte Folded Spill
	s_nop 0
	buffer_store_dword v2, off, s[0:3], s33 offset:96 ; 4-byte Folded Spill
                                        ; implicit-def: $vgpr1
.LBB6_11551:                            ;   in Loop: Header=BB6_10588 Depth=4
	s_andn2_saveexec_b64 s[34:35], vcc
	s_cbranch_execz .LBB6_11553
; %bb.11552:                            ;   in Loop: Header=BB6_10588 Depth=4
	v_cmp_lt_i32_e32 vcc, -1, v1
	v_mov_b32_e32 v1, 0x7c
	v_cndmask_b32_e32 v1, -4, v1, vcc
	buffer_store_dword v1, off, s[0:3], s33 offset:92 ; 4-byte Folded Spill
	s_nop 0
	buffer_store_dword v2, off, s[0:3], s33 offset:96 ; 4-byte Folded Spill
.LBB6_11553:                            ;   in Loop: Header=BB6_10588 Depth=4
	s_or_b64 exec, exec, s[34:35]
.LBB6_11554:                            ;   in Loop: Header=BB6_10588 Depth=4
	s_or_b64 exec, exec, s[28:29]
	flat_load_sbyte v1, v[8:9] offset:1920 glc slc
	v_mov_b32_e32 v2, 0
	s_waitcnt vmcnt(0) lgkmcnt(0)
	v_cmp_ne_u16_e32 vcc, 0, v1
	s_and_saveexec_b64 s[28:29], vcc
	s_cbranch_execz .LBB6_11562
; %bb.11555:                            ;   in Loop: Header=BB6_10588 Depth=4
	v_cmp_ne_u16_e32 vcc, s46, v1
	v_bfrev_b32_e32 v2, 1
	s_and_saveexec_b64 s[34:35], vcc
	s_cbranch_execz .LBB6_11561
; %bb.11556:                            ;   in Loop: Header=BB6_10588 Depth=4
	v_and_b32_e32 v2, 0x7c, v1
	v_and_b32_e32 v3, 3, v1
	v_cmp_ne_u32_e32 vcc, s86, v2
                                        ; implicit-def: $vgpr2
	s_and_saveexec_b64 s[62:63], vcc
	s_xor_b64 s[36:37], exec, s[62:63]
	s_cbranch_execz .LBB6_11558
; %bb.11557:                            ;   in Loop: Header=BB6_10588 Depth=4
	v_and_b32_e32 v5, 0xff, v1
	v_bfe_u32 v7, v5, 2, 5
	v_ffbh_u32_e32 v5, v3
	v_min_u32_e32 v14, 32, v5
	v_mov_b32_e32 v2, v33
	v_subrev_u32_e32 v5, 29, v14
	v_lshlrev_b64 v[5:6], v5, v[1:2]
	v_sub_u32_e32 v2, 30, v14
	v_cmp_eq_u32_e32 vcc, 0, v7
	v_and_b32_e32 v5, 3, v5
	v_cndmask_b32_e32 v2, v7, v2, vcc
	v_and_b32_sdwa v1, sext(v1), s87 dst_sel:DWORD dst_unused:UNUSED_PAD src0_sel:WORD_0 src1_sel:DWORD
	v_cndmask_b32_e32 v3, v3, v5, vcc
	v_lshl_add_u32 v1, v2, 23, v1
	v_lshl_or_b32 v1, v3, 21, v1
	v_add_u32_e32 v2, 0x38000000, v1
                                        ; implicit-def: $vgpr3
                                        ; implicit-def: $vgpr1
.LBB6_11558:                            ;   in Loop: Header=BB6_10588 Depth=4
	s_andn2_saveexec_b64 s[36:37], s[36:37]
; %bb.11559:                            ;   in Loop: Header=BB6_10588 Depth=4
	v_cmp_lt_i16_e32 vcc, -1, v1
	v_mov_b32_e32 v1, 0xff800000
	v_mov_b32_e32 v2, 0x7f800000
	v_cndmask_b32_e32 v1, v1, v2, vcc
	v_cmp_eq_u32_e32 vcc, 0, v3
	v_mov_b32_e32 v2, 0x7f800001
	v_cndmask_b32_e32 v2, v2, v1, vcc
; %bb.11560:                            ;   in Loop: Header=BB6_10588 Depth=4
	s_or_b64 exec, exec, s[36:37]
.LBB6_11561:                            ;   in Loop: Header=BB6_10588 Depth=4
	s_or_b64 exec, exec, s[34:35]
.LBB6_11562:                            ;   in Loop: Header=BB6_10588 Depth=4
	s_or_b64 exec, exec, s[28:29]
	v_mul_f32_e32 v1, v4, v2
	v_and_b32_e32 v2, 0x7f800000, v1
	v_mov_b32_e32 v3, v33
	v_cmp_ne_u64_e32 vcc, s[76:77], v[2:3]
	v_and_b32_e32 v32, 0x7fffff, v1
                                        ; implicit-def: $vgpr2
	buffer_store_dword v2, off, s[0:3], s33 offset:84 ; 4-byte Folded Spill
	s_nop 0
	buffer_store_dword v3, off, s[0:3], s33 offset:88 ; 4-byte Folded Spill
	s_and_saveexec_b64 s[28:29], vcc
	s_xor_b64 s[34:35], exec, s[28:29]
	s_cbranch_execz .LBB6_11580
; %bb.11563:                            ;   in Loop: Header=BB6_10588 Depth=4
	v_and_b32_e32 v2, 0x7fffffff, v1
	v_mov_b32_e32 v3, v33
	v_cmp_gt_u64_e32 vcc, s[78:79], v[2:3]
	v_and_b32_sdwa v5, v1, s97 dst_sel:DWORD dst_unused:UNUSED_PAD src0_sel:BYTE_3 src1_sel:DWORD
                                        ; implicit-def: $vgpr2
	buffer_store_dword v2, off, s[0:3], s33 offset:84 ; 4-byte Folded Spill
	s_nop 0
	buffer_store_dword v3, off, s[0:3], s33 offset:88 ; 4-byte Folded Spill
	s_and_saveexec_b64 s[28:29], vcc
	s_xor_b64 s[36:37], exec, s[28:29]
	s_cbranch_execz .LBB6_11577
; %bb.11564:                            ;   in Loop: Header=BB6_10588 Depth=4
	v_cmp_ne_u32_e32 vcc, 0, v1
	v_mov_b32_e32 v2, 0
	buffer_store_dword v2, off, s[0:3], s33 offset:84 ; 4-byte Folded Spill
	s_nop 0
	buffer_store_dword v3, off, s[0:3], s33 offset:88 ; 4-byte Folded Spill
	s_and_saveexec_b64 s[38:39], vcc
	s_cbranch_execz .LBB6_11576
; %bb.11565:                            ;   in Loop: Header=BB6_10588 Depth=4
	v_bfe_u32 v6, v1, 23, 8
	v_cmp_gt_u32_e64 s[28:29], s47, v6
	v_sub_u32_e32 v1, 0x71, v6
	v_cmp_eq_u32_e32 vcc, 0, v6
	v_cndmask_b32_e64 v1, 0, v1, s[28:29]
	v_mov_b32_e32 v3, 0x70
	v_cndmask_b32_e32 v7, v1, v3, vcc
	v_add_u32_e32 v3, 21, v7
	v_or_b32_e32 v2, 0x800000, v32
	v_lshlrev_b64 v[14:15], v3, -1
	v_cndmask_b32_e32 v1, v2, v32, vcc
	v_mov_b32_e32 v2, v33
	v_add_u32_e32 v3, 20, v7
	v_bfi_b32 v14, v14, 0, v1
	v_lshlrev_b64 v[17:18], v3, 1
	v_lshrrev_b64 v[1:2], v7, v[1:2]
	v_bfi_b32 v15, v15, 0, 0
	v_cmp_eq_u64_e64 s[28:29], v[14:15], v[17:18]
	v_mov_b32_e32 v3, v2
	v_mov_b32_e32 v2, v1
	s_and_saveexec_b64 s[48:49], s[28:29]
; %bb.11566:                            ;   in Loop: Header=BB6_10588 Depth=4
	v_bfe_u32 v2, v1, 21, 1
	v_add_co_u32_e64 v2, s[28:29], v1, v2
	v_add_co_u32_e64 v2, s[28:29], -1, v2
; %bb.11567:                            ;   in Loop: Header=BB6_10588 Depth=4
	s_or_b64 exec, exec, s[48:49]
	v_add_u32_e32 v3, 0xffffff81, v6
	v_mov_b32_e32 v6, 0xffffff82
	v_cndmask_b32_e32 v3, v3, v6, vcc
	v_lshrrev_b32_e32 v6, 23, v1
	v_add3_u32 v7, v7, v3, v6
	v_add_u32_e32 v6, 14, v7
	v_and_b32_e32 v2, 0x1fffff, v2
	v_add_u32_e32 v32, v2, v1
	v_cmp_ne_u32_e32 vcc, 0, v6
                                        ; implicit-def: $vgpr1_vgpr2
                                        ; implicit-def: $vgpr3
	s_and_saveexec_b64 s[28:29], vcc
	s_xor_b64 s[28:29], exec, s[28:29]
; %bb.11568:                            ;   in Loop: Header=BB6_10588 Depth=4
	v_cmp_lt_u64_e32 vcc, s[88:89], v[32:33]
	v_add_u32_e32 v1, 15, v7
	v_cndmask_b32_e32 v3, v6, v1, vcc
	v_cndmask_b32_e64 v1, 0, 1, vcc
	v_lshrrev_b64 v[1:2], v1, v[32:33]
; %bb.11569:                            ;   in Loop: Header=BB6_10588 Depth=4
	s_andn2_saveexec_b64 s[28:29], s[28:29]
; %bb.11570:                            ;   in Loop: Header=BB6_10588 Depth=4
	v_mov_b32_e32 v1, v32
	v_mov_b32_e32 v2, v33
	v_bfe_u32 v3, v32, 23, 1
; %bb.11571:                            ;   in Loop: Header=BB6_10588 Depth=4
	s_or_b64 exec, exec, s[28:29]
	v_lshrrev_b64 v[1:2], 21, v[1:2]
	v_cmp_gt_i32_e32 vcc, 32, v3
	v_cndmask_b32_e32 v2, 0, v2, vcc
	v_cndmask_b32_e32 v1, 3, v1, vcc
	v_cmp_ne_u64_e32 vcc, 0, v[1:2]
	v_cmp_ne_u32_e64 s[28:29], 0, v3
	s_or_b64 s[28:29], s[28:29], vcc
                                        ; implicit-def: $vgpr2
	buffer_store_dword v2, off, s[0:3], s33 offset:84 ; 4-byte Folded Spill
	s_nop 0
	buffer_store_dword v3, off, s[0:3], s33 offset:88 ; 4-byte Folded Spill
	s_and_saveexec_b64 s[62:63], s[28:29]
	s_xor_b64 s[28:29], exec, s[62:63]
	s_cbranch_execz .LBB6_11573
; %bb.11572:                            ;   in Loop: Header=BB6_10588 Depth=4
	v_min_i32_e32 v2, 31, v3
	v_lshl_or_b32 v2, v2, 2, v5
	v_and_or_b32 v1, v1, 3, v2
	buffer_store_dword v1, off, s[0:3], s33 offset:84 ; 4-byte Folded Spill
	s_nop 0
	buffer_store_dword v2, off, s[0:3], s33 offset:88 ; 4-byte Folded Spill
                                        ; implicit-def: $vgpr5
.LBB6_11573:                            ;   in Loop: Header=BB6_10588 Depth=4
	s_andn2_saveexec_b64 s[28:29], s[28:29]
	s_cbranch_execz .LBB6_11575
; %bb.11574:                            ;   in Loop: Header=BB6_10588 Depth=4
	v_mov_b32_e32 v1, v5
	buffer_store_dword v1, off, s[0:3], s33 offset:84 ; 4-byte Folded Spill
	s_nop 0
	buffer_store_dword v2, off, s[0:3], s33 offset:88 ; 4-byte Folded Spill
.LBB6_11575:                            ;   in Loop: Header=BB6_10588 Depth=4
	s_or_b64 exec, exec, s[28:29]
.LBB6_11576:                            ;   in Loop: Header=BB6_10588 Depth=4
	s_or_b64 exec, exec, s[38:39]
                                        ; implicit-def: $vgpr5
.LBB6_11577:                            ;   in Loop: Header=BB6_10588 Depth=4
	s_andn2_saveexec_b64 s[28:29], s[36:37]
	s_cbranch_execz .LBB6_11579
; %bb.11578:                            ;   in Loop: Header=BB6_10588 Depth=4
	v_or_b32_e32 v1, 0x7b, v5
	buffer_store_dword v1, off, s[0:3], s33 offset:84 ; 4-byte Folded Spill
	s_nop 0
	buffer_store_dword v2, off, s[0:3], s33 offset:88 ; 4-byte Folded Spill
.LBB6_11579:                            ;   in Loop: Header=BB6_10588 Depth=4
	s_or_b64 exec, exec, s[28:29]
                                        ; implicit-def: $vgpr1
.LBB6_11580:                            ;   in Loop: Header=BB6_10588 Depth=4
	s_andn2_saveexec_b64 s[28:29], s[34:35]
	s_cbranch_execz .LBB6_11586
; %bb.11581:                            ;   in Loop: Header=BB6_10588 Depth=4
	v_cmp_ne_u64_e32 vcc, 0, v[32:33]
                                        ; implicit-def: $vgpr2
	buffer_store_dword v2, off, s[0:3], s33 offset:84 ; 4-byte Folded Spill
	s_nop 0
	buffer_store_dword v3, off, s[0:3], s33 offset:88 ; 4-byte Folded Spill
	s_and_saveexec_b64 s[62:63], vcc
	s_xor_b64 vcc, exec, s[62:63]
	s_cbranch_execz .LBB6_11583
; %bb.11582:                            ;   in Loop: Header=BB6_10588 Depth=4
	v_or_b32_sdwa v1, v1, s44 dst_sel:DWORD dst_unused:UNUSED_PAD src0_sel:BYTE_3 src1_sel:DWORD
	buffer_store_dword v1, off, s[0:3], s33 offset:84 ; 4-byte Folded Spill
	s_nop 0
	buffer_store_dword v2, off, s[0:3], s33 offset:88 ; 4-byte Folded Spill
                                        ; implicit-def: $vgpr1
.LBB6_11583:                            ;   in Loop: Header=BB6_10588 Depth=4
	s_andn2_saveexec_b64 s[34:35], vcc
	s_cbranch_execz .LBB6_11585
; %bb.11584:                            ;   in Loop: Header=BB6_10588 Depth=4
	v_cmp_lt_i32_e32 vcc, -1, v1
	v_mov_b32_e32 v1, 0x7c
	v_cndmask_b32_e32 v1, -4, v1, vcc
	buffer_store_dword v1, off, s[0:3], s33 offset:84 ; 4-byte Folded Spill
	s_nop 0
	buffer_store_dword v2, off, s[0:3], s33 offset:88 ; 4-byte Folded Spill
.LBB6_11585:                            ;   in Loop: Header=BB6_10588 Depth=4
	s_or_b64 exec, exec, s[34:35]
.LBB6_11586:                            ;   in Loop: Header=BB6_10588 Depth=4
	s_or_b64 exec, exec, s[28:29]
	flat_load_sbyte v1, v[8:9] offset:1984 glc slc
	v_mov_b32_e32 v2, 0
	s_waitcnt vmcnt(0) lgkmcnt(0)
	v_cmp_ne_u16_e32 vcc, 0, v1
	s_and_saveexec_b64 s[28:29], vcc
	s_cbranch_execz .LBB6_11594
; %bb.11587:                            ;   in Loop: Header=BB6_10588 Depth=4
	v_cmp_ne_u16_e32 vcc, s46, v1
	v_bfrev_b32_e32 v2, 1
	s_and_saveexec_b64 s[34:35], vcc
	s_cbranch_execz .LBB6_11593
; %bb.11588:                            ;   in Loop: Header=BB6_10588 Depth=4
	v_and_b32_e32 v2, 0x7c, v1
	v_and_b32_e32 v3, 3, v1
	v_cmp_ne_u32_e32 vcc, s86, v2
                                        ; implicit-def: $vgpr2
	s_and_saveexec_b64 s[62:63], vcc
	s_xor_b64 s[36:37], exec, s[62:63]
	s_cbranch_execz .LBB6_11590
; %bb.11589:                            ;   in Loop: Header=BB6_10588 Depth=4
	v_and_b32_e32 v5, 0xff, v1
	v_bfe_u32 v7, v5, 2, 5
	v_ffbh_u32_e32 v5, v3
	v_min_u32_e32 v14, 32, v5
	v_mov_b32_e32 v2, v33
	v_subrev_u32_e32 v5, 29, v14
	v_lshlrev_b64 v[5:6], v5, v[1:2]
	v_sub_u32_e32 v2, 30, v14
	v_cmp_eq_u32_e32 vcc, 0, v7
	v_and_b32_e32 v5, 3, v5
	v_cndmask_b32_e32 v2, v7, v2, vcc
	v_and_b32_sdwa v1, sext(v1), s87 dst_sel:DWORD dst_unused:UNUSED_PAD src0_sel:WORD_0 src1_sel:DWORD
	v_cndmask_b32_e32 v3, v3, v5, vcc
	v_lshl_add_u32 v1, v2, 23, v1
	v_lshl_or_b32 v1, v3, 21, v1
	v_add_u32_e32 v2, 0x38000000, v1
                                        ; implicit-def: $vgpr3
                                        ; implicit-def: $vgpr1
.LBB6_11590:                            ;   in Loop: Header=BB6_10588 Depth=4
	s_andn2_saveexec_b64 s[36:37], s[36:37]
; %bb.11591:                            ;   in Loop: Header=BB6_10588 Depth=4
	v_cmp_lt_i16_e32 vcc, -1, v1
	v_mov_b32_e32 v1, 0xff800000
	v_mov_b32_e32 v2, 0x7f800000
	v_cndmask_b32_e32 v1, v1, v2, vcc
	v_cmp_eq_u32_e32 vcc, 0, v3
	v_mov_b32_e32 v2, 0x7f800001
	v_cndmask_b32_e32 v2, v2, v1, vcc
; %bb.11592:                            ;   in Loop: Header=BB6_10588 Depth=4
	s_or_b64 exec, exec, s[36:37]
.LBB6_11593:                            ;   in Loop: Header=BB6_10588 Depth=4
	s_or_b64 exec, exec, s[34:35]
.LBB6_11594:                            ;   in Loop: Header=BB6_10588 Depth=4
	s_or_b64 exec, exec, s[28:29]
	v_mul_f32_e32 v1, v4, v2
	v_and_b32_e32 v2, 0x7f800000, v1
	v_mov_b32_e32 v3, v33
	v_cmp_ne_u64_e32 vcc, s[76:77], v[2:3]
	v_and_b32_e32 v32, 0x7fffff, v1
                                        ; implicit-def: $vgpr45
	s_and_saveexec_b64 s[28:29], vcc
	s_xor_b64 s[34:35], exec, s[28:29]
	s_cbranch_execz .LBB6_11612
; %bb.11595:                            ;   in Loop: Header=BB6_10588 Depth=4
	v_and_b32_e32 v2, 0x7fffffff, v1
	v_mov_b32_e32 v3, v33
	v_cmp_gt_u64_e32 vcc, s[78:79], v[2:3]
	v_and_b32_sdwa v4, v1, s97 dst_sel:DWORD dst_unused:UNUSED_PAD src0_sel:BYTE_3 src1_sel:DWORD
                                        ; implicit-def: $vgpr45
	s_and_saveexec_b64 s[28:29], vcc
	s_xor_b64 s[36:37], exec, s[28:29]
	s_cbranch_execz .LBB6_11609
; %bb.11596:                            ;   in Loop: Header=BB6_10588 Depth=4
	v_cmp_ne_u32_e32 vcc, 0, v1
	v_mov_b32_e32 v45, 0
	s_and_saveexec_b64 s[38:39], vcc
	s_cbranch_execz .LBB6_11608
; %bb.11597:                            ;   in Loop: Header=BB6_10588 Depth=4
	v_bfe_u32 v5, v1, 23, 8
	v_cmp_gt_u32_e64 s[28:29], s47, v5
	v_sub_u32_e32 v1, 0x71, v5
	v_cmp_eq_u32_e32 vcc, 0, v5
	v_cndmask_b32_e64 v1, 0, v1, s[28:29]
	v_mov_b32_e32 v3, 0x70
	v_cndmask_b32_e32 v6, v1, v3, vcc
	v_add_u32_e32 v3, 21, v6
	v_or_b32_e32 v2, 0x800000, v32
	v_lshlrev_b64 v[14:15], v3, -1
	v_cndmask_b32_e32 v1, v2, v32, vcc
	v_mov_b32_e32 v2, v33
	v_add_u32_e32 v3, 20, v6
	v_bfi_b32 v14, v14, 0, v1
	v_lshlrev_b64 v[17:18], v3, 1
	v_lshrrev_b64 v[1:2], v6, v[1:2]
	v_bfi_b32 v15, v15, 0, 0
	v_cmp_eq_u64_e64 s[28:29], v[14:15], v[17:18]
	v_mov_b32_e32 v3, v2
	v_mov_b32_e32 v2, v1
	s_and_saveexec_b64 s[48:49], s[28:29]
; %bb.11598:                            ;   in Loop: Header=BB6_10588 Depth=4
	v_bfe_u32 v2, v1, 21, 1
	v_add_co_u32_e64 v2, s[28:29], v1, v2
	v_add_co_u32_e64 v2, s[28:29], -1, v2
; %bb.11599:                            ;   in Loop: Header=BB6_10588 Depth=4
	s_or_b64 exec, exec, s[48:49]
	v_add_u32_e32 v3, 0xffffff81, v5
	v_mov_b32_e32 v5, 0xffffff82
	v_cndmask_b32_e32 v3, v3, v5, vcc
	v_lshrrev_b32_e32 v5, 23, v1
	v_add3_u32 v6, v6, v3, v5
	v_add_u32_e32 v5, 14, v6
	v_and_b32_e32 v2, 0x1fffff, v2
	v_add_u32_e32 v32, v2, v1
	v_cmp_ne_u32_e32 vcc, 0, v5
                                        ; implicit-def: $vgpr1_vgpr2
                                        ; implicit-def: $vgpr3
	s_and_saveexec_b64 s[28:29], vcc
	s_xor_b64 s[28:29], exec, s[28:29]
; %bb.11600:                            ;   in Loop: Header=BB6_10588 Depth=4
	v_cmp_lt_u64_e32 vcc, s[88:89], v[32:33]
	v_add_u32_e32 v1, 15, v6
	v_cndmask_b32_e32 v3, v5, v1, vcc
	v_cndmask_b32_e64 v1, 0, 1, vcc
	v_lshrrev_b64 v[1:2], v1, v[32:33]
; %bb.11601:                            ;   in Loop: Header=BB6_10588 Depth=4
	s_andn2_saveexec_b64 s[28:29], s[28:29]
; %bb.11602:                            ;   in Loop: Header=BB6_10588 Depth=4
	v_mov_b32_e32 v1, v32
	v_mov_b32_e32 v2, v33
	v_bfe_u32 v3, v32, 23, 1
; %bb.11603:                            ;   in Loop: Header=BB6_10588 Depth=4
	s_or_b64 exec, exec, s[28:29]
	v_lshrrev_b64 v[1:2], 21, v[1:2]
	v_cmp_gt_i32_e32 vcc, 32, v3
	v_cndmask_b32_e32 v2, 0, v2, vcc
	v_cndmask_b32_e32 v1, 3, v1, vcc
	v_cmp_ne_u64_e32 vcc, 0, v[1:2]
	v_cmp_ne_u32_e64 s[28:29], 0, v3
	s_or_b64 s[28:29], s[28:29], vcc
                                        ; implicit-def: $vgpr45
	s_and_saveexec_b64 s[62:63], s[28:29]
	s_xor_b64 s[28:29], exec, s[62:63]
; %bb.11604:                            ;   in Loop: Header=BB6_10588 Depth=4
	v_min_i32_e32 v2, 31, v3
	v_lshl_or_b32 v2, v2, 2, v4
	v_and_or_b32 v45, v1, 3, v2
                                        ; implicit-def: $vgpr4
; %bb.11605:                            ;   in Loop: Header=BB6_10588 Depth=4
	s_andn2_saveexec_b64 s[28:29], s[28:29]
; %bb.11606:                            ;   in Loop: Header=BB6_10588 Depth=4
	v_mov_b32_e32 v45, v4
; %bb.11607:                            ;   in Loop: Header=BB6_10588 Depth=4
	s_or_b64 exec, exec, s[28:29]
.LBB6_11608:                            ;   in Loop: Header=BB6_10588 Depth=4
	s_or_b64 exec, exec, s[38:39]
                                        ; implicit-def: $vgpr4
.LBB6_11609:                            ;   in Loop: Header=BB6_10588 Depth=4
	s_andn2_saveexec_b64 s[28:29], s[36:37]
; %bb.11610:                            ;   in Loop: Header=BB6_10588 Depth=4
	v_or_b32_e32 v45, 0x7b, v4
; %bb.11611:                            ;   in Loop: Header=BB6_10588 Depth=4
	s_or_b64 exec, exec, s[28:29]
                                        ; implicit-def: $vgpr1
.LBB6_11612:                            ;   in Loop: Header=BB6_10588 Depth=4
	s_andn2_saveexec_b64 s[28:29], s[34:35]
	s_cbranch_execz .LBB6_11618
; %bb.11613:                            ;   in Loop: Header=BB6_10588 Depth=4
	v_cmp_ne_u64_e32 vcc, 0, v[32:33]
                                        ; implicit-def: $vgpr45
	s_and_saveexec_b64 s[62:63], vcc
	s_xor_b64 vcc, exec, s[62:63]
; %bb.11614:                            ;   in Loop: Header=BB6_10588 Depth=4
	v_or_b32_sdwa v45, v1, s44 dst_sel:DWORD dst_unused:UNUSED_PAD src0_sel:BYTE_3 src1_sel:DWORD
                                        ; implicit-def: $vgpr1
; %bb.11615:                            ;   in Loop: Header=BB6_10588 Depth=4
	s_andn2_saveexec_b64 s[34:35], vcc
; %bb.11616:                            ;   in Loop: Header=BB6_10588 Depth=4
	v_cmp_lt_i32_e32 vcc, -1, v1
	v_mov_b32_e32 v1, 0x7c
	v_cndmask_b32_e32 v45, -4, v1, vcc
; %bb.11617:                            ;   in Loop: Header=BB6_10588 Depth=4
	s_or_b64 exec, exec, s[34:35]
.LBB6_11618:                            ;   in Loop: Header=BB6_10588 Depth=4
	s_or_b64 exec, exec, s[28:29]
	flat_load_sbyte v53, v[10:11] glc slc
	flat_load_sbyte v37, v[10:11] offset:64 glc slc
	flat_load_sbyte v50, v[10:11] offset:128 glc slc
	;; [unrolled: 1-line block ×31, first 2 shown]
	v_and_b32_e32 v7, 0xff, v51
	v_mov_b32_e32 v2, 0
	v_mov_b32_e32 v5, 0
	v_cmp_ne_u16_e32 vcc, 0, v7
	s_mov_b64 s[28:29], exec
	s_and_b64 s[62:63], s[28:29], vcc
	s_waitcnt vmcnt(0) lgkmcnt(0)
	v_mov_b32_e32 v17, v54
	buffer_store_dword v17, off, s[0:3], s33 offset:268 ; 4-byte Folded Spill
	s_nop 0
	buffer_store_dword v18, off, s[0:3], s33 offset:272 ; 4-byte Folded Spill
	s_mov_b64 exec, s[62:63]
	s_cbranch_execz .LBB6_11626
; %bb.11619:                            ;   in Loop: Header=BB6_10588 Depth=4
	v_cmp_ne_u16_e32 vcc, s97, v7
	v_bfrev_b32_e32 v5, 1
	s_and_saveexec_b64 s[34:35], vcc
	s_cbranch_execz .LBB6_11625
; %bb.11620:                            ;   in Loop: Header=BB6_10588 Depth=4
	v_and_b32_e32 v5, 0x7c, v51
	v_and_b32_e32 v17, 3, v51
	v_cmp_ne_u32_e32 vcc, s86, v5
                                        ; implicit-def: $vgpr5
	s_and_saveexec_b64 s[62:63], vcc
	s_xor_b64 s[36:37], exec, s[62:63]
	s_cbranch_execz .LBB6_11622
; %bb.11621:                            ;   in Loop: Header=BB6_10588 Depth=4
	v_bfe_u32 v5, v7, 2, 5
	v_ffbh_u32_e32 v7, v17
	v_min_u32_e32 v7, 32, v7
	v_mov_b32_e32 v52, v33
	v_subrev_u32_e32 v25, 29, v7
	v_lshlrev_b64 v[54:55], v25, v[51:52]
	v_sub_u32_e32 v7, 30, v7
	v_and_b32_e32 v25, 3, v54
	buffer_load_dword v54, off, s[0:3], s33 offset:268 ; 4-byte Folded Reload
	buffer_load_dword v55, off, s[0:3], s33 offset:272 ; 4-byte Folded Reload
	v_cmp_eq_u32_e32 vcc, 0, v5
	v_cndmask_b32_e32 v5, v5, v7, vcc
	v_cndmask_b32_e32 v7, v17, v25, vcc
	v_lshlrev_b32_e32 v17, 24, v51
	v_and_b32_e32 v17, 0x80000000, v17
	v_lshl_add_u32 v5, v5, 23, v17
	v_lshl_or_b32 v5, v7, 21, v5
	v_add_u32_e32 v5, 0x38000000, v5
                                        ; implicit-def: $vgpr17
                                        ; implicit-def: $vgpr51
.LBB6_11622:                            ;   in Loop: Header=BB6_10588 Depth=4
	s_andn2_saveexec_b64 s[36:37], s[36:37]
; %bb.11623:                            ;   in Loop: Header=BB6_10588 Depth=4
	v_mov_b32_e32 v5, -1
	v_cmp_gt_i16_sdwa vcc, sext(v51), v5 src0_sel:BYTE_0 src1_sel:DWORD
	v_mov_b32_e32 v5, 0xff800000
	v_mov_b32_e32 v7, 0x7f800000
	v_cndmask_b32_e32 v5, v5, v7, vcc
	v_cmp_eq_u32_e32 vcc, 0, v17
	v_mov_b32_e32 v7, 0x7f800001
	v_cndmask_b32_e32 v5, v7, v5, vcc
; %bb.11624:                            ;   in Loop: Header=BB6_10588 Depth=4
	s_or_b64 exec, exec, s[36:37]
.LBB6_11625:                            ;   in Loop: Header=BB6_10588 Depth=4
	s_or_b64 exec, exec, s[34:35]
.LBB6_11626:                            ;   in Loop: Header=BB6_10588 Depth=4
	s_or_b64 exec, exec, s[28:29]
	v_cmp_ne_u16_e32 vcc, 0, v53
	s_and_saveexec_b64 s[28:29], vcc
	s_cbranch_execz .LBB6_11634
; %bb.11627:                            ;   in Loop: Header=BB6_10588 Depth=4
	v_cmp_ne_u16_e32 vcc, s46, v53
	v_bfrev_b32_e32 v2, 1
	s_and_saveexec_b64 s[34:35], vcc
	s_cbranch_execz .LBB6_11633
; %bb.11628:                            ;   in Loop: Header=BB6_10588 Depth=4
	v_and_b32_e32 v2, 0x7c, v53
	v_and_b32_e32 v7, 3, v53
	v_cmp_ne_u32_e32 vcc, s86, v2
                                        ; implicit-def: $vgpr2
	s_and_saveexec_b64 s[62:63], vcc
	s_xor_b64 s[36:37], exec, s[62:63]
	s_cbranch_execz .LBB6_11630
; %bb.11629:                            ;   in Loop: Header=BB6_10588 Depth=4
	v_ffbh_u32_e32 v17, v7
	v_min_u32_e32 v17, 32, v17
	s_waitcnt vmcnt(1)
	v_mov_b32_e32 v54, v33
	v_subrev_u32_e32 v25, 29, v17
	v_lshlrev_b64 v[51:52], v25, v[53:54]
	buffer_load_dword v54, off, s[0:3], s33 offset:268 ; 4-byte Folded Reload
	buffer_load_dword v55, off, s[0:3], s33 offset:272 ; 4-byte Folded Reload
	v_and_b32_e32 v2, 0xff, v53
	v_bfe_u32 v2, v2, 2, 5
	v_sub_u32_e32 v17, 30, v17
	v_cmp_eq_u32_e32 vcc, 0, v2
	v_and_b32_e32 v25, 3, v51
	v_cndmask_b32_e32 v2, v2, v17, vcc
	v_and_b32_sdwa v17, sext(v53), s87 dst_sel:DWORD dst_unused:UNUSED_PAD src0_sel:WORD_0 src1_sel:DWORD
	v_cndmask_b32_e32 v7, v7, v25, vcc
	v_lshl_add_u32 v2, v2, 23, v17
	v_lshl_or_b32 v2, v7, 21, v2
	v_add_u32_e32 v2, 0x38000000, v2
                                        ; implicit-def: $vgpr7
                                        ; implicit-def: $vgpr53
.LBB6_11630:                            ;   in Loop: Header=BB6_10588 Depth=4
	s_andn2_saveexec_b64 s[36:37], s[36:37]
; %bb.11631:                            ;   in Loop: Header=BB6_10588 Depth=4
	v_cmp_lt_i16_e32 vcc, -1, v53
	v_mov_b32_e32 v2, 0xff800000
	v_mov_b32_e32 v17, 0x7f800000
	v_cndmask_b32_e32 v2, v2, v17, vcc
	v_cmp_eq_u32_e32 vcc, 0, v7
	v_mov_b32_e32 v7, 0x7f800001
	v_cndmask_b32_e32 v2, v7, v2, vcc
; %bb.11632:                            ;   in Loop: Header=BB6_10588 Depth=4
	s_or_b64 exec, exec, s[36:37]
.LBB6_11633:                            ;   in Loop: Header=BB6_10588 Depth=4
	s_or_b64 exec, exec, s[34:35]
.LBB6_11634:                            ;   in Loop: Header=BB6_10588 Depth=4
	s_or_b64 exec, exec, s[28:29]
	v_add_f32_e32 v5, v5, v2
	v_and_b32_e32 v51, 0x7f800000, v5
	v_mov_b32_e32 v52, v33
	v_cmp_ne_u64_e32 vcc, s[76:77], v[51:52]
	v_and_b32_e32 v32, 0x7fffff, v5
                                        ; implicit-def: $vgpr52
	s_and_saveexec_b64 s[28:29], vcc
	s_xor_b64 s[34:35], exec, s[28:29]
	s_cbranch_execz .LBB6_11652
; %bb.11635:                            ;   in Loop: Header=BB6_10588 Depth=4
	v_and_b32_e32 v51, 0x7fffffff, v5
	v_mov_b32_e32 v52, v33
	v_cmp_gt_u64_e32 vcc, s[78:79], v[51:52]
	v_and_b32_sdwa v2, v5, s97 dst_sel:DWORD dst_unused:UNUSED_PAD src0_sel:BYTE_3 src1_sel:DWORD
                                        ; implicit-def: $vgpr52
	s_and_saveexec_b64 s[28:29], vcc
	s_xor_b64 s[36:37], exec, s[28:29]
	s_cbranch_execz .LBB6_11649
; %bb.11636:                            ;   in Loop: Header=BB6_10588 Depth=4
	v_cmp_ne_u32_e32 vcc, 0, v5
	v_mov_b32_e32 v52, 0
	s_and_saveexec_b64 s[38:39], vcc
	s_cbranch_execz .LBB6_11648
; %bb.11637:                            ;   in Loop: Header=BB6_10588 Depth=4
	v_bfe_u32 v5, v5, 23, 8
	v_cmp_gt_u32_e64 s[28:29], s47, v5
	v_sub_u32_e32 v7, 0x71, v5
	v_cmp_eq_u32_e32 vcc, 0, v5
	v_cndmask_b32_e64 v7, 0, v7, s[28:29]
	v_mov_b32_e32 v25, 0x70
	v_or_b32_e32 v17, 0x800000, v32
	v_cndmask_b32_e32 v7, v7, v25, vcc
	v_cndmask_b32_e32 v51, v17, v32, vcc
	v_add_u32_e32 v17, 21, v7
	s_waitcnt vmcnt(1)
	v_lshlrev_b64 v[53:54], v17, -1
	v_mov_b32_e32 v52, v33
	v_add_u32_e32 v17, 20, v7
	v_mov_b32_e32 v36, v45
	v_bfi_b32 v53, v53, 0, v51
	v_lshlrev_b64 v[45:46], v17, 1
	v_lshrrev_b64 v[51:52], v7, v[51:52]
	v_bfi_b32 v54, v54, 0, 0
	v_cmp_eq_u64_e64 s[28:29], v[53:54], v[45:46]
	v_mov_b32_e32 v53, v52
	v_mov_b32_e32 v52, v51
	s_and_saveexec_b64 s[48:49], s[28:29]
; %bb.11638:                            ;   in Loop: Header=BB6_10588 Depth=4
	v_bfe_u32 v17, v51, 21, 1
	v_add_co_u32_e64 v17, s[28:29], v51, v17
	v_add_co_u32_e64 v52, s[28:29], -1, v17
; %bb.11639:                            ;   in Loop: Header=BB6_10588 Depth=4
	s_or_b64 exec, exec, s[48:49]
	v_add_u32_e32 v5, 0xffffff81, v5
	v_mov_b32_e32 v17, 0xffffff82
	v_cndmask_b32_e32 v5, v5, v17, vcc
	v_lshrrev_b32_e32 v17, 23, v51
	v_add3_u32 v17, v7, v5, v17
	v_add_u32_e32 v7, 14, v17
	v_and_b32_e32 v5, 0x1fffff, v52
	v_add_u32_e32 v32, v5, v51
	v_cmp_ne_u32_e32 vcc, 0, v7
                                        ; implicit-def: $vgpr51_vgpr52
                                        ; implicit-def: $vgpr5
	s_and_saveexec_b64 s[28:29], vcc
	s_xor_b64 s[28:29], exec, s[28:29]
; %bb.11640:                            ;   in Loop: Header=BB6_10588 Depth=4
	v_cmp_lt_u64_e32 vcc, s[88:89], v[32:33]
	v_add_u32_e32 v5, 15, v17
	v_cndmask_b32_e32 v5, v7, v5, vcc
	v_cndmask_b32_e64 v7, 0, 1, vcc
	v_lshrrev_b64 v[51:52], v7, v[32:33]
; %bb.11641:                            ;   in Loop: Header=BB6_10588 Depth=4
	s_or_saveexec_b64 s[28:29], s[28:29]
	buffer_load_dword v54, off, s[0:3], s33 offset:268 ; 4-byte Folded Reload
	buffer_load_dword v55, off, s[0:3], s33 offset:272 ; 4-byte Folded Reload
	v_mov_b32_e32 v45, v36
	s_xor_b64 exec, exec, s[28:29]
; %bb.11642:                            ;   in Loop: Header=BB6_10588 Depth=4
	v_mov_b32_e32 v52, v33
	v_mov_b32_e32 v51, v32
	v_bfe_u32 v5, v32, 23, 1
; %bb.11643:                            ;   in Loop: Header=BB6_10588 Depth=4
	s_or_b64 exec, exec, s[28:29]
	v_lshrrev_b64 v[51:52], 21, v[51:52]
	v_cmp_gt_i32_e32 vcc, 32, v5
	v_cndmask_b32_e32 v52, 0, v52, vcc
	v_cndmask_b32_e32 v51, 3, v51, vcc
	v_cmp_ne_u64_e32 vcc, 0, v[51:52]
	v_cmp_ne_u32_e64 s[28:29], 0, v5
	s_or_b64 s[28:29], s[28:29], vcc
                                        ; implicit-def: $vgpr52
	s_and_saveexec_b64 s[62:63], s[28:29]
	s_xor_b64 s[28:29], exec, s[62:63]
; %bb.11644:                            ;   in Loop: Header=BB6_10588 Depth=4
	v_min_i32_e32 v5, 31, v5
	v_lshl_or_b32 v2, v5, 2, v2
	v_and_or_b32 v52, v51, 3, v2
                                        ; implicit-def: $vgpr2
; %bb.11645:                            ;   in Loop: Header=BB6_10588 Depth=4
	s_andn2_saveexec_b64 s[28:29], s[28:29]
; %bb.11646:                            ;   in Loop: Header=BB6_10588 Depth=4
	v_mov_b32_e32 v52, v2
; %bb.11647:                            ;   in Loop: Header=BB6_10588 Depth=4
	s_or_b64 exec, exec, s[28:29]
.LBB6_11648:                            ;   in Loop: Header=BB6_10588 Depth=4
	s_or_b64 exec, exec, s[38:39]
                                        ; implicit-def: $vgpr2
.LBB6_11649:                            ;   in Loop: Header=BB6_10588 Depth=4
	s_andn2_saveexec_b64 s[28:29], s[36:37]
; %bb.11650:                            ;   in Loop: Header=BB6_10588 Depth=4
	v_or_b32_e32 v52, 0x7b, v2
; %bb.11651:                            ;   in Loop: Header=BB6_10588 Depth=4
	s_or_b64 exec, exec, s[28:29]
                                        ; implicit-def: $vgpr5
.LBB6_11652:                            ;   in Loop: Header=BB6_10588 Depth=4
	s_andn2_saveexec_b64 s[28:29], s[34:35]
	s_cbranch_execz .LBB6_11658
; %bb.11653:                            ;   in Loop: Header=BB6_10588 Depth=4
	v_cmp_ne_u64_e32 vcc, 0, v[32:33]
                                        ; implicit-def: $vgpr52
	s_and_saveexec_b64 s[62:63], vcc
	s_xor_b64 vcc, exec, s[62:63]
; %bb.11654:                            ;   in Loop: Header=BB6_10588 Depth=4
	v_or_b32_sdwa v52, v5, s44 dst_sel:DWORD dst_unused:UNUSED_PAD src0_sel:BYTE_3 src1_sel:DWORD
                                        ; implicit-def: $vgpr5
; %bb.11655:                            ;   in Loop: Header=BB6_10588 Depth=4
	s_andn2_saveexec_b64 s[34:35], vcc
; %bb.11656:                            ;   in Loop: Header=BB6_10588 Depth=4
	v_cmp_lt_i32_e32 vcc, -1, v5
	v_mov_b32_e32 v2, 0x7c
	v_cndmask_b32_e32 v52, -4, v2, vcc
; %bb.11657:                            ;   in Loop: Header=BB6_10588 Depth=4
	s_or_b64 exec, exec, s[34:35]
.LBB6_11658:                            ;   in Loop: Header=BB6_10588 Depth=4
	s_or_b64 exec, exec, s[28:29]
	v_and_b32_e32 v25, 0xff, v16
	v_cmp_ne_u16_e32 vcc, 0, v25
	v_mov_b32_e32 v2, 0
	v_mov_b32_e32 v5, 0
	s_and_saveexec_b64 s[28:29], vcc
	s_cbranch_execz .LBB6_11666
; %bb.11659:                            ;   in Loop: Header=BB6_10588 Depth=4
	v_cmp_ne_u16_e32 vcc, s97, v25
	v_bfrev_b32_e32 v5, 1
	s_and_saveexec_b64 s[34:35], vcc
	s_cbranch_execz .LBB6_11665
; %bb.11660:                            ;   in Loop: Header=BB6_10588 Depth=4
	v_and_b32_e32 v5, 0x7c, v16
	v_and_b32_e32 v7, 3, v16
	v_cmp_ne_u32_e32 vcc, s86, v5
                                        ; implicit-def: $vgpr5
	s_and_saveexec_b64 s[62:63], vcc
	s_xor_b64 s[36:37], exec, s[62:63]
	s_cbranch_execz .LBB6_11662
; %bb.11661:                            ;   in Loop: Header=BB6_10588 Depth=4
	v_bfe_u32 v5, v25, 2, 5
	v_ffbh_u32_e32 v25, v7
	v_min_u32_e32 v25, 32, v25
	v_mov_b32_e32 v17, v33
	v_subrev_u32_e32 v32, 29, v25
	s_waitcnt vmcnt(1)
	v_lshlrev_b64 v[53:54], v32, v[16:17]
	buffer_load_dword v54, off, s[0:3], s33 offset:268 ; 4-byte Folded Reload
	buffer_load_dword v55, off, s[0:3], s33 offset:272 ; 4-byte Folded Reload
	v_sub_u32_e32 v17, 30, v25
	v_cmp_eq_u32_e32 vcc, 0, v5
	v_lshlrev_b32_e32 v16, 24, v16
	v_and_b32_e32 v25, 3, v53
	v_cndmask_b32_e32 v5, v5, v17, vcc
	v_and_b32_e32 v16, 0x80000000, v16
	v_cndmask_b32_e32 v7, v7, v25, vcc
	v_lshl_add_u32 v5, v5, 23, v16
	v_lshl_or_b32 v5, v7, 21, v5
	v_add_u32_e32 v5, 0x38000000, v5
                                        ; implicit-def: $vgpr7
                                        ; implicit-def: $vgpr16
.LBB6_11662:                            ;   in Loop: Header=BB6_10588 Depth=4
	s_andn2_saveexec_b64 s[36:37], s[36:37]
; %bb.11663:                            ;   in Loop: Header=BB6_10588 Depth=4
	v_mov_b32_e32 v5, -1
	v_cmp_gt_i16_sdwa vcc, sext(v16), v5 src0_sel:BYTE_0 src1_sel:DWORD
	v_mov_b32_e32 v5, 0xff800000
	v_mov_b32_e32 v16, 0x7f800000
	v_cndmask_b32_e32 v5, v5, v16, vcc
	v_cmp_eq_u32_e32 vcc, 0, v7
	v_mov_b32_e32 v7, 0x7f800001
	v_cndmask_b32_e32 v5, v7, v5, vcc
; %bb.11664:                            ;   in Loop: Header=BB6_10588 Depth=4
	s_or_b64 exec, exec, s[36:37]
.LBB6_11665:                            ;   in Loop: Header=BB6_10588 Depth=4
	s_or_b64 exec, exec, s[34:35]
.LBB6_11666:                            ;   in Loop: Header=BB6_10588 Depth=4
	s_or_b64 exec, exec, s[28:29]
	v_cmp_ne_u16_e32 vcc, 0, v37
	s_and_saveexec_b64 s[28:29], vcc
	s_cbranch_execz .LBB6_11674
; %bb.11667:                            ;   in Loop: Header=BB6_10588 Depth=4
	v_cmp_ne_u16_e32 vcc, s46, v37
	v_bfrev_b32_e32 v2, 1
	s_and_saveexec_b64 s[34:35], vcc
	s_cbranch_execz .LBB6_11673
; %bb.11668:                            ;   in Loop: Header=BB6_10588 Depth=4
	v_and_b32_e32 v2, 0x7c, v37
	v_and_b32_e32 v7, 3, v37
	v_cmp_ne_u32_e32 vcc, s86, v2
                                        ; implicit-def: $vgpr2
	s_and_saveexec_b64 s[62:63], vcc
	s_xor_b64 s[36:37], exec, s[62:63]
	s_cbranch_execz .LBB6_11670
; %bb.11669:                            ;   in Loop: Header=BB6_10588 Depth=4
	v_ffbh_u32_e32 v16, v7
	v_min_u32_e32 v25, 32, v16
	v_mov_b32_e32 v38, v33
	v_subrev_u32_e32 v16, 29, v25
	v_and_b32_e32 v2, 0xff, v37
	v_lshlrev_b64 v[16:17], v16, v[37:38]
	v_bfe_u32 v2, v2, 2, 5
	v_sub_u32_e32 v17, 30, v25
	v_and_b32_e32 v16, 3, v16
	v_cmp_eq_u32_e32 vcc, 0, v2
	v_cndmask_b32_e32 v2, v2, v17, vcc
	v_cndmask_b32_e32 v7, v7, v16, vcc
	v_and_b32_sdwa v16, sext(v37), s87 dst_sel:DWORD dst_unused:UNUSED_PAD src0_sel:WORD_0 src1_sel:DWORD
	v_lshl_add_u32 v2, v2, 23, v16
	v_lshl_or_b32 v2, v7, 21, v2
	v_add_u32_e32 v2, 0x38000000, v2
                                        ; implicit-def: $vgpr7
                                        ; implicit-def: $vgpr37
.LBB6_11670:                            ;   in Loop: Header=BB6_10588 Depth=4
	s_andn2_saveexec_b64 s[36:37], s[36:37]
; %bb.11671:                            ;   in Loop: Header=BB6_10588 Depth=4
	v_cmp_lt_i16_e32 vcc, -1, v37
	v_mov_b32_e32 v2, 0xff800000
	v_mov_b32_e32 v16, 0x7f800000
	v_cndmask_b32_e32 v2, v2, v16, vcc
	v_cmp_eq_u32_e32 vcc, 0, v7
	v_mov_b32_e32 v7, 0x7f800001
	v_cndmask_b32_e32 v2, v7, v2, vcc
; %bb.11672:                            ;   in Loop: Header=BB6_10588 Depth=4
	s_or_b64 exec, exec, s[36:37]
.LBB6_11673:                            ;   in Loop: Header=BB6_10588 Depth=4
	s_or_b64 exec, exec, s[34:35]
.LBB6_11674:                            ;   in Loop: Header=BB6_10588 Depth=4
	s_or_b64 exec, exec, s[28:29]
	v_add_f32_e32 v5, v5, v2
	v_and_b32_e32 v16, 0x7f800000, v5
	v_mov_b32_e32 v17, v33
	v_cmp_ne_u64_e32 vcc, s[76:77], v[16:17]
	v_and_b32_e32 v32, 0x7fffff, v5
                                        ; implicit-def: $vgpr37
	s_and_saveexec_b64 s[28:29], vcc
	s_xor_b64 s[34:35], exec, s[28:29]
	s_cbranch_execz .LBB6_11692
; %bb.11675:                            ;   in Loop: Header=BB6_10588 Depth=4
	v_and_b32_e32 v16, 0x7fffffff, v5
	v_mov_b32_e32 v17, v33
	v_cmp_gt_u64_e32 vcc, s[78:79], v[16:17]
	v_and_b32_sdwa v2, v5, s97 dst_sel:DWORD dst_unused:UNUSED_PAD src0_sel:BYTE_3 src1_sel:DWORD
                                        ; implicit-def: $vgpr37
	s_and_saveexec_b64 s[28:29], vcc
	s_xor_b64 s[36:37], exec, s[28:29]
	s_cbranch_execz .LBB6_11689
; %bb.11676:                            ;   in Loop: Header=BB6_10588 Depth=4
	v_cmp_ne_u32_e32 vcc, 0, v5
	v_mov_b32_e32 v37, 0
	s_and_saveexec_b64 s[38:39], vcc
	s_cbranch_execz .LBB6_11688
; %bb.11677:                            ;   in Loop: Header=BB6_10588 Depth=4
	v_bfe_u32 v5, v5, 23, 8
	v_cmp_gt_u32_e64 s[28:29], s47, v5
	v_sub_u32_e32 v7, 0x71, v5
	v_cmp_eq_u32_e32 vcc, 0, v5
	v_cndmask_b32_e64 v7, 0, v7, s[28:29]
	v_mov_b32_e32 v17, 0x70
	v_cndmask_b32_e32 v7, v7, v17, vcc
	v_add_u32_e32 v25, 21, v7
	v_or_b32_e32 v16, 0x800000, v32
	v_lshlrev_b64 v[36:37], v25, -1
	v_cndmask_b32_e32 v16, v16, v32, vcc
	v_mov_b32_e32 v17, v33
	v_add_u32_e32 v25, 20, v7
	v_bfi_b32 v36, v36, 0, v16
	s_waitcnt vmcnt(1)
	v_lshlrev_b64 v[53:54], v25, 1
	v_lshrrev_b64 v[16:17], v7, v[16:17]
	v_bfi_b32 v37, v37, 0, 0
	v_cmp_eq_u64_e64 s[28:29], v[36:37], v[53:54]
	v_mov_b32_e32 v37, v17
	v_mov_b32_e32 v36, v16
	s_and_saveexec_b64 s[48:49], s[28:29]
; %bb.11678:                            ;   in Loop: Header=BB6_10588 Depth=4
	v_bfe_u32 v17, v16, 21, 1
	v_add_co_u32_e64 v17, s[28:29], v16, v17
	v_add_co_u32_e64 v36, s[28:29], -1, v17
; %bb.11679:                            ;   in Loop: Header=BB6_10588 Depth=4
	s_or_b64 exec, exec, s[48:49]
	v_add_u32_e32 v5, 0xffffff81, v5
	v_mov_b32_e32 v17, 0xffffff82
	v_cndmask_b32_e32 v5, v5, v17, vcc
	v_lshrrev_b32_e32 v17, 23, v16
	v_add3_u32 v25, v7, v5, v17
	v_add_u32_e32 v7, 14, v25
	v_and_b32_e32 v5, 0x1fffff, v36
	v_add_u32_e32 v32, v5, v16
	v_cmp_ne_u32_e32 vcc, 0, v7
                                        ; implicit-def: $vgpr16_vgpr17
                                        ; implicit-def: $vgpr5
	s_and_saveexec_b64 s[28:29], vcc
	s_xor_b64 s[28:29], exec, s[28:29]
; %bb.11680:                            ;   in Loop: Header=BB6_10588 Depth=4
	v_cmp_lt_u64_e32 vcc, s[88:89], v[32:33]
	v_add_u32_e32 v5, 15, v25
	v_cndmask_b32_e32 v5, v7, v5, vcc
	v_cndmask_b32_e64 v7, 0, 1, vcc
	v_lshrrev_b64 v[16:17], v7, v[32:33]
; %bb.11681:                            ;   in Loop: Header=BB6_10588 Depth=4
	s_or_saveexec_b64 s[28:29], s[28:29]
	buffer_load_dword v54, off, s[0:3], s33 offset:268 ; 4-byte Folded Reload
	buffer_load_dword v55, off, s[0:3], s33 offset:272 ; 4-byte Folded Reload
	s_xor_b64 exec, exec, s[28:29]
; %bb.11682:                            ;   in Loop: Header=BB6_10588 Depth=4
	v_mov_b32_e32 v16, v32
	v_mov_b32_e32 v17, v33
	v_bfe_u32 v5, v32, 23, 1
; %bb.11683:                            ;   in Loop: Header=BB6_10588 Depth=4
	s_or_b64 exec, exec, s[28:29]
	v_lshrrev_b64 v[16:17], 21, v[16:17]
	v_cmp_gt_i32_e32 vcc, 32, v5
	v_cndmask_b32_e32 v17, 0, v17, vcc
	v_cndmask_b32_e32 v16, 3, v16, vcc
	v_cmp_ne_u64_e32 vcc, 0, v[16:17]
	v_cmp_ne_u32_e64 s[28:29], 0, v5
	s_or_b64 s[28:29], s[28:29], vcc
                                        ; implicit-def: $vgpr37
	s_and_saveexec_b64 s[62:63], s[28:29]
	s_xor_b64 s[28:29], exec, s[62:63]
; %bb.11684:                            ;   in Loop: Header=BB6_10588 Depth=4
	v_min_i32_e32 v5, 31, v5
	v_lshl_or_b32 v2, v5, 2, v2
	v_and_or_b32 v37, v16, 3, v2
                                        ; implicit-def: $vgpr2
; %bb.11685:                            ;   in Loop: Header=BB6_10588 Depth=4
	s_andn2_saveexec_b64 s[28:29], s[28:29]
; %bb.11686:                            ;   in Loop: Header=BB6_10588 Depth=4
	v_mov_b32_e32 v37, v2
; %bb.11687:                            ;   in Loop: Header=BB6_10588 Depth=4
	s_or_b64 exec, exec, s[28:29]
.LBB6_11688:                            ;   in Loop: Header=BB6_10588 Depth=4
	s_or_b64 exec, exec, s[38:39]
                                        ; implicit-def: $vgpr2
.LBB6_11689:                            ;   in Loop: Header=BB6_10588 Depth=4
	s_andn2_saveexec_b64 s[28:29], s[36:37]
; %bb.11690:                            ;   in Loop: Header=BB6_10588 Depth=4
	v_or_b32_e32 v37, 0x7b, v2
; %bb.11691:                            ;   in Loop: Header=BB6_10588 Depth=4
	s_or_b64 exec, exec, s[28:29]
                                        ; implicit-def: $vgpr5
.LBB6_11692:                            ;   in Loop: Header=BB6_10588 Depth=4
	s_andn2_saveexec_b64 s[28:29], s[34:35]
	s_cbranch_execz .LBB6_11698
; %bb.11693:                            ;   in Loop: Header=BB6_10588 Depth=4
	v_cmp_ne_u64_e32 vcc, 0, v[32:33]
                                        ; implicit-def: $vgpr37
	s_and_saveexec_b64 s[62:63], vcc
	s_xor_b64 vcc, exec, s[62:63]
; %bb.11694:                            ;   in Loop: Header=BB6_10588 Depth=4
	v_or_b32_sdwa v37, v5, s44 dst_sel:DWORD dst_unused:UNUSED_PAD src0_sel:BYTE_3 src1_sel:DWORD
                                        ; implicit-def: $vgpr5
; %bb.11695:                            ;   in Loop: Header=BB6_10588 Depth=4
	s_andn2_saveexec_b64 s[34:35], vcc
; %bb.11696:                            ;   in Loop: Header=BB6_10588 Depth=4
	v_cmp_lt_i32_e32 vcc, -1, v5
	v_mov_b32_e32 v2, 0x7c
	v_cndmask_b32_e32 v37, -4, v2, vcc
; %bb.11697:                            ;   in Loop: Header=BB6_10588 Depth=4
	s_or_b64 exec, exec, s[34:35]
.LBB6_11698:                            ;   in Loop: Header=BB6_10588 Depth=4
	s_or_b64 exec, exec, s[28:29]
	v_and_b32_e32 v16, 0xff, v31
	v_cmp_ne_u16_e32 vcc, 0, v16
	v_mov_b32_e32 v2, 0
	v_mov_b32_e32 v5, 0
	s_and_saveexec_b64 s[28:29], vcc
	s_cbranch_execz .LBB6_11706
; %bb.11699:                            ;   in Loop: Header=BB6_10588 Depth=4
	v_cmp_ne_u16_e32 vcc, s97, v16
	v_bfrev_b32_e32 v5, 1
	s_and_saveexec_b64 s[34:35], vcc
	s_cbranch_execz .LBB6_11705
; %bb.11700:                            ;   in Loop: Header=BB6_10588 Depth=4
	v_and_b32_e32 v5, 0x7c, v31
	v_and_b32_e32 v7, 3, v31
	v_cmp_ne_u32_e32 vcc, s86, v5
                                        ; implicit-def: $vgpr5
	s_and_saveexec_b64 s[62:63], vcc
	s_xor_b64 s[36:37], exec, s[62:63]
	s_cbranch_execz .LBB6_11702
; %bb.11701:                            ;   in Loop: Header=BB6_10588 Depth=4
	v_bfe_u32 v5, v16, 2, 5
	v_ffbh_u32_e32 v16, v7
	v_min_u32_e32 v25, 32, v16
	v_mov_b32_e32 v32, v33
	v_subrev_u32_e32 v16, 29, v25
	v_lshlrev_b64 v[16:17], v16, v[31:32]
	v_cmp_eq_u32_e32 vcc, 0, v5
	v_and_b32_e32 v16, 3, v16
	v_sub_u32_e32 v17, 30, v25
	v_cndmask_b32_e32 v7, v7, v16, vcc
	v_lshlrev_b32_e32 v16, 24, v31
	v_cndmask_b32_e32 v5, v5, v17, vcc
	v_and_b32_e32 v16, 0x80000000, v16
	v_lshl_add_u32 v5, v5, 23, v16
	v_lshl_or_b32 v5, v7, 21, v5
	v_add_u32_e32 v5, 0x38000000, v5
                                        ; implicit-def: $vgpr7
                                        ; implicit-def: $vgpr31
.LBB6_11702:                            ;   in Loop: Header=BB6_10588 Depth=4
	s_andn2_saveexec_b64 s[36:37], s[36:37]
; %bb.11703:                            ;   in Loop: Header=BB6_10588 Depth=4
	v_mov_b32_e32 v5, -1
	v_cmp_gt_i16_sdwa vcc, sext(v31), v5 src0_sel:BYTE_0 src1_sel:DWORD
	v_mov_b32_e32 v5, 0xff800000
	v_mov_b32_e32 v16, 0x7f800000
	v_cndmask_b32_e32 v5, v5, v16, vcc
	v_cmp_eq_u32_e32 vcc, 0, v7
	v_mov_b32_e32 v7, 0x7f800001
	v_cndmask_b32_e32 v5, v7, v5, vcc
; %bb.11704:                            ;   in Loop: Header=BB6_10588 Depth=4
	s_or_b64 exec, exec, s[36:37]
.LBB6_11705:                            ;   in Loop: Header=BB6_10588 Depth=4
	s_or_b64 exec, exec, s[34:35]
.LBB6_11706:                            ;   in Loop: Header=BB6_10588 Depth=4
	s_or_b64 exec, exec, s[28:29]
	v_cmp_ne_u16_e32 vcc, 0, v50
	s_and_saveexec_b64 s[28:29], vcc
	s_cbranch_execz .LBB6_11714
; %bb.11707:                            ;   in Loop: Header=BB6_10588 Depth=4
	v_cmp_ne_u16_e32 vcc, s46, v50
	v_bfrev_b32_e32 v2, 1
	s_and_saveexec_b64 s[34:35], vcc
	s_cbranch_execz .LBB6_11713
; %bb.11708:                            ;   in Loop: Header=BB6_10588 Depth=4
	v_and_b32_e32 v2, 0x7c, v50
	v_and_b32_e32 v7, 3, v50
	v_cmp_ne_u32_e32 vcc, s86, v2
                                        ; implicit-def: $vgpr2
	s_and_saveexec_b64 s[62:63], vcc
	s_xor_b64 s[36:37], exec, s[62:63]
	s_cbranch_execz .LBB6_11710
; %bb.11709:                            ;   in Loop: Header=BB6_10588 Depth=4
	v_ffbh_u32_e32 v16, v7
	v_min_u32_e32 v25, 32, v16
	v_mov_b32_e32 v51, v33
	v_subrev_u32_e32 v16, 29, v25
	v_and_b32_e32 v2, 0xff, v50
	v_lshlrev_b64 v[16:17], v16, v[50:51]
	v_bfe_u32 v2, v2, 2, 5
	v_sub_u32_e32 v17, 30, v25
	v_and_b32_e32 v16, 3, v16
	v_cmp_eq_u32_e32 vcc, 0, v2
	v_cndmask_b32_e32 v2, v2, v17, vcc
	v_cndmask_b32_e32 v7, v7, v16, vcc
	v_and_b32_sdwa v16, sext(v50), s87 dst_sel:DWORD dst_unused:UNUSED_PAD src0_sel:WORD_0 src1_sel:DWORD
	v_lshl_add_u32 v2, v2, 23, v16
	v_lshl_or_b32 v2, v7, 21, v2
	v_add_u32_e32 v2, 0x38000000, v2
                                        ; implicit-def: $vgpr7
                                        ; implicit-def: $vgpr50
.LBB6_11710:                            ;   in Loop: Header=BB6_10588 Depth=4
	s_andn2_saveexec_b64 s[36:37], s[36:37]
; %bb.11711:                            ;   in Loop: Header=BB6_10588 Depth=4
	v_cmp_lt_i16_e32 vcc, -1, v50
	v_mov_b32_e32 v2, 0xff800000
	v_mov_b32_e32 v16, 0x7f800000
	v_cndmask_b32_e32 v2, v2, v16, vcc
	v_cmp_eq_u32_e32 vcc, 0, v7
	v_mov_b32_e32 v7, 0x7f800001
	v_cndmask_b32_e32 v2, v7, v2, vcc
; %bb.11712:                            ;   in Loop: Header=BB6_10588 Depth=4
	s_or_b64 exec, exec, s[36:37]
.LBB6_11713:                            ;   in Loop: Header=BB6_10588 Depth=4
	s_or_b64 exec, exec, s[34:35]
.LBB6_11714:                            ;   in Loop: Header=BB6_10588 Depth=4
	s_or_b64 exec, exec, s[28:29]
	v_add_f32_e32 v5, v5, v2
	v_and_b32_e32 v16, 0x7f800000, v5
	v_mov_b32_e32 v17, v33
	v_cmp_ne_u64_e32 vcc, s[76:77], v[16:17]
	v_and_b32_e32 v32, 0x7fffff, v5
                                        ; implicit-def: $vgpr38
	s_and_saveexec_b64 s[28:29], vcc
	s_xor_b64 s[34:35], exec, s[28:29]
	s_cbranch_execz .LBB6_11732
; %bb.11715:                            ;   in Loop: Header=BB6_10588 Depth=4
	v_and_b32_e32 v16, 0x7fffffff, v5
	v_mov_b32_e32 v17, v33
	v_cmp_gt_u64_e32 vcc, s[78:79], v[16:17]
	v_and_b32_sdwa v2, v5, s97 dst_sel:DWORD dst_unused:UNUSED_PAD src0_sel:BYTE_3 src1_sel:DWORD
                                        ; implicit-def: $vgpr38
	s_and_saveexec_b64 s[28:29], vcc
	s_xor_b64 s[36:37], exec, s[28:29]
	s_cbranch_execz .LBB6_11729
; %bb.11716:                            ;   in Loop: Header=BB6_10588 Depth=4
	v_cmp_ne_u32_e32 vcc, 0, v5
	v_mov_b32_e32 v38, 0
	s_and_saveexec_b64 s[38:39], vcc
	s_cbranch_execz .LBB6_11728
; %bb.11717:                            ;   in Loop: Header=BB6_10588 Depth=4
	v_bfe_u32 v5, v5, 23, 8
	v_cmp_gt_u32_e64 s[28:29], s47, v5
	v_sub_u32_e32 v7, 0x71, v5
	v_cmp_eq_u32_e32 vcc, 0, v5
	v_cndmask_b32_e64 v7, 0, v7, s[28:29]
	v_mov_b32_e32 v17, 0x70
	v_cndmask_b32_e32 v7, v7, v17, vcc
	v_or_b32_e32 v16, 0x800000, v32
	v_add_u32_e32 v25, 21, v7
	v_cndmask_b32_e32 v16, v16, v32, vcc
	v_lshlrev_b64 v[31:32], v25, -1
	v_mov_b32_e32 v17, v33
	v_add_u32_e32 v25, 20, v7
	v_bfi_b32 v31, v31, 0, v16
	v_lshlrev_b64 v[50:51], v25, 1
	v_lshrrev_b64 v[16:17], v7, v[16:17]
	v_bfi_b32 v32, v32, 0, 0
	v_cmp_eq_u64_e64 s[28:29], v[31:32], v[50:51]
	v_mov_b32_e32 v32, v17
	v_mov_b32_e32 v31, v16
	s_and_saveexec_b64 s[48:49], s[28:29]
; %bb.11718:                            ;   in Loop: Header=BB6_10588 Depth=4
	v_bfe_u32 v17, v16, 21, 1
	v_add_co_u32_e64 v17, s[28:29], v16, v17
	v_add_co_u32_e64 v31, s[28:29], -1, v17
; %bb.11719:                            ;   in Loop: Header=BB6_10588 Depth=4
	s_or_b64 exec, exec, s[48:49]
	v_add_u32_e32 v5, 0xffffff81, v5
	v_mov_b32_e32 v17, 0xffffff82
	v_cndmask_b32_e32 v5, v5, v17, vcc
	v_lshrrev_b32_e32 v17, 23, v16
	v_add3_u32 v25, v7, v5, v17
	v_add_u32_e32 v7, 14, v25
	v_and_b32_e32 v5, 0x1fffff, v31
	v_add_u32_e32 v32, v5, v16
	v_cmp_ne_u32_e32 vcc, 0, v7
                                        ; implicit-def: $vgpr16_vgpr17
                                        ; implicit-def: $vgpr5
	s_and_saveexec_b64 s[28:29], vcc
	s_xor_b64 s[28:29], exec, s[28:29]
; %bb.11720:                            ;   in Loop: Header=BB6_10588 Depth=4
	v_cmp_lt_u64_e32 vcc, s[88:89], v[32:33]
	v_add_u32_e32 v5, 15, v25
	v_cndmask_b32_e32 v5, v7, v5, vcc
	v_cndmask_b32_e64 v7, 0, 1, vcc
	v_lshrrev_b64 v[16:17], v7, v[32:33]
; %bb.11721:                            ;   in Loop: Header=BB6_10588 Depth=4
	s_andn2_saveexec_b64 s[28:29], s[28:29]
; %bb.11722:                            ;   in Loop: Header=BB6_10588 Depth=4
	v_mov_b32_e32 v16, v32
	v_mov_b32_e32 v17, v33
	v_bfe_u32 v5, v32, 23, 1
; %bb.11723:                            ;   in Loop: Header=BB6_10588 Depth=4
	s_or_b64 exec, exec, s[28:29]
	v_lshrrev_b64 v[16:17], 21, v[16:17]
	v_cmp_gt_i32_e32 vcc, 32, v5
	v_cndmask_b32_e32 v17, 0, v17, vcc
	v_cndmask_b32_e32 v16, 3, v16, vcc
	v_cmp_ne_u64_e32 vcc, 0, v[16:17]
	v_cmp_ne_u32_e64 s[28:29], 0, v5
	s_or_b64 s[28:29], s[28:29], vcc
                                        ; implicit-def: $vgpr38
	s_and_saveexec_b64 s[62:63], s[28:29]
	s_xor_b64 s[28:29], exec, s[62:63]
; %bb.11724:                            ;   in Loop: Header=BB6_10588 Depth=4
	v_min_i32_e32 v5, 31, v5
	v_lshl_or_b32 v2, v5, 2, v2
	v_and_or_b32 v38, v16, 3, v2
                                        ; implicit-def: $vgpr2
; %bb.11725:                            ;   in Loop: Header=BB6_10588 Depth=4
	s_andn2_saveexec_b64 s[28:29], s[28:29]
; %bb.11726:                            ;   in Loop: Header=BB6_10588 Depth=4
	v_mov_b32_e32 v38, v2
; %bb.11727:                            ;   in Loop: Header=BB6_10588 Depth=4
	s_or_b64 exec, exec, s[28:29]
.LBB6_11728:                            ;   in Loop: Header=BB6_10588 Depth=4
	s_or_b64 exec, exec, s[38:39]
                                        ; implicit-def: $vgpr2
.LBB6_11729:                            ;   in Loop: Header=BB6_10588 Depth=4
	s_andn2_saveexec_b64 s[28:29], s[36:37]
; %bb.11730:                            ;   in Loop: Header=BB6_10588 Depth=4
	v_or_b32_e32 v38, 0x7b, v2
; %bb.11731:                            ;   in Loop: Header=BB6_10588 Depth=4
	s_or_b64 exec, exec, s[28:29]
                                        ; implicit-def: $vgpr5
.LBB6_11732:                            ;   in Loop: Header=BB6_10588 Depth=4
	s_andn2_saveexec_b64 s[28:29], s[34:35]
	s_cbranch_execz .LBB6_11738
; %bb.11733:                            ;   in Loop: Header=BB6_10588 Depth=4
	v_cmp_ne_u64_e32 vcc, 0, v[32:33]
                                        ; implicit-def: $vgpr38
	s_and_saveexec_b64 s[62:63], vcc
	s_xor_b64 vcc, exec, s[62:63]
; %bb.11734:                            ;   in Loop: Header=BB6_10588 Depth=4
	v_or_b32_sdwa v38, v5, s44 dst_sel:DWORD dst_unused:UNUSED_PAD src0_sel:BYTE_3 src1_sel:DWORD
                                        ; implicit-def: $vgpr5
; %bb.11735:                            ;   in Loop: Header=BB6_10588 Depth=4
	s_andn2_saveexec_b64 s[34:35], vcc
; %bb.11736:                            ;   in Loop: Header=BB6_10588 Depth=4
	v_cmp_lt_i32_e32 vcc, -1, v5
	v_mov_b32_e32 v2, 0x7c
	v_cndmask_b32_e32 v38, -4, v2, vcc
; %bb.11737:                            ;   in Loop: Header=BB6_10588 Depth=4
	s_or_b64 exec, exec, s[34:35]
.LBB6_11738:                            ;   in Loop: Header=BB6_10588 Depth=4
	s_or_b64 exec, exec, s[28:29]
	v_and_b32_e32 v16, 0xff, v49
	v_cmp_ne_u16_e32 vcc, 0, v16
	v_mov_b32_e32 v2, 0
	v_mov_b32_e32 v5, 0
	s_and_saveexec_b64 s[28:29], vcc
	s_cbranch_execz .LBB6_11746
; %bb.11739:                            ;   in Loop: Header=BB6_10588 Depth=4
	v_cmp_ne_u16_e32 vcc, s97, v16
	v_bfrev_b32_e32 v5, 1
	s_and_saveexec_b64 s[34:35], vcc
	s_cbranch_execz .LBB6_11745
; %bb.11740:                            ;   in Loop: Header=BB6_10588 Depth=4
	v_and_b32_e32 v5, 0x7c, v49
	v_and_b32_e32 v7, 3, v49
	v_cmp_ne_u32_e32 vcc, s86, v5
                                        ; implicit-def: $vgpr5
	s_and_saveexec_b64 s[62:63], vcc
	s_xor_b64 s[36:37], exec, s[62:63]
	s_cbranch_execz .LBB6_11742
; %bb.11741:                            ;   in Loop: Header=BB6_10588 Depth=4
	v_bfe_u32 v5, v16, 2, 5
	v_ffbh_u32_e32 v16, v7
	v_min_u32_e32 v25, 32, v16
	v_mov_b32_e32 v50, v33
	v_subrev_u32_e32 v16, 29, v25
	v_lshlrev_b64 v[16:17], v16, v[49:50]
	v_cmp_eq_u32_e32 vcc, 0, v5
	v_and_b32_e32 v16, 3, v16
	v_sub_u32_e32 v17, 30, v25
	v_cndmask_b32_e32 v7, v7, v16, vcc
	v_lshlrev_b32_e32 v16, 24, v49
	v_cndmask_b32_e32 v5, v5, v17, vcc
	v_and_b32_e32 v16, 0x80000000, v16
	v_lshl_add_u32 v5, v5, 23, v16
	v_lshl_or_b32 v5, v7, 21, v5
	v_add_u32_e32 v5, 0x38000000, v5
                                        ; implicit-def: $vgpr7
                                        ; implicit-def: $vgpr49
.LBB6_11742:                            ;   in Loop: Header=BB6_10588 Depth=4
	s_andn2_saveexec_b64 s[36:37], s[36:37]
; %bb.11743:                            ;   in Loop: Header=BB6_10588 Depth=4
	v_mov_b32_e32 v5, -1
	v_cmp_gt_i16_sdwa vcc, sext(v49), v5 src0_sel:BYTE_0 src1_sel:DWORD
	v_mov_b32_e32 v5, 0xff800000
	v_mov_b32_e32 v16, 0x7f800000
	v_cndmask_b32_e32 v5, v5, v16, vcc
	v_cmp_eq_u32_e32 vcc, 0, v7
	v_mov_b32_e32 v7, 0x7f800001
	v_cndmask_b32_e32 v5, v7, v5, vcc
; %bb.11744:                            ;   in Loop: Header=BB6_10588 Depth=4
	s_or_b64 exec, exec, s[36:37]
.LBB6_11745:                            ;   in Loop: Header=BB6_10588 Depth=4
	s_or_b64 exec, exec, s[34:35]
.LBB6_11746:                            ;   in Loop: Header=BB6_10588 Depth=4
	s_or_b64 exec, exec, s[28:29]
	v_cmp_ne_u16_e32 vcc, 0, v35
	s_and_saveexec_b64 s[28:29], vcc
	s_cbranch_execz .LBB6_11754
; %bb.11747:                            ;   in Loop: Header=BB6_10588 Depth=4
	v_cmp_ne_u16_e32 vcc, s46, v35
	v_bfrev_b32_e32 v2, 1
	s_and_saveexec_b64 s[34:35], vcc
	s_cbranch_execz .LBB6_11753
; %bb.11748:                            ;   in Loop: Header=BB6_10588 Depth=4
	v_and_b32_e32 v2, 0x7c, v35
	v_and_b32_e32 v7, 3, v35
	v_cmp_ne_u32_e32 vcc, s86, v2
                                        ; implicit-def: $vgpr2
	s_and_saveexec_b64 s[62:63], vcc
	s_xor_b64 s[36:37], exec, s[62:63]
	s_cbranch_execz .LBB6_11750
; %bb.11749:                            ;   in Loop: Header=BB6_10588 Depth=4
	v_ffbh_u32_e32 v16, v7
	v_min_u32_e32 v25, 32, v16
	v_mov_b32_e32 v36, v33
	v_subrev_u32_e32 v16, 29, v25
	v_and_b32_e32 v2, 0xff, v35
	v_lshlrev_b64 v[16:17], v16, v[35:36]
	v_bfe_u32 v2, v2, 2, 5
	v_sub_u32_e32 v17, 30, v25
	v_and_b32_e32 v16, 3, v16
	v_cmp_eq_u32_e32 vcc, 0, v2
	v_cndmask_b32_e32 v2, v2, v17, vcc
	v_cndmask_b32_e32 v7, v7, v16, vcc
	v_and_b32_sdwa v16, sext(v35), s87 dst_sel:DWORD dst_unused:UNUSED_PAD src0_sel:WORD_0 src1_sel:DWORD
	v_lshl_add_u32 v2, v2, 23, v16
	v_lshl_or_b32 v2, v7, 21, v2
	v_add_u32_e32 v2, 0x38000000, v2
                                        ; implicit-def: $vgpr7
                                        ; implicit-def: $vgpr35
.LBB6_11750:                            ;   in Loop: Header=BB6_10588 Depth=4
	s_andn2_saveexec_b64 s[36:37], s[36:37]
; %bb.11751:                            ;   in Loop: Header=BB6_10588 Depth=4
	v_cmp_lt_i16_e32 vcc, -1, v35
	v_mov_b32_e32 v2, 0xff800000
	v_mov_b32_e32 v16, 0x7f800000
	v_cndmask_b32_e32 v2, v2, v16, vcc
	v_cmp_eq_u32_e32 vcc, 0, v7
	v_mov_b32_e32 v7, 0x7f800001
	v_cndmask_b32_e32 v2, v7, v2, vcc
; %bb.11752:                            ;   in Loop: Header=BB6_10588 Depth=4
	s_or_b64 exec, exec, s[36:37]
.LBB6_11753:                            ;   in Loop: Header=BB6_10588 Depth=4
	s_or_b64 exec, exec, s[34:35]
.LBB6_11754:                            ;   in Loop: Header=BB6_10588 Depth=4
	s_or_b64 exec, exec, s[28:29]
	v_add_f32_e32 v5, v5, v2
	v_and_b32_e32 v16, 0x7f800000, v5
	v_mov_b32_e32 v17, v33
	v_cmp_ne_u64_e32 vcc, s[76:77], v[16:17]
	v_and_b32_e32 v32, 0x7fffff, v5
                                        ; implicit-def: $vgpr35
	s_and_saveexec_b64 s[28:29], vcc
	s_xor_b64 s[34:35], exec, s[28:29]
	s_cbranch_execz .LBB6_11772
; %bb.11755:                            ;   in Loop: Header=BB6_10588 Depth=4
	v_and_b32_e32 v16, 0x7fffffff, v5
	v_mov_b32_e32 v17, v33
	v_cmp_gt_u64_e32 vcc, s[78:79], v[16:17]
	v_and_b32_sdwa v2, v5, s97 dst_sel:DWORD dst_unused:UNUSED_PAD src0_sel:BYTE_3 src1_sel:DWORD
                                        ; implicit-def: $vgpr35
	s_and_saveexec_b64 s[28:29], vcc
	s_xor_b64 s[36:37], exec, s[28:29]
	s_cbranch_execz .LBB6_11769
; %bb.11756:                            ;   in Loop: Header=BB6_10588 Depth=4
	v_cmp_ne_u32_e32 vcc, 0, v5
	v_mov_b32_e32 v35, 0
	s_and_saveexec_b64 s[38:39], vcc
	s_cbranch_execz .LBB6_11768
; %bb.11757:                            ;   in Loop: Header=BB6_10588 Depth=4
	v_bfe_u32 v5, v5, 23, 8
	v_cmp_gt_u32_e64 s[28:29], s47, v5
	v_sub_u32_e32 v7, 0x71, v5
	v_cmp_eq_u32_e32 vcc, 0, v5
	v_cndmask_b32_e64 v7, 0, v7, s[28:29]
	v_mov_b32_e32 v17, 0x70
	v_cndmask_b32_e32 v7, v7, v17, vcc
	v_or_b32_e32 v16, 0x800000, v32
	v_add_u32_e32 v25, 21, v7
	v_cndmask_b32_e32 v16, v16, v32, vcc
	v_lshlrev_b64 v[31:32], v25, -1
	v_mov_b32_e32 v17, v33
	v_add_u32_e32 v25, 20, v7
	v_bfi_b32 v31, v31, 0, v16
	v_lshlrev_b64 v[35:36], v25, 1
	v_lshrrev_b64 v[16:17], v7, v[16:17]
	v_bfi_b32 v32, v32, 0, 0
	v_cmp_eq_u64_e64 s[28:29], v[31:32], v[35:36]
	v_mov_b32_e32 v32, v17
	v_mov_b32_e32 v31, v16
	s_and_saveexec_b64 s[48:49], s[28:29]
; %bb.11758:                            ;   in Loop: Header=BB6_10588 Depth=4
	v_bfe_u32 v17, v16, 21, 1
	v_add_co_u32_e64 v17, s[28:29], v16, v17
	v_add_co_u32_e64 v31, s[28:29], -1, v17
; %bb.11759:                            ;   in Loop: Header=BB6_10588 Depth=4
	s_or_b64 exec, exec, s[48:49]
	v_add_u32_e32 v5, 0xffffff81, v5
	v_mov_b32_e32 v17, 0xffffff82
	v_cndmask_b32_e32 v5, v5, v17, vcc
	v_lshrrev_b32_e32 v17, 23, v16
	v_add3_u32 v25, v7, v5, v17
	v_add_u32_e32 v7, 14, v25
	v_and_b32_e32 v5, 0x1fffff, v31
	v_add_u32_e32 v32, v5, v16
	v_cmp_ne_u32_e32 vcc, 0, v7
                                        ; implicit-def: $vgpr16_vgpr17
                                        ; implicit-def: $vgpr5
	s_and_saveexec_b64 s[28:29], vcc
	s_xor_b64 s[28:29], exec, s[28:29]
; %bb.11760:                            ;   in Loop: Header=BB6_10588 Depth=4
	v_cmp_lt_u64_e32 vcc, s[88:89], v[32:33]
	v_add_u32_e32 v5, 15, v25
	v_cndmask_b32_e32 v5, v7, v5, vcc
	v_cndmask_b32_e64 v7, 0, 1, vcc
	v_lshrrev_b64 v[16:17], v7, v[32:33]
; %bb.11761:                            ;   in Loop: Header=BB6_10588 Depth=4
	s_andn2_saveexec_b64 s[28:29], s[28:29]
; %bb.11762:                            ;   in Loop: Header=BB6_10588 Depth=4
	v_mov_b32_e32 v16, v32
	v_mov_b32_e32 v17, v33
	v_bfe_u32 v5, v32, 23, 1
; %bb.11763:                            ;   in Loop: Header=BB6_10588 Depth=4
	s_or_b64 exec, exec, s[28:29]
	v_lshrrev_b64 v[16:17], 21, v[16:17]
	v_cmp_gt_i32_e32 vcc, 32, v5
	v_cndmask_b32_e32 v17, 0, v17, vcc
	v_cndmask_b32_e32 v16, 3, v16, vcc
	v_cmp_ne_u64_e32 vcc, 0, v[16:17]
	v_cmp_ne_u32_e64 s[28:29], 0, v5
	s_or_b64 s[28:29], s[28:29], vcc
                                        ; implicit-def: $vgpr35
	s_and_saveexec_b64 s[62:63], s[28:29]
	s_xor_b64 s[28:29], exec, s[62:63]
; %bb.11764:                            ;   in Loop: Header=BB6_10588 Depth=4
	v_min_i32_e32 v5, 31, v5
	v_lshl_or_b32 v2, v5, 2, v2
	v_and_or_b32 v35, v16, 3, v2
                                        ; implicit-def: $vgpr2
; %bb.11765:                            ;   in Loop: Header=BB6_10588 Depth=4
	s_andn2_saveexec_b64 s[28:29], s[28:29]
; %bb.11766:                            ;   in Loop: Header=BB6_10588 Depth=4
	v_mov_b32_e32 v35, v2
; %bb.11767:                            ;   in Loop: Header=BB6_10588 Depth=4
	s_or_b64 exec, exec, s[28:29]
.LBB6_11768:                            ;   in Loop: Header=BB6_10588 Depth=4
	s_or_b64 exec, exec, s[38:39]
                                        ; implicit-def: $vgpr2
.LBB6_11769:                            ;   in Loop: Header=BB6_10588 Depth=4
	s_andn2_saveexec_b64 s[28:29], s[36:37]
; %bb.11770:                            ;   in Loop: Header=BB6_10588 Depth=4
	v_or_b32_e32 v35, 0x7b, v2
; %bb.11771:                            ;   in Loop: Header=BB6_10588 Depth=4
	s_or_b64 exec, exec, s[28:29]
                                        ; implicit-def: $vgpr5
.LBB6_11772:                            ;   in Loop: Header=BB6_10588 Depth=4
	s_andn2_saveexec_b64 s[28:29], s[34:35]
	s_cbranch_execz .LBB6_11778
; %bb.11773:                            ;   in Loop: Header=BB6_10588 Depth=4
	v_cmp_ne_u64_e32 vcc, 0, v[32:33]
                                        ; implicit-def: $vgpr35
	s_and_saveexec_b64 s[62:63], vcc
	s_xor_b64 vcc, exec, s[62:63]
; %bb.11774:                            ;   in Loop: Header=BB6_10588 Depth=4
	v_or_b32_sdwa v35, v5, s44 dst_sel:DWORD dst_unused:UNUSED_PAD src0_sel:BYTE_3 src1_sel:DWORD
                                        ; implicit-def: $vgpr5
; %bb.11775:                            ;   in Loop: Header=BB6_10588 Depth=4
	s_andn2_saveexec_b64 s[34:35], vcc
; %bb.11776:                            ;   in Loop: Header=BB6_10588 Depth=4
	v_cmp_lt_i32_e32 vcc, -1, v5
	v_mov_b32_e32 v2, 0x7c
	v_cndmask_b32_e32 v35, -4, v2, vcc
; %bb.11777:                            ;   in Loop: Header=BB6_10588 Depth=4
	s_or_b64 exec, exec, s[34:35]
.LBB6_11778:                            ;   in Loop: Header=BB6_10588 Depth=4
	s_or_b64 exec, exec, s[28:29]
	v_and_b32_e32 v16, 0xff, v48
	v_cmp_ne_u16_e32 vcc, 0, v16
	v_mov_b32_e32 v2, 0
	v_mov_b32_e32 v5, 0
	s_and_saveexec_b64 s[28:29], vcc
	s_cbranch_execz .LBB6_11786
; %bb.11779:                            ;   in Loop: Header=BB6_10588 Depth=4
	v_cmp_ne_u16_e32 vcc, s97, v16
	v_bfrev_b32_e32 v5, 1
	s_and_saveexec_b64 s[34:35], vcc
	s_cbranch_execz .LBB6_11785
; %bb.11780:                            ;   in Loop: Header=BB6_10588 Depth=4
	v_and_b32_e32 v5, 0x7c, v48
	v_and_b32_e32 v7, 3, v48
	v_cmp_ne_u32_e32 vcc, s86, v5
                                        ; implicit-def: $vgpr5
	s_and_saveexec_b64 s[62:63], vcc
	s_xor_b64 s[36:37], exec, s[62:63]
	s_cbranch_execz .LBB6_11782
; %bb.11781:                            ;   in Loop: Header=BB6_10588 Depth=4
	v_bfe_u32 v5, v16, 2, 5
	v_ffbh_u32_e32 v16, v7
	v_min_u32_e32 v25, 32, v16
	v_mov_b32_e32 v49, v33
	v_subrev_u32_e32 v16, 29, v25
	v_lshlrev_b64 v[16:17], v16, v[48:49]
	v_cmp_eq_u32_e32 vcc, 0, v5
	v_and_b32_e32 v16, 3, v16
	v_sub_u32_e32 v17, 30, v25
	v_cndmask_b32_e32 v7, v7, v16, vcc
	v_lshlrev_b32_e32 v16, 24, v48
	v_cndmask_b32_e32 v5, v5, v17, vcc
	v_and_b32_e32 v16, 0x80000000, v16
	v_lshl_add_u32 v5, v5, 23, v16
	v_lshl_or_b32 v5, v7, 21, v5
	v_add_u32_e32 v5, 0x38000000, v5
                                        ; implicit-def: $vgpr7
                                        ; implicit-def: $vgpr48
.LBB6_11782:                            ;   in Loop: Header=BB6_10588 Depth=4
	s_andn2_saveexec_b64 s[36:37], s[36:37]
; %bb.11783:                            ;   in Loop: Header=BB6_10588 Depth=4
	v_mov_b32_e32 v5, -1
	v_cmp_gt_i16_sdwa vcc, sext(v48), v5 src0_sel:BYTE_0 src1_sel:DWORD
	v_mov_b32_e32 v5, 0xff800000
	v_mov_b32_e32 v16, 0x7f800000
	v_cndmask_b32_e32 v5, v5, v16, vcc
	v_cmp_eq_u32_e32 vcc, 0, v7
	v_mov_b32_e32 v7, 0x7f800001
	v_cndmask_b32_e32 v5, v7, v5, vcc
; %bb.11784:                            ;   in Loop: Header=BB6_10588 Depth=4
	s_or_b64 exec, exec, s[36:37]
.LBB6_11785:                            ;   in Loop: Header=BB6_10588 Depth=4
	s_or_b64 exec, exec, s[34:35]
.LBB6_11786:                            ;   in Loop: Header=BB6_10588 Depth=4
	s_or_b64 exec, exec, s[28:29]
	v_cmp_ne_u16_e32 vcc, 0, v60
	s_and_saveexec_b64 s[28:29], vcc
	s_cbranch_execz .LBB6_11794
; %bb.11787:                            ;   in Loop: Header=BB6_10588 Depth=4
	v_cmp_ne_u16_e32 vcc, s46, v60
	v_bfrev_b32_e32 v2, 1
	s_and_saveexec_b64 s[34:35], vcc
	s_cbranch_execz .LBB6_11793
; %bb.11788:                            ;   in Loop: Header=BB6_10588 Depth=4
	v_and_b32_e32 v2, 0x7c, v60
	v_and_b32_e32 v7, 3, v60
	v_cmp_ne_u32_e32 vcc, s86, v2
                                        ; implicit-def: $vgpr2
	s_and_saveexec_b64 s[62:63], vcc
	s_xor_b64 s[36:37], exec, s[62:63]
	s_cbranch_execz .LBB6_11790
; %bb.11789:                            ;   in Loop: Header=BB6_10588 Depth=4
	v_ffbh_u32_e32 v16, v7
	v_min_u32_e32 v25, 32, v16
	v_mov_b32_e32 v61, v33
	v_subrev_u32_e32 v16, 29, v25
	v_lshlrev_b64 v[16:17], v16, v[60:61]
	buffer_load_dword v61, off, s[0:3], s33 offset:516 ; 4-byte Folded Reload
	v_and_b32_e32 v2, 0xff, v60
	v_bfe_u32 v2, v2, 2, 5
	v_sub_u32_e32 v17, 30, v25
	v_and_b32_e32 v16, 3, v16
	v_cmp_eq_u32_e32 vcc, 0, v2
	v_cndmask_b32_e32 v2, v2, v17, vcc
	v_cndmask_b32_e32 v7, v7, v16, vcc
	v_and_b32_sdwa v16, sext(v60), s87 dst_sel:DWORD dst_unused:UNUSED_PAD src0_sel:WORD_0 src1_sel:DWORD
	v_lshl_add_u32 v2, v2, 23, v16
	v_lshl_or_b32 v2, v7, 21, v2
	v_add_u32_e32 v2, 0x38000000, v2
                                        ; implicit-def: $vgpr7
                                        ; implicit-def: $vgpr60
.LBB6_11790:                            ;   in Loop: Header=BB6_10588 Depth=4
	s_andn2_saveexec_b64 s[36:37], s[36:37]
; %bb.11791:                            ;   in Loop: Header=BB6_10588 Depth=4
	v_cmp_lt_i16_e32 vcc, -1, v60
	v_mov_b32_e32 v2, 0xff800000
	v_mov_b32_e32 v16, 0x7f800000
	v_cndmask_b32_e32 v2, v2, v16, vcc
	v_cmp_eq_u32_e32 vcc, 0, v7
	v_mov_b32_e32 v7, 0x7f800001
	v_cndmask_b32_e32 v2, v7, v2, vcc
; %bb.11792:                            ;   in Loop: Header=BB6_10588 Depth=4
	s_or_b64 exec, exec, s[36:37]
.LBB6_11793:                            ;   in Loop: Header=BB6_10588 Depth=4
	s_or_b64 exec, exec, s[34:35]
.LBB6_11794:                            ;   in Loop: Header=BB6_10588 Depth=4
	s_or_b64 exec, exec, s[28:29]
	v_add_f32_e32 v5, v5, v2
	v_and_b32_e32 v16, 0x7f800000, v5
	v_mov_b32_e32 v17, v33
	v_cmp_ne_u64_e32 vcc, s[76:77], v[16:17]
	v_and_b32_e32 v32, 0x7fffff, v5
                                        ; implicit-def: $vgpr36
	s_and_saveexec_b64 s[28:29], vcc
	s_xor_b64 s[34:35], exec, s[28:29]
	s_cbranch_execz .LBB6_11812
; %bb.11795:                            ;   in Loop: Header=BB6_10588 Depth=4
	v_and_b32_e32 v16, 0x7fffffff, v5
	v_mov_b32_e32 v17, v33
	v_cmp_gt_u64_e32 vcc, s[78:79], v[16:17]
	v_and_b32_sdwa v2, v5, s97 dst_sel:DWORD dst_unused:UNUSED_PAD src0_sel:BYTE_3 src1_sel:DWORD
                                        ; implicit-def: $vgpr36
	s_and_saveexec_b64 s[28:29], vcc
	s_xor_b64 s[36:37], exec, s[28:29]
	s_cbranch_execz .LBB6_11809
; %bb.11796:                            ;   in Loop: Header=BB6_10588 Depth=4
	v_cmp_ne_u32_e32 vcc, 0, v5
	v_mov_b32_e32 v36, 0
	s_and_saveexec_b64 s[38:39], vcc
	s_cbranch_execz .LBB6_11808
; %bb.11797:                            ;   in Loop: Header=BB6_10588 Depth=4
	v_bfe_u32 v5, v5, 23, 8
	v_cmp_gt_u32_e64 s[28:29], s47, v5
	v_sub_u32_e32 v7, 0x71, v5
	v_cmp_eq_u32_e32 vcc, 0, v5
	v_cndmask_b32_e64 v7, 0, v7, s[28:29]
	v_mov_b32_e32 v17, 0x70
	v_cndmask_b32_e32 v7, v7, v17, vcc
	v_or_b32_e32 v16, 0x800000, v32
	v_add_u32_e32 v25, 21, v7
	v_cndmask_b32_e32 v16, v16, v32, vcc
	v_lshlrev_b64 v[31:32], v25, -1
	v_mov_b32_e32 v17, v33
	v_add_u32_e32 v25, 20, v7
	v_bfi_b32 v31, v31, 0, v16
	v_lshlrev_b64 v[48:49], v25, 1
	v_lshrrev_b64 v[16:17], v7, v[16:17]
	v_bfi_b32 v32, v32, 0, 0
	v_cmp_eq_u64_e64 s[28:29], v[31:32], v[48:49]
	v_mov_b32_e32 v32, v17
	v_mov_b32_e32 v31, v16
	s_and_saveexec_b64 s[48:49], s[28:29]
; %bb.11798:                            ;   in Loop: Header=BB6_10588 Depth=4
	v_bfe_u32 v17, v16, 21, 1
	v_add_co_u32_e64 v17, s[28:29], v16, v17
	v_add_co_u32_e64 v31, s[28:29], -1, v17
; %bb.11799:                            ;   in Loop: Header=BB6_10588 Depth=4
	s_or_b64 exec, exec, s[48:49]
	v_add_u32_e32 v5, 0xffffff81, v5
	v_mov_b32_e32 v17, 0xffffff82
	v_cndmask_b32_e32 v5, v5, v17, vcc
	v_lshrrev_b32_e32 v17, 23, v16
	v_add3_u32 v25, v7, v5, v17
	v_add_u32_e32 v7, 14, v25
	v_and_b32_e32 v5, 0x1fffff, v31
	v_add_u32_e32 v32, v5, v16
	v_cmp_ne_u32_e32 vcc, 0, v7
                                        ; implicit-def: $vgpr16_vgpr17
                                        ; implicit-def: $vgpr5
	s_and_saveexec_b64 s[28:29], vcc
	s_xor_b64 s[28:29], exec, s[28:29]
; %bb.11800:                            ;   in Loop: Header=BB6_10588 Depth=4
	v_cmp_lt_u64_e32 vcc, s[88:89], v[32:33]
	v_add_u32_e32 v5, 15, v25
	v_cndmask_b32_e32 v5, v7, v5, vcc
	v_cndmask_b32_e64 v7, 0, 1, vcc
	v_lshrrev_b64 v[16:17], v7, v[32:33]
; %bb.11801:                            ;   in Loop: Header=BB6_10588 Depth=4
	s_andn2_saveexec_b64 s[28:29], s[28:29]
; %bb.11802:                            ;   in Loop: Header=BB6_10588 Depth=4
	v_mov_b32_e32 v16, v32
	v_mov_b32_e32 v17, v33
	v_bfe_u32 v5, v32, 23, 1
; %bb.11803:                            ;   in Loop: Header=BB6_10588 Depth=4
	s_or_b64 exec, exec, s[28:29]
	v_lshrrev_b64 v[16:17], 21, v[16:17]
	v_cmp_gt_i32_e32 vcc, 32, v5
	v_cndmask_b32_e32 v17, 0, v17, vcc
	v_cndmask_b32_e32 v16, 3, v16, vcc
	v_cmp_ne_u64_e32 vcc, 0, v[16:17]
	v_cmp_ne_u32_e64 s[28:29], 0, v5
	s_or_b64 s[28:29], s[28:29], vcc
                                        ; implicit-def: $vgpr36
	s_and_saveexec_b64 s[62:63], s[28:29]
	s_xor_b64 s[28:29], exec, s[62:63]
; %bb.11804:                            ;   in Loop: Header=BB6_10588 Depth=4
	v_min_i32_e32 v5, 31, v5
	v_lshl_or_b32 v2, v5, 2, v2
	v_and_or_b32 v36, v16, 3, v2
                                        ; implicit-def: $vgpr2
; %bb.11805:                            ;   in Loop: Header=BB6_10588 Depth=4
	s_andn2_saveexec_b64 s[28:29], s[28:29]
; %bb.11806:                            ;   in Loop: Header=BB6_10588 Depth=4
	v_mov_b32_e32 v36, v2
; %bb.11807:                            ;   in Loop: Header=BB6_10588 Depth=4
	s_or_b64 exec, exec, s[28:29]
.LBB6_11808:                            ;   in Loop: Header=BB6_10588 Depth=4
	s_or_b64 exec, exec, s[38:39]
                                        ; implicit-def: $vgpr2
.LBB6_11809:                            ;   in Loop: Header=BB6_10588 Depth=4
	s_andn2_saveexec_b64 s[28:29], s[36:37]
; %bb.11810:                            ;   in Loop: Header=BB6_10588 Depth=4
	v_or_b32_e32 v36, 0x7b, v2
; %bb.11811:                            ;   in Loop: Header=BB6_10588 Depth=4
	s_or_b64 exec, exec, s[28:29]
                                        ; implicit-def: $vgpr5
.LBB6_11812:                            ;   in Loop: Header=BB6_10588 Depth=4
	s_andn2_saveexec_b64 s[28:29], s[34:35]
	s_cbranch_execz .LBB6_11818
; %bb.11813:                            ;   in Loop: Header=BB6_10588 Depth=4
	v_cmp_ne_u64_e32 vcc, 0, v[32:33]
                                        ; implicit-def: $vgpr36
	s_and_saveexec_b64 s[62:63], vcc
	s_xor_b64 vcc, exec, s[62:63]
; %bb.11814:                            ;   in Loop: Header=BB6_10588 Depth=4
	v_or_b32_sdwa v36, v5, s44 dst_sel:DWORD dst_unused:UNUSED_PAD src0_sel:BYTE_3 src1_sel:DWORD
                                        ; implicit-def: $vgpr5
; %bb.11815:                            ;   in Loop: Header=BB6_10588 Depth=4
	s_andn2_saveexec_b64 s[34:35], vcc
; %bb.11816:                            ;   in Loop: Header=BB6_10588 Depth=4
	v_cmp_lt_i32_e32 vcc, -1, v5
	v_mov_b32_e32 v2, 0x7c
	v_cndmask_b32_e32 v36, -4, v2, vcc
; %bb.11817:                            ;   in Loop: Header=BB6_10588 Depth=4
	s_or_b64 exec, exec, s[34:35]
.LBB6_11818:                            ;   in Loop: Header=BB6_10588 Depth=4
	s_or_b64 exec, exec, s[28:29]
	v_and_b32_e32 v16, 0xff, v40
	v_cmp_ne_u16_e32 vcc, 0, v16
	v_mov_b32_e32 v2, 0
	v_mov_b32_e32 v5, 0
	s_and_saveexec_b64 s[28:29], vcc
	s_cbranch_execz .LBB6_11826
; %bb.11819:                            ;   in Loop: Header=BB6_10588 Depth=4
	v_cmp_ne_u16_e32 vcc, s97, v16
	v_bfrev_b32_e32 v5, 1
	s_and_saveexec_b64 s[34:35], vcc
	s_cbranch_execz .LBB6_11825
; %bb.11820:                            ;   in Loop: Header=BB6_10588 Depth=4
	v_and_b32_e32 v5, 0x7c, v40
	v_and_b32_e32 v7, 3, v40
	v_cmp_ne_u32_e32 vcc, s86, v5
                                        ; implicit-def: $vgpr5
	s_and_saveexec_b64 s[62:63], vcc
	s_xor_b64 s[36:37], exec, s[62:63]
	s_cbranch_execz .LBB6_11822
; %bb.11821:                            ;   in Loop: Header=BB6_10588 Depth=4
	v_bfe_u32 v5, v16, 2, 5
	v_ffbh_u32_e32 v16, v7
	v_min_u32_e32 v25, 32, v16
	v_mov_b32_e32 v41, v33
	v_subrev_u32_e32 v16, 29, v25
	v_lshlrev_b64 v[16:17], v16, v[40:41]
	v_cmp_eq_u32_e32 vcc, 0, v5
	v_and_b32_e32 v16, 3, v16
	v_sub_u32_e32 v17, 30, v25
	v_cndmask_b32_e32 v7, v7, v16, vcc
	v_lshlrev_b32_e32 v16, 24, v40
	v_cndmask_b32_e32 v5, v5, v17, vcc
	v_and_b32_e32 v16, 0x80000000, v16
	v_lshl_add_u32 v5, v5, 23, v16
	v_lshl_or_b32 v5, v7, 21, v5
	v_add_u32_e32 v5, 0x38000000, v5
                                        ; implicit-def: $vgpr7
                                        ; implicit-def: $vgpr40
.LBB6_11822:                            ;   in Loop: Header=BB6_10588 Depth=4
	s_andn2_saveexec_b64 s[36:37], s[36:37]
; %bb.11823:                            ;   in Loop: Header=BB6_10588 Depth=4
	v_mov_b32_e32 v5, -1
	v_cmp_gt_i16_sdwa vcc, sext(v40), v5 src0_sel:BYTE_0 src1_sel:DWORD
	v_mov_b32_e32 v5, 0xff800000
	v_mov_b32_e32 v16, 0x7f800000
	v_cndmask_b32_e32 v5, v5, v16, vcc
	v_cmp_eq_u32_e32 vcc, 0, v7
	v_mov_b32_e32 v7, 0x7f800001
	v_cndmask_b32_e32 v5, v7, v5, vcc
; %bb.11824:                            ;   in Loop: Header=BB6_10588 Depth=4
	s_or_b64 exec, exec, s[36:37]
.LBB6_11825:                            ;   in Loop: Header=BB6_10588 Depth=4
	s_or_b64 exec, exec, s[34:35]
.LBB6_11826:                            ;   in Loop: Header=BB6_10588 Depth=4
	s_or_b64 exec, exec, s[28:29]
	v_cmp_ne_u16_e32 vcc, 0, v47
	s_and_saveexec_b64 s[28:29], vcc
	s_cbranch_execz .LBB6_11834
; %bb.11827:                            ;   in Loop: Header=BB6_10588 Depth=4
	v_cmp_ne_u16_e32 vcc, s46, v47
	v_bfrev_b32_e32 v2, 1
	s_and_saveexec_b64 s[34:35], vcc
	s_cbranch_execz .LBB6_11833
; %bb.11828:                            ;   in Loop: Header=BB6_10588 Depth=4
	v_and_b32_e32 v2, 0x7c, v47
	v_and_b32_e32 v7, 3, v47
	v_cmp_ne_u32_e32 vcc, s86, v2
                                        ; implicit-def: $vgpr2
	s_and_saveexec_b64 s[62:63], vcc
	s_xor_b64 s[36:37], exec, s[62:63]
	s_cbranch_execz .LBB6_11830
; %bb.11829:                            ;   in Loop: Header=BB6_10588 Depth=4
	v_ffbh_u32_e32 v16, v7
	v_min_u32_e32 v25, 32, v16
	v_mov_b32_e32 v48, v33
	v_subrev_u32_e32 v16, 29, v25
	v_and_b32_e32 v2, 0xff, v47
	v_lshlrev_b64 v[16:17], v16, v[47:48]
	v_bfe_u32 v2, v2, 2, 5
	v_sub_u32_e32 v17, 30, v25
	v_and_b32_e32 v16, 3, v16
	v_cmp_eq_u32_e32 vcc, 0, v2
	v_cndmask_b32_e32 v2, v2, v17, vcc
	v_cndmask_b32_e32 v7, v7, v16, vcc
	v_and_b32_sdwa v16, sext(v47), s87 dst_sel:DWORD dst_unused:UNUSED_PAD src0_sel:WORD_0 src1_sel:DWORD
	v_lshl_add_u32 v2, v2, 23, v16
	v_lshl_or_b32 v2, v7, 21, v2
	v_add_u32_e32 v2, 0x38000000, v2
                                        ; implicit-def: $vgpr7
                                        ; implicit-def: $vgpr47
.LBB6_11830:                            ;   in Loop: Header=BB6_10588 Depth=4
	s_andn2_saveexec_b64 s[36:37], s[36:37]
; %bb.11831:                            ;   in Loop: Header=BB6_10588 Depth=4
	v_cmp_lt_i16_e32 vcc, -1, v47
	v_mov_b32_e32 v2, 0xff800000
	v_mov_b32_e32 v16, 0x7f800000
	v_cndmask_b32_e32 v2, v2, v16, vcc
	v_cmp_eq_u32_e32 vcc, 0, v7
	v_mov_b32_e32 v7, 0x7f800001
	v_cndmask_b32_e32 v2, v7, v2, vcc
; %bb.11832:                            ;   in Loop: Header=BB6_10588 Depth=4
	s_or_b64 exec, exec, s[36:37]
.LBB6_11833:                            ;   in Loop: Header=BB6_10588 Depth=4
	s_or_b64 exec, exec, s[34:35]
.LBB6_11834:                            ;   in Loop: Header=BB6_10588 Depth=4
	s_or_b64 exec, exec, s[28:29]
	v_add_f32_e32 v5, v5, v2
	v_and_b32_e32 v16, 0x7f800000, v5
	v_mov_b32_e32 v17, v33
	v_cmp_ne_u64_e32 vcc, s[76:77], v[16:17]
	v_and_b32_e32 v32, 0x7fffff, v5
                                        ; implicit-def: $vgpr48
	s_and_saveexec_b64 s[28:29], vcc
	s_xor_b64 s[34:35], exec, s[28:29]
	s_cbranch_execz .LBB6_11852
; %bb.11835:                            ;   in Loop: Header=BB6_10588 Depth=4
	v_and_b32_e32 v16, 0x7fffffff, v5
	v_mov_b32_e32 v17, v33
	v_cmp_gt_u64_e32 vcc, s[78:79], v[16:17]
	v_and_b32_sdwa v2, v5, s97 dst_sel:DWORD dst_unused:UNUSED_PAD src0_sel:BYTE_3 src1_sel:DWORD
                                        ; implicit-def: $vgpr48
	s_and_saveexec_b64 s[28:29], vcc
	s_xor_b64 s[36:37], exec, s[28:29]
	s_cbranch_execz .LBB6_11849
; %bb.11836:                            ;   in Loop: Header=BB6_10588 Depth=4
	v_cmp_ne_u32_e32 vcc, 0, v5
	v_mov_b32_e32 v48, 0
	s_and_saveexec_b64 s[38:39], vcc
	s_cbranch_execz .LBB6_11848
; %bb.11837:                            ;   in Loop: Header=BB6_10588 Depth=4
	v_bfe_u32 v5, v5, 23, 8
	v_cmp_gt_u32_e64 s[28:29], s47, v5
	v_sub_u32_e32 v7, 0x71, v5
	v_cmp_eq_u32_e32 vcc, 0, v5
	v_cndmask_b32_e64 v7, 0, v7, s[28:29]
	v_mov_b32_e32 v17, 0x70
	v_cndmask_b32_e32 v7, v7, v17, vcc
	v_or_b32_e32 v16, 0x800000, v32
	v_add_u32_e32 v25, 21, v7
	v_cndmask_b32_e32 v16, v16, v32, vcc
	v_lshlrev_b64 v[31:32], v25, -1
	v_mov_b32_e32 v17, v33
	v_add_u32_e32 v25, 20, v7
	v_bfi_b32 v31, v31, 0, v16
	v_lshlrev_b64 v[48:49], v25, 1
	v_lshrrev_b64 v[16:17], v7, v[16:17]
	v_bfi_b32 v32, v32, 0, 0
	v_cmp_eq_u64_e64 s[28:29], v[31:32], v[48:49]
	v_mov_b32_e32 v32, v17
	v_mov_b32_e32 v31, v16
	s_and_saveexec_b64 s[48:49], s[28:29]
; %bb.11838:                            ;   in Loop: Header=BB6_10588 Depth=4
	v_bfe_u32 v17, v16, 21, 1
	v_add_co_u32_e64 v17, s[28:29], v16, v17
	v_add_co_u32_e64 v31, s[28:29], -1, v17
; %bb.11839:                            ;   in Loop: Header=BB6_10588 Depth=4
	s_or_b64 exec, exec, s[48:49]
	v_add_u32_e32 v5, 0xffffff81, v5
	v_mov_b32_e32 v17, 0xffffff82
	v_cndmask_b32_e32 v5, v5, v17, vcc
	v_lshrrev_b32_e32 v17, 23, v16
	v_add3_u32 v25, v7, v5, v17
	v_add_u32_e32 v7, 14, v25
	v_and_b32_e32 v5, 0x1fffff, v31
	v_add_u32_e32 v32, v5, v16
	v_cmp_ne_u32_e32 vcc, 0, v7
                                        ; implicit-def: $vgpr16_vgpr17
                                        ; implicit-def: $vgpr5
	s_and_saveexec_b64 s[28:29], vcc
	s_xor_b64 s[28:29], exec, s[28:29]
; %bb.11840:                            ;   in Loop: Header=BB6_10588 Depth=4
	v_cmp_lt_u64_e32 vcc, s[88:89], v[32:33]
	v_add_u32_e32 v5, 15, v25
	v_cndmask_b32_e32 v5, v7, v5, vcc
	v_cndmask_b32_e64 v7, 0, 1, vcc
	v_lshrrev_b64 v[16:17], v7, v[32:33]
; %bb.11841:                            ;   in Loop: Header=BB6_10588 Depth=4
	s_andn2_saveexec_b64 s[28:29], s[28:29]
; %bb.11842:                            ;   in Loop: Header=BB6_10588 Depth=4
	v_mov_b32_e32 v16, v32
	v_mov_b32_e32 v17, v33
	v_bfe_u32 v5, v32, 23, 1
; %bb.11843:                            ;   in Loop: Header=BB6_10588 Depth=4
	s_or_b64 exec, exec, s[28:29]
	v_lshrrev_b64 v[16:17], 21, v[16:17]
	v_cmp_gt_i32_e32 vcc, 32, v5
	v_cndmask_b32_e32 v17, 0, v17, vcc
	v_cndmask_b32_e32 v16, 3, v16, vcc
	v_cmp_ne_u64_e32 vcc, 0, v[16:17]
	v_cmp_ne_u32_e64 s[28:29], 0, v5
	s_or_b64 s[28:29], s[28:29], vcc
                                        ; implicit-def: $vgpr48
	s_and_saveexec_b64 s[62:63], s[28:29]
	s_xor_b64 s[28:29], exec, s[62:63]
; %bb.11844:                            ;   in Loop: Header=BB6_10588 Depth=4
	v_min_i32_e32 v5, 31, v5
	v_lshl_or_b32 v2, v5, 2, v2
	v_and_or_b32 v48, v16, 3, v2
                                        ; implicit-def: $vgpr2
; %bb.11845:                            ;   in Loop: Header=BB6_10588 Depth=4
	s_andn2_saveexec_b64 s[28:29], s[28:29]
; %bb.11846:                            ;   in Loop: Header=BB6_10588 Depth=4
	v_mov_b32_e32 v48, v2
; %bb.11847:                            ;   in Loop: Header=BB6_10588 Depth=4
	s_or_b64 exec, exec, s[28:29]
.LBB6_11848:                            ;   in Loop: Header=BB6_10588 Depth=4
	s_or_b64 exec, exec, s[38:39]
                                        ; implicit-def: $vgpr2
.LBB6_11849:                            ;   in Loop: Header=BB6_10588 Depth=4
	s_andn2_saveexec_b64 s[28:29], s[36:37]
; %bb.11850:                            ;   in Loop: Header=BB6_10588 Depth=4
	v_or_b32_e32 v48, 0x7b, v2
; %bb.11851:                            ;   in Loop: Header=BB6_10588 Depth=4
	s_or_b64 exec, exec, s[28:29]
                                        ; implicit-def: $vgpr5
.LBB6_11852:                            ;   in Loop: Header=BB6_10588 Depth=4
	s_andn2_saveexec_b64 s[28:29], s[34:35]
	s_cbranch_execz .LBB6_11858
; %bb.11853:                            ;   in Loop: Header=BB6_10588 Depth=4
	v_cmp_ne_u64_e32 vcc, 0, v[32:33]
                                        ; implicit-def: $vgpr48
	s_and_saveexec_b64 s[62:63], vcc
	s_xor_b64 vcc, exec, s[62:63]
; %bb.11854:                            ;   in Loop: Header=BB6_10588 Depth=4
	v_or_b32_sdwa v48, v5, s44 dst_sel:DWORD dst_unused:UNUSED_PAD src0_sel:BYTE_3 src1_sel:DWORD
                                        ; implicit-def: $vgpr5
; %bb.11855:                            ;   in Loop: Header=BB6_10588 Depth=4
	s_andn2_saveexec_b64 s[34:35], vcc
; %bb.11856:                            ;   in Loop: Header=BB6_10588 Depth=4
	v_cmp_lt_i32_e32 vcc, -1, v5
	v_mov_b32_e32 v2, 0x7c
	v_cndmask_b32_e32 v48, -4, v2, vcc
; %bb.11857:                            ;   in Loop: Header=BB6_10588 Depth=4
	s_or_b64 exec, exec, s[34:35]
.LBB6_11858:                            ;   in Loop: Header=BB6_10588 Depth=4
	s_or_b64 exec, exec, s[28:29]
	buffer_load_dword v16, off, s[0:3], s33 offset:260 ; 4-byte Folded Reload
	buffer_load_dword v17, off, s[0:3], s33 offset:264 ; 4-byte Folded Reload
	v_mov_b32_e32 v2, 0
	v_mov_b32_e32 v5, 0
	s_waitcnt vmcnt(1)
	v_and_b32_e32 v16, 0xff, v16
	v_cmp_ne_u16_e32 vcc, 0, v16
	s_and_saveexec_b64 s[28:29], vcc
	s_cbranch_execz .LBB6_11866
; %bb.11859:                            ;   in Loop: Header=BB6_10588 Depth=4
	v_cmp_ne_u16_e32 vcc, s97, v16
	v_bfrev_b32_e32 v5, 1
	s_and_saveexec_b64 s[34:35], vcc
	s_cbranch_execz .LBB6_11865
; %bb.11860:                            ;   in Loop: Header=BB6_10588 Depth=4
	buffer_load_dword v31, off, s[0:3], s33 offset:260 ; 4-byte Folded Reload
	buffer_load_dword v32, off, s[0:3], s33 offset:264 ; 4-byte Folded Reload
	s_waitcnt vmcnt(1)
	v_mov_b32_e32 v5, v31
	v_and_b32_e32 v7, 3, v5
	v_and_b32_e32 v5, 0x7c, v5
	v_cmp_ne_u32_e32 vcc, s86, v5
                                        ; implicit-def: $vgpr5
	s_and_saveexec_b64 s[62:63], vcc
	s_xor_b64 s[36:37], exec, s[62:63]
	s_cbranch_execz .LBB6_11862
; %bb.11861:                            ;   in Loop: Header=BB6_10588 Depth=4
	buffer_load_dword v31, off, s[0:3], s33 offset:260 ; 4-byte Folded Reload
	buffer_load_dword v32, off, s[0:3], s33 offset:264 ; 4-byte Folded Reload
	v_bfe_u32 v5, v16, 2, 5
	v_ffbh_u32_e32 v16, v7
	v_min_u32_e32 v25, 32, v16
	s_waitcnt vmcnt(0)
	v_mov_b32_e32 v32, v33
	v_subrev_u32_e32 v16, 29, v25
	v_cmp_eq_u32_e32 vcc, 0, v5
	v_lshlrev_b64 v[16:17], v16, v[31:32]
	v_sub_u32_e32 v17, 30, v25
	v_and_b32_e32 v16, 3, v16
	v_cndmask_b32_e32 v7, v7, v16, vcc
	v_lshlrev_b32_e32 v16, 24, v31
	v_cndmask_b32_e32 v5, v5, v17, vcc
	v_and_b32_e32 v16, 0x80000000, v16
	v_lshl_add_u32 v5, v5, 23, v16
	v_lshl_or_b32 v5, v7, 21, v5
	v_add_u32_e32 v5, 0x38000000, v5
                                        ; implicit-def: $vgpr16
                                        ; implicit-def: $vgpr7
	buffer_store_dword v16, off, s[0:3], s33 offset:260 ; 4-byte Folded Spill
	s_nop 0
	buffer_store_dword v17, off, s[0:3], s33 offset:264 ; 4-byte Folded Spill
.LBB6_11862:                            ;   in Loop: Header=BB6_10588 Depth=4
	s_andn2_saveexec_b64 s[36:37], s[36:37]
	s_cbranch_execz .LBB6_11864
; %bb.11863:                            ;   in Loop: Header=BB6_10588 Depth=4
	buffer_load_dword v16, off, s[0:3], s33 offset:260 ; 4-byte Folded Reload
	buffer_load_dword v17, off, s[0:3], s33 offset:264 ; 4-byte Folded Reload
	v_mov_b32_e32 v5, -1
	s_waitcnt vmcnt(1)
	v_cmp_gt_i16_sdwa vcc, sext(v16), v5 src0_sel:BYTE_0 src1_sel:DWORD
	v_mov_b32_e32 v5, 0xff800000
	v_mov_b32_e32 v16, 0x7f800000
	v_cndmask_b32_e32 v5, v5, v16, vcc
	v_cmp_eq_u32_e32 vcc, 0, v7
	v_mov_b32_e32 v7, 0x7f800001
	v_cndmask_b32_e32 v5, v7, v5, vcc
.LBB6_11864:                            ;   in Loop: Header=BB6_10588 Depth=4
	s_or_b64 exec, exec, s[36:37]
.LBB6_11865:                            ;   in Loop: Header=BB6_10588 Depth=4
	s_or_b64 exec, exec, s[34:35]
.LBB6_11866:                            ;   in Loop: Header=BB6_10588 Depth=4
	s_or_b64 exec, exec, s[28:29]
	v_cmp_ne_u16_e32 vcc, 0, v59
	s_and_saveexec_b64 s[28:29], vcc
	s_cbranch_execz .LBB6_11874
; %bb.11867:                            ;   in Loop: Header=BB6_10588 Depth=4
	v_cmp_ne_u16_e32 vcc, s46, v59
	v_bfrev_b32_e32 v2, 1
	s_and_saveexec_b64 s[34:35], vcc
	s_cbranch_execz .LBB6_11873
; %bb.11868:                            ;   in Loop: Header=BB6_10588 Depth=4
	v_and_b32_e32 v2, 0x7c, v59
	v_and_b32_e32 v7, 3, v59
	v_cmp_ne_u32_e32 vcc, s86, v2
                                        ; implicit-def: $vgpr2
	s_and_saveexec_b64 s[62:63], vcc
	s_xor_b64 s[36:37], exec, s[62:63]
	s_cbranch_execz .LBB6_11870
; %bb.11869:                            ;   in Loop: Header=BB6_10588 Depth=4
	v_ffbh_u32_e32 v16, v7
	v_min_u32_e32 v25, 32, v16
	v_mov_b32_e32 v60, v33
	v_subrev_u32_e32 v16, 29, v25
	v_and_b32_e32 v2, 0xff, v59
	s_waitcnt vmcnt(0)
	v_lshlrev_b64 v[16:17], v16, v[59:60]
	v_bfe_u32 v2, v2, 2, 5
	v_sub_u32_e32 v17, 30, v25
	v_and_b32_e32 v16, 3, v16
	v_cmp_eq_u32_e32 vcc, 0, v2
	v_cndmask_b32_e32 v2, v2, v17, vcc
	v_cndmask_b32_e32 v7, v7, v16, vcc
	v_and_b32_sdwa v16, sext(v59), s87 dst_sel:DWORD dst_unused:UNUSED_PAD src0_sel:WORD_0 src1_sel:DWORD
	v_lshl_add_u32 v2, v2, 23, v16
	v_lshl_or_b32 v2, v7, 21, v2
	v_add_u32_e32 v2, 0x38000000, v2
                                        ; implicit-def: $vgpr7
                                        ; implicit-def: $vgpr59
.LBB6_11870:                            ;   in Loop: Header=BB6_10588 Depth=4
	s_andn2_saveexec_b64 s[36:37], s[36:37]
; %bb.11871:                            ;   in Loop: Header=BB6_10588 Depth=4
	v_cmp_lt_i16_e32 vcc, -1, v59
	v_mov_b32_e32 v2, 0xff800000
	v_mov_b32_e32 v16, 0x7f800000
	v_cndmask_b32_e32 v2, v2, v16, vcc
	v_cmp_eq_u32_e32 vcc, 0, v7
	v_mov_b32_e32 v7, 0x7f800001
	v_cndmask_b32_e32 v2, v7, v2, vcc
; %bb.11872:                            ;   in Loop: Header=BB6_10588 Depth=4
	s_or_b64 exec, exec, s[36:37]
.LBB6_11873:                            ;   in Loop: Header=BB6_10588 Depth=4
	s_or_b64 exec, exec, s[34:35]
.LBB6_11874:                            ;   in Loop: Header=BB6_10588 Depth=4
	s_or_b64 exec, exec, s[28:29]
	v_add_f32_e32 v5, v5, v2
	v_and_b32_e32 v16, 0x7f800000, v5
	s_waitcnt vmcnt(0)
	v_mov_b32_e32 v17, v33
	v_cmp_ne_u64_e32 vcc, s[76:77], v[16:17]
	v_and_b32_e32 v32, 0x7fffff, v5
                                        ; implicit-def: $vgpr49
	s_and_saveexec_b64 s[28:29], vcc
	s_xor_b64 s[34:35], exec, s[28:29]
	s_cbranch_execz .LBB6_11892
; %bb.11875:                            ;   in Loop: Header=BB6_10588 Depth=4
	v_and_b32_e32 v16, 0x7fffffff, v5
	v_mov_b32_e32 v17, v33
	v_cmp_gt_u64_e32 vcc, s[78:79], v[16:17]
	v_and_b32_sdwa v2, v5, s97 dst_sel:DWORD dst_unused:UNUSED_PAD src0_sel:BYTE_3 src1_sel:DWORD
                                        ; implicit-def: $vgpr49
	s_and_saveexec_b64 s[28:29], vcc
	s_xor_b64 s[36:37], exec, s[28:29]
	s_cbranch_execz .LBB6_11889
; %bb.11876:                            ;   in Loop: Header=BB6_10588 Depth=4
	v_cmp_ne_u32_e32 vcc, 0, v5
	v_mov_b32_e32 v49, 0
	s_and_saveexec_b64 s[38:39], vcc
	s_cbranch_execz .LBB6_11888
; %bb.11877:                            ;   in Loop: Header=BB6_10588 Depth=4
	v_bfe_u32 v5, v5, 23, 8
	v_cmp_gt_u32_e64 s[28:29], s47, v5
	v_sub_u32_e32 v7, 0x71, v5
	v_cmp_eq_u32_e32 vcc, 0, v5
	v_cndmask_b32_e64 v7, 0, v7, s[28:29]
	v_mov_b32_e32 v17, 0x70
	v_cndmask_b32_e32 v7, v7, v17, vcc
	v_or_b32_e32 v16, 0x800000, v32
	v_add_u32_e32 v25, 21, v7
	v_cndmask_b32_e32 v16, v16, v32, vcc
	v_lshlrev_b64 v[31:32], v25, -1
	v_mov_b32_e32 v17, v33
	v_add_u32_e32 v25, 20, v7
	v_bfi_b32 v31, v31, 0, v16
	v_lshlrev_b64 v[49:50], v25, 1
	v_lshrrev_b64 v[16:17], v7, v[16:17]
	v_bfi_b32 v32, v32, 0, 0
	v_cmp_eq_u64_e64 s[28:29], v[31:32], v[49:50]
	v_mov_b32_e32 v32, v17
	v_mov_b32_e32 v31, v16
	s_and_saveexec_b64 s[48:49], s[28:29]
; %bb.11878:                            ;   in Loop: Header=BB6_10588 Depth=4
	v_bfe_u32 v17, v16, 21, 1
	v_add_co_u32_e64 v17, s[28:29], v16, v17
	v_add_co_u32_e64 v31, s[28:29], -1, v17
; %bb.11879:                            ;   in Loop: Header=BB6_10588 Depth=4
	s_or_b64 exec, exec, s[48:49]
	v_add_u32_e32 v5, 0xffffff81, v5
	v_mov_b32_e32 v17, 0xffffff82
	v_cndmask_b32_e32 v5, v5, v17, vcc
	v_lshrrev_b32_e32 v17, 23, v16
	v_add3_u32 v25, v7, v5, v17
	v_add_u32_e32 v7, 14, v25
	v_and_b32_e32 v5, 0x1fffff, v31
	v_add_u32_e32 v32, v5, v16
	v_cmp_ne_u32_e32 vcc, 0, v7
                                        ; implicit-def: $vgpr16_vgpr17
                                        ; implicit-def: $vgpr5
	s_and_saveexec_b64 s[28:29], vcc
	s_xor_b64 s[28:29], exec, s[28:29]
; %bb.11880:                            ;   in Loop: Header=BB6_10588 Depth=4
	v_cmp_lt_u64_e32 vcc, s[88:89], v[32:33]
	v_add_u32_e32 v5, 15, v25
	v_cndmask_b32_e32 v5, v7, v5, vcc
	v_cndmask_b32_e64 v7, 0, 1, vcc
	v_lshrrev_b64 v[16:17], v7, v[32:33]
; %bb.11881:                            ;   in Loop: Header=BB6_10588 Depth=4
	s_andn2_saveexec_b64 s[28:29], s[28:29]
; %bb.11882:                            ;   in Loop: Header=BB6_10588 Depth=4
	v_mov_b32_e32 v16, v32
	v_mov_b32_e32 v17, v33
	v_bfe_u32 v5, v32, 23, 1
; %bb.11883:                            ;   in Loop: Header=BB6_10588 Depth=4
	s_or_b64 exec, exec, s[28:29]
	v_lshrrev_b64 v[16:17], 21, v[16:17]
	v_cmp_gt_i32_e32 vcc, 32, v5
	v_cndmask_b32_e32 v17, 0, v17, vcc
	v_cndmask_b32_e32 v16, 3, v16, vcc
	v_cmp_ne_u64_e32 vcc, 0, v[16:17]
	v_cmp_ne_u32_e64 s[28:29], 0, v5
	s_or_b64 s[28:29], s[28:29], vcc
                                        ; implicit-def: $vgpr49
	s_and_saveexec_b64 s[62:63], s[28:29]
	s_xor_b64 s[28:29], exec, s[62:63]
; %bb.11884:                            ;   in Loop: Header=BB6_10588 Depth=4
	v_min_i32_e32 v5, 31, v5
	v_lshl_or_b32 v2, v5, 2, v2
	v_and_or_b32 v49, v16, 3, v2
                                        ; implicit-def: $vgpr2
; %bb.11885:                            ;   in Loop: Header=BB6_10588 Depth=4
	s_andn2_saveexec_b64 s[28:29], s[28:29]
; %bb.11886:                            ;   in Loop: Header=BB6_10588 Depth=4
	v_mov_b32_e32 v49, v2
; %bb.11887:                            ;   in Loop: Header=BB6_10588 Depth=4
	s_or_b64 exec, exec, s[28:29]
.LBB6_11888:                            ;   in Loop: Header=BB6_10588 Depth=4
	s_or_b64 exec, exec, s[38:39]
                                        ; implicit-def: $vgpr2
.LBB6_11889:                            ;   in Loop: Header=BB6_10588 Depth=4
	s_andn2_saveexec_b64 s[28:29], s[36:37]
; %bb.11890:                            ;   in Loop: Header=BB6_10588 Depth=4
	v_or_b32_e32 v49, 0x7b, v2
; %bb.11891:                            ;   in Loop: Header=BB6_10588 Depth=4
	s_or_b64 exec, exec, s[28:29]
                                        ; implicit-def: $vgpr5
.LBB6_11892:                            ;   in Loop: Header=BB6_10588 Depth=4
	s_andn2_saveexec_b64 s[28:29], s[34:35]
	s_cbranch_execz .LBB6_11898
; %bb.11893:                            ;   in Loop: Header=BB6_10588 Depth=4
	v_cmp_ne_u64_e32 vcc, 0, v[32:33]
                                        ; implicit-def: $vgpr49
	s_and_saveexec_b64 s[62:63], vcc
	s_xor_b64 vcc, exec, s[62:63]
; %bb.11894:                            ;   in Loop: Header=BB6_10588 Depth=4
	v_or_b32_sdwa v49, v5, s44 dst_sel:DWORD dst_unused:UNUSED_PAD src0_sel:BYTE_3 src1_sel:DWORD
                                        ; implicit-def: $vgpr5
; %bb.11895:                            ;   in Loop: Header=BB6_10588 Depth=4
	s_andn2_saveexec_b64 s[34:35], vcc
; %bb.11896:                            ;   in Loop: Header=BB6_10588 Depth=4
	v_cmp_lt_i32_e32 vcc, -1, v5
	v_mov_b32_e32 v2, 0x7c
	v_cndmask_b32_e32 v49, -4, v2, vcc
; %bb.11897:                            ;   in Loop: Header=BB6_10588 Depth=4
	s_or_b64 exec, exec, s[34:35]
.LBB6_11898:                            ;   in Loop: Header=BB6_10588 Depth=4
	s_or_b64 exec, exec, s[28:29]
	buffer_load_dword v16, off, s[0:3], s33 offset:252 ; 4-byte Folded Reload
	buffer_load_dword v17, off, s[0:3], s33 offset:256 ; 4-byte Folded Reload
	v_mov_b32_e32 v2, 0
	v_mov_b32_e32 v5, 0
	s_waitcnt vmcnt(1)
	v_and_b32_e32 v16, 0xff, v16
	v_cmp_ne_u16_e32 vcc, 0, v16
	s_and_saveexec_b64 s[28:29], vcc
	s_cbranch_execz .LBB6_11906
; %bb.11899:                            ;   in Loop: Header=BB6_10588 Depth=4
	v_cmp_ne_u16_e32 vcc, s97, v16
	v_bfrev_b32_e32 v5, 1
	s_and_saveexec_b64 s[34:35], vcc
	s_cbranch_execz .LBB6_11905
; %bb.11900:                            ;   in Loop: Header=BB6_10588 Depth=4
	buffer_load_dword v31, off, s[0:3], s33 offset:252 ; 4-byte Folded Reload
	buffer_load_dword v32, off, s[0:3], s33 offset:256 ; 4-byte Folded Reload
	s_waitcnt vmcnt(1)
	v_mov_b32_e32 v5, v31
	v_and_b32_e32 v7, 3, v5
	v_and_b32_e32 v5, 0x7c, v5
	v_cmp_ne_u32_e32 vcc, s86, v5
                                        ; implicit-def: $vgpr5
	s_and_saveexec_b64 s[62:63], vcc
	s_xor_b64 s[36:37], exec, s[62:63]
	s_cbranch_execz .LBB6_11902
; %bb.11901:                            ;   in Loop: Header=BB6_10588 Depth=4
	buffer_load_dword v31, off, s[0:3], s33 offset:252 ; 4-byte Folded Reload
	buffer_load_dword v32, off, s[0:3], s33 offset:256 ; 4-byte Folded Reload
	v_bfe_u32 v5, v16, 2, 5
	v_ffbh_u32_e32 v16, v7
	v_min_u32_e32 v25, 32, v16
	s_waitcnt vmcnt(0)
	v_mov_b32_e32 v32, v33
	v_subrev_u32_e32 v16, 29, v25
	v_cmp_eq_u32_e32 vcc, 0, v5
	v_lshlrev_b64 v[16:17], v16, v[31:32]
	v_sub_u32_e32 v17, 30, v25
	v_and_b32_e32 v16, 3, v16
	v_cndmask_b32_e32 v7, v7, v16, vcc
	v_lshlrev_b32_e32 v16, 24, v31
	v_cndmask_b32_e32 v5, v5, v17, vcc
	v_and_b32_e32 v16, 0x80000000, v16
	v_lshl_add_u32 v5, v5, 23, v16
	v_lshl_or_b32 v5, v7, 21, v5
	v_add_u32_e32 v5, 0x38000000, v5
                                        ; implicit-def: $vgpr16
                                        ; implicit-def: $vgpr7
	buffer_store_dword v16, off, s[0:3], s33 offset:252 ; 4-byte Folded Spill
	s_nop 0
	buffer_store_dword v17, off, s[0:3], s33 offset:256 ; 4-byte Folded Spill
.LBB6_11902:                            ;   in Loop: Header=BB6_10588 Depth=4
	s_andn2_saveexec_b64 s[36:37], s[36:37]
	s_cbranch_execz .LBB6_11904
; %bb.11903:                            ;   in Loop: Header=BB6_10588 Depth=4
	buffer_load_dword v16, off, s[0:3], s33 offset:252 ; 4-byte Folded Reload
	buffer_load_dword v17, off, s[0:3], s33 offset:256 ; 4-byte Folded Reload
	v_mov_b32_e32 v5, -1
	s_waitcnt vmcnt(1)
	v_cmp_gt_i16_sdwa vcc, sext(v16), v5 src0_sel:BYTE_0 src1_sel:DWORD
	v_mov_b32_e32 v5, 0xff800000
	v_mov_b32_e32 v16, 0x7f800000
	v_cndmask_b32_e32 v5, v5, v16, vcc
	v_cmp_eq_u32_e32 vcc, 0, v7
	v_mov_b32_e32 v7, 0x7f800001
	v_cndmask_b32_e32 v5, v7, v5, vcc
.LBB6_11904:                            ;   in Loop: Header=BB6_10588 Depth=4
	s_or_b64 exec, exec, s[36:37]
.LBB6_11905:                            ;   in Loop: Header=BB6_10588 Depth=4
	s_or_b64 exec, exec, s[34:35]
.LBB6_11906:                            ;   in Loop: Header=BB6_10588 Depth=4
	s_or_b64 exec, exec, s[28:29]
	v_cmp_ne_u16_e32 vcc, 0, v1
	s_and_saveexec_b64 s[28:29], vcc
	s_cbranch_execz .LBB6_11914
; %bb.11907:                            ;   in Loop: Header=BB6_10588 Depth=4
	v_cmp_ne_u16_e32 vcc, s46, v1
	v_bfrev_b32_e32 v2, 1
	s_and_saveexec_b64 s[34:35], vcc
	s_cbranch_execz .LBB6_11913
; %bb.11908:                            ;   in Loop: Header=BB6_10588 Depth=4
	v_and_b32_e32 v2, 0x7c, v1
	v_and_b32_e32 v7, 3, v1
	v_cmp_ne_u32_e32 vcc, s86, v2
                                        ; implicit-def: $vgpr2
	s_and_saveexec_b64 s[62:63], vcc
	s_xor_b64 s[36:37], exec, s[62:63]
	s_cbranch_execz .LBB6_11910
; %bb.11909:                            ;   in Loop: Header=BB6_10588 Depth=4
	v_and_b32_e32 v16, 0xff, v1
	v_bfe_u32 v25, v16, 2, 5
	v_ffbh_u32_e32 v16, v7
	v_min_u32_e32 v31, 32, v16
	v_mov_b32_e32 v2, v33
	v_subrev_u32_e32 v16, 29, v31
	s_waitcnt vmcnt(0)
	v_lshlrev_b64 v[16:17], v16, v[1:2]
	v_sub_u32_e32 v2, 30, v31
	v_cmp_eq_u32_e32 vcc, 0, v25
	v_and_b32_e32 v16, 3, v16
	v_cndmask_b32_e32 v2, v25, v2, vcc
	v_and_b32_sdwa v1, sext(v1), s87 dst_sel:DWORD dst_unused:UNUSED_PAD src0_sel:WORD_0 src1_sel:DWORD
	v_cndmask_b32_e32 v7, v7, v16, vcc
	v_lshl_add_u32 v1, v2, 23, v1
	v_lshl_or_b32 v1, v7, 21, v1
	v_add_u32_e32 v2, 0x38000000, v1
                                        ; implicit-def: $vgpr7
                                        ; implicit-def: $vgpr1
.LBB6_11910:                            ;   in Loop: Header=BB6_10588 Depth=4
	s_andn2_saveexec_b64 s[36:37], s[36:37]
; %bb.11911:                            ;   in Loop: Header=BB6_10588 Depth=4
	v_cmp_lt_i16_e32 vcc, -1, v1
	v_mov_b32_e32 v1, 0xff800000
	v_mov_b32_e32 v2, 0x7f800000
	v_cndmask_b32_e32 v1, v1, v2, vcc
	v_cmp_eq_u32_e32 vcc, 0, v7
	v_mov_b32_e32 v2, 0x7f800001
	v_cndmask_b32_e32 v2, v2, v1, vcc
; %bb.11912:                            ;   in Loop: Header=BB6_10588 Depth=4
	s_or_b64 exec, exec, s[36:37]
.LBB6_11913:                            ;   in Loop: Header=BB6_10588 Depth=4
	s_or_b64 exec, exec, s[34:35]
.LBB6_11914:                            ;   in Loop: Header=BB6_10588 Depth=4
	s_or_b64 exec, exec, s[28:29]
	v_add_f32_e32 v1, v5, v2
	v_and_b32_e32 v16, 0x7f800000, v1
	s_waitcnt vmcnt(0)
	v_mov_b32_e32 v17, v33
	v_cmp_ne_u64_e32 vcc, s[76:77], v[16:17]
	v_and_b32_e32 v32, 0x7fffff, v1
                                        ; implicit-def: $vgpr17
	s_and_saveexec_b64 s[28:29], vcc
	s_xor_b64 s[34:35], exec, s[28:29]
	s_cbranch_execz .LBB6_11932
; %bb.11915:                            ;   in Loop: Header=BB6_10588 Depth=4
	v_and_b32_e32 v16, 0x7fffffff, v1
	v_mov_b32_e32 v17, v33
	v_cmp_gt_u64_e32 vcc, s[78:79], v[16:17]
	v_and_b32_sdwa v5, v1, s97 dst_sel:DWORD dst_unused:UNUSED_PAD src0_sel:BYTE_3 src1_sel:DWORD
                                        ; implicit-def: $vgpr17
	s_and_saveexec_b64 s[28:29], vcc
	s_xor_b64 s[36:37], exec, s[28:29]
	s_cbranch_execz .LBB6_11929
; %bb.11916:                            ;   in Loop: Header=BB6_10588 Depth=4
	v_cmp_ne_u32_e32 vcc, 0, v1
	v_mov_b32_e32 v17, 0
	s_and_saveexec_b64 s[38:39], vcc
	s_cbranch_execz .LBB6_11928
; %bb.11917:                            ;   in Loop: Header=BB6_10588 Depth=4
	v_bfe_u32 v7, v1, 23, 8
	v_cmp_gt_u32_e64 s[28:29], s47, v7
	v_sub_u32_e32 v1, 0x71, v7
	v_cmp_eq_u32_e32 vcc, 0, v7
	v_cndmask_b32_e64 v1, 0, v1, s[28:29]
	v_mov_b32_e32 v16, 0x70
	v_cndmask_b32_e32 v25, v1, v16, vcc
	v_add_u32_e32 v16, 21, v25
	v_or_b32_e32 v2, 0x800000, v32
	v_lshlrev_b64 v[16:17], v16, -1
	v_cndmask_b32_e32 v1, v2, v32, vcc
	v_mov_b32_e32 v2, v33
	v_add_u32_e32 v31, 20, v25
	v_bfi_b32 v16, v16, 0, v1
	v_lshlrev_b64 v[31:32], v31, 1
	v_lshrrev_b64 v[1:2], v25, v[1:2]
	v_bfi_b32 v17, v17, 0, 0
	v_cmp_eq_u64_e64 s[28:29], v[16:17], v[31:32]
	v_mov_b32_e32 v17, v2
	v_mov_b32_e32 v16, v1
	s_and_saveexec_b64 s[48:49], s[28:29]
; %bb.11918:                            ;   in Loop: Header=BB6_10588 Depth=4
	v_bfe_u32 v2, v1, 21, 1
	v_add_co_u32_e64 v2, s[28:29], v1, v2
	v_add_co_u32_e64 v16, s[28:29], -1, v2
; %bb.11919:                            ;   in Loop: Header=BB6_10588 Depth=4
	s_or_b64 exec, exec, s[48:49]
	v_add_u32_e32 v2, 0xffffff81, v7
	v_mov_b32_e32 v7, 0xffffff82
	v_cndmask_b32_e32 v2, v2, v7, vcc
	v_lshrrev_b32_e32 v7, 23, v1
	v_add3_u32 v25, v25, v2, v7
	v_add_u32_e32 v17, 14, v25
	v_and_b32_e32 v2, 0x1fffff, v16
	v_add_u32_e32 v32, v2, v1
	v_cmp_ne_u32_e32 vcc, 0, v17
                                        ; implicit-def: $vgpr1_vgpr2
                                        ; implicit-def: $vgpr7
	s_and_saveexec_b64 s[28:29], vcc
	s_xor_b64 s[28:29], exec, s[28:29]
; %bb.11920:                            ;   in Loop: Header=BB6_10588 Depth=4
	v_cmp_lt_u64_e32 vcc, s[88:89], v[32:33]
	v_add_u32_e32 v1, 15, v25
	v_cndmask_b32_e32 v7, v17, v1, vcc
	v_cndmask_b32_e64 v1, 0, 1, vcc
	v_lshrrev_b64 v[1:2], v1, v[32:33]
; %bb.11921:                            ;   in Loop: Header=BB6_10588 Depth=4
	s_andn2_saveexec_b64 s[28:29], s[28:29]
; %bb.11922:                            ;   in Loop: Header=BB6_10588 Depth=4
	v_mov_b32_e32 v1, v32
	v_mov_b32_e32 v2, v33
	v_bfe_u32 v7, v32, 23, 1
; %bb.11923:                            ;   in Loop: Header=BB6_10588 Depth=4
	s_or_b64 exec, exec, s[28:29]
	v_lshrrev_b64 v[1:2], 21, v[1:2]
	v_cmp_gt_i32_e32 vcc, 32, v7
	v_cndmask_b32_e32 v2, 0, v2, vcc
	v_cndmask_b32_e32 v1, 3, v1, vcc
	v_cmp_ne_u64_e32 vcc, 0, v[1:2]
	v_cmp_ne_u32_e64 s[28:29], 0, v7
	s_or_b64 s[28:29], s[28:29], vcc
                                        ; implicit-def: $vgpr17
	s_and_saveexec_b64 s[62:63], s[28:29]
	s_xor_b64 s[28:29], exec, s[62:63]
; %bb.11924:                            ;   in Loop: Header=BB6_10588 Depth=4
	v_min_i32_e32 v2, 31, v7
	v_lshl_or_b32 v2, v2, 2, v5
	v_and_or_b32 v17, v1, 3, v2
                                        ; implicit-def: $vgpr5
; %bb.11925:                            ;   in Loop: Header=BB6_10588 Depth=4
	s_andn2_saveexec_b64 s[28:29], s[28:29]
; %bb.11926:                            ;   in Loop: Header=BB6_10588 Depth=4
	v_mov_b32_e32 v17, v5
; %bb.11927:                            ;   in Loop: Header=BB6_10588 Depth=4
	s_or_b64 exec, exec, s[28:29]
.LBB6_11928:                            ;   in Loop: Header=BB6_10588 Depth=4
	s_or_b64 exec, exec, s[38:39]
                                        ; implicit-def: $vgpr5
.LBB6_11929:                            ;   in Loop: Header=BB6_10588 Depth=4
	s_andn2_saveexec_b64 s[28:29], s[36:37]
; %bb.11930:                            ;   in Loop: Header=BB6_10588 Depth=4
	v_or_b32_e32 v17, 0x7b, v5
; %bb.11931:                            ;   in Loop: Header=BB6_10588 Depth=4
	s_or_b64 exec, exec, s[28:29]
                                        ; implicit-def: $vgpr1
.LBB6_11932:                            ;   in Loop: Header=BB6_10588 Depth=4
	s_andn2_saveexec_b64 s[28:29], s[34:35]
	s_cbranch_execz .LBB6_11938
; %bb.11933:                            ;   in Loop: Header=BB6_10588 Depth=4
	v_cmp_ne_u64_e32 vcc, 0, v[32:33]
                                        ; implicit-def: $vgpr17
	s_and_saveexec_b64 s[62:63], vcc
	s_xor_b64 vcc, exec, s[62:63]
; %bb.11934:                            ;   in Loop: Header=BB6_10588 Depth=4
	v_or_b32_sdwa v17, v1, s44 dst_sel:DWORD dst_unused:UNUSED_PAD src0_sel:BYTE_3 src1_sel:DWORD
                                        ; implicit-def: $vgpr1
; %bb.11935:                            ;   in Loop: Header=BB6_10588 Depth=4
	s_andn2_saveexec_b64 s[34:35], vcc
; %bb.11936:                            ;   in Loop: Header=BB6_10588 Depth=4
	v_cmp_lt_i32_e32 vcc, -1, v1
	v_mov_b32_e32 v1, 0x7c
	v_cndmask_b32_e32 v17, -4, v1, vcc
; %bb.11937:                            ;   in Loop: Header=BB6_10588 Depth=4
	s_or_b64 exec, exec, s[34:35]
.LBB6_11938:                            ;   in Loop: Header=BB6_10588 Depth=4
	s_or_b64 exec, exec, s[28:29]
	buffer_load_dword v1, off, s[0:3], s33 offset:244 ; 4-byte Folded Reload
	buffer_load_dword v2, off, s[0:3], s33 offset:248 ; 4-byte Folded Reload
	s_waitcnt vmcnt(0)
	v_mov_b32_e32 v2, 0
	v_and_b32_e32 v7, 0xff, v1
	v_cmp_ne_u16_e32 vcc, 0, v7
	v_mov_b32_e32 v1, 0
	s_and_saveexec_b64 s[28:29], vcc
	s_cbranch_execz .LBB6_11946
; %bb.11939:                            ;   in Loop: Header=BB6_10588 Depth=4
	v_cmp_ne_u16_e32 vcc, s97, v7
	v_bfrev_b32_e32 v2, 1
	s_and_saveexec_b64 s[34:35], vcc
	s_cbranch_execz .LBB6_11945
; %bb.11940:                            ;   in Loop: Header=BB6_10588 Depth=4
	buffer_load_dword v31, off, s[0:3], s33 offset:244 ; 4-byte Folded Reload
	buffer_load_dword v32, off, s[0:3], s33 offset:248 ; 4-byte Folded Reload
	s_waitcnt vmcnt(1)
	v_mov_b32_e32 v2, v31
	v_and_b32_e32 v5, 3, v2
	v_and_b32_e32 v2, 0x7c, v2
	v_cmp_ne_u32_e32 vcc, s86, v2
                                        ; implicit-def: $vgpr2
	s_and_saveexec_b64 s[62:63], vcc
	s_xor_b64 s[36:37], exec, s[62:63]
	s_cbranch_execz .LBB6_11942
; %bb.11941:                            ;   in Loop: Header=BB6_10588 Depth=4
	buffer_load_dword v50, off, s[0:3], s33 offset:244 ; 4-byte Folded Reload
	buffer_load_dword v51, off, s[0:3], s33 offset:248 ; 4-byte Folded Reload
	v_bfe_u32 v2, v7, 2, 5
	v_ffbh_u32_e32 v7, v5
	v_min_u32_e32 v7, 32, v7
	s_waitcnt vmcnt(0)
	v_mov_b32_e32 v51, v33
	v_subrev_u32_e32 v16, 29, v7
	v_sub_u32_e32 v7, 30, v7
	v_cmp_eq_u32_e32 vcc, 0, v2
	v_cndmask_b32_e32 v2, v2, v7, vcc
	v_lshlrev_b32_e32 v7, 24, v50
	v_lshlrev_b64 v[31:32], v16, v[50:51]
	v_and_b32_e32 v7, 0x80000000, v7
	v_and_b32_e32 v16, 3, v31
	v_cndmask_b32_e32 v5, v5, v16, vcc
	v_lshl_add_u32 v2, v2, 23, v7
	v_lshl_or_b32 v2, v5, 21, v2
	v_add_u32_e32 v2, 0x38000000, v2
                                        ; implicit-def: $vgpr7
                                        ; implicit-def: $vgpr5
	buffer_store_dword v7, off, s[0:3], s33 offset:244 ; 4-byte Folded Spill
	s_nop 0
	buffer_store_dword v8, off, s[0:3], s33 offset:248 ; 4-byte Folded Spill
.LBB6_11942:                            ;   in Loop: Header=BB6_10588 Depth=4
	s_andn2_saveexec_b64 s[36:37], s[36:37]
	s_cbranch_execz .LBB6_11944
; %bb.11943:                            ;   in Loop: Header=BB6_10588 Depth=4
	buffer_load_dword v31, off, s[0:3], s33 offset:244 ; 4-byte Folded Reload
	buffer_load_dword v32, off, s[0:3], s33 offset:248 ; 4-byte Folded Reload
	v_mov_b32_e32 v2, -1
	v_mov_b32_e32 v7, 0x7f800000
	s_waitcnt vmcnt(1)
	v_cmp_gt_i16_sdwa vcc, sext(v31), v2 src0_sel:BYTE_0 src1_sel:DWORD
	v_mov_b32_e32 v2, 0xff800000
	v_cndmask_b32_e32 v2, v2, v7, vcc
	v_cmp_eq_u32_e32 vcc, 0, v5
	v_mov_b32_e32 v5, 0x7f800001
	v_cndmask_b32_e32 v2, v5, v2, vcc
.LBB6_11944:                            ;   in Loop: Header=BB6_10588 Depth=4
	s_or_b64 exec, exec, s[36:37]
.LBB6_11945:                            ;   in Loop: Header=BB6_10588 Depth=4
	s_or_b64 exec, exec, s[34:35]
.LBB6_11946:                            ;   in Loop: Header=BB6_10588 Depth=4
	s_or_b64 exec, exec, s[28:29]
	v_cmp_ne_u16_e32 vcc, 0, v4
	s_and_saveexec_b64 s[28:29], vcc
	s_cbranch_execz .LBB6_11954
; %bb.11947:                            ;   in Loop: Header=BB6_10588 Depth=4
	v_cmp_ne_u16_e32 vcc, s46, v4
	v_bfrev_b32_e32 v1, 1
	s_and_saveexec_b64 s[34:35], vcc
	s_cbranch_execz .LBB6_11953
; %bb.11948:                            ;   in Loop: Header=BB6_10588 Depth=4
	v_and_b32_e32 v1, 0x7c, v4
	v_and_b32_e32 v7, 3, v4
	v_cmp_ne_u32_e32 vcc, s86, v1
                                        ; implicit-def: $vgpr1
	s_and_saveexec_b64 s[62:63], vcc
	s_xor_b64 s[36:37], exec, s[62:63]
	s_cbranch_execz .LBB6_11950
; %bb.11949:                            ;   in Loop: Header=BB6_10588 Depth=4
	v_ffbh_u32_e32 v16, v7
	v_min_u32_e32 v16, 32, v16
	v_and_b32_e32 v1, 0xff, v4
	v_mov_b32_e32 v5, v33
	v_subrev_u32_e32 v25, 29, v16
	v_bfe_u32 v1, v1, 2, 5
	s_waitcnt vmcnt(0)
	v_lshlrev_b64 v[31:32], v25, v[4:5]
	v_sub_u32_e32 v5, 30, v16
	v_cmp_eq_u32_e32 vcc, 0, v1
	v_and_b32_e32 v16, 3, v31
	v_cndmask_b32_e32 v1, v1, v5, vcc
	v_and_b32_sdwa v4, sext(v4), s87 dst_sel:DWORD dst_unused:UNUSED_PAD src0_sel:WORD_0 src1_sel:DWORD
	v_cndmask_b32_e32 v5, v7, v16, vcc
	v_lshl_add_u32 v1, v1, 23, v4
	v_lshl_or_b32 v1, v5, 21, v1
	v_add_u32_e32 v1, 0x38000000, v1
                                        ; implicit-def: $vgpr7
                                        ; implicit-def: $vgpr4
.LBB6_11950:                            ;   in Loop: Header=BB6_10588 Depth=4
	s_andn2_saveexec_b64 s[36:37], s[36:37]
; %bb.11951:                            ;   in Loop: Header=BB6_10588 Depth=4
	v_cmp_lt_i16_e32 vcc, -1, v4
	v_mov_b32_e32 v1, 0xff800000
	v_mov_b32_e32 v4, 0x7f800000
	v_cndmask_b32_e32 v1, v1, v4, vcc
	v_cmp_eq_u32_e32 vcc, 0, v7
	v_mov_b32_e32 v4, 0x7f800001
	v_cndmask_b32_e32 v1, v4, v1, vcc
; %bb.11952:                            ;   in Loop: Header=BB6_10588 Depth=4
	s_or_b64 exec, exec, s[36:37]
.LBB6_11953:                            ;   in Loop: Header=BB6_10588 Depth=4
	s_or_b64 exec, exec, s[34:35]
.LBB6_11954:                            ;   in Loop: Header=BB6_10588 Depth=4
	s_or_b64 exec, exec, s[28:29]
	v_add_f32_e32 v1, v2, v1
	v_and_b32_e32 v4, 0x7f800000, v1
	v_mov_b32_e32 v5, v33
	v_cmp_ne_u64_e32 vcc, s[76:77], v[4:5]
	s_waitcnt vmcnt(0)
	v_and_b32_e32 v32, 0x7fffff, v1
                                        ; implicit-def: $vgpr5
	s_and_saveexec_b64 s[28:29], vcc
	s_xor_b64 s[34:35], exec, s[28:29]
	s_cbranch_execz .LBB6_11972
; %bb.11955:                            ;   in Loop: Header=BB6_10588 Depth=4
	v_and_b32_e32 v4, 0x7fffffff, v1
	v_mov_b32_e32 v5, v33
	v_cmp_gt_u64_e32 vcc, s[78:79], v[4:5]
	v_and_b32_sdwa v7, v1, s97 dst_sel:DWORD dst_unused:UNUSED_PAD src0_sel:BYTE_3 src1_sel:DWORD
                                        ; implicit-def: $vgpr5
	s_and_saveexec_b64 s[28:29], vcc
	s_xor_b64 s[36:37], exec, s[28:29]
	s_cbranch_execz .LBB6_11969
; %bb.11956:                            ;   in Loop: Header=BB6_10588 Depth=4
	v_cmp_ne_u32_e32 vcc, 0, v1
	v_mov_b32_e32 v5, 0
	s_and_saveexec_b64 s[38:39], vcc
	s_cbranch_execz .LBB6_11968
; %bb.11957:                            ;   in Loop: Header=BB6_10588 Depth=4
	v_bfe_u32 v16, v1, 23, 8
	v_cmp_gt_u32_e64 s[28:29], s47, v16
	v_sub_u32_e32 v1, 0x71, v16
	v_cmp_eq_u32_e32 vcc, 0, v16
	v_cndmask_b32_e64 v1, 0, v1, s[28:29]
	v_mov_b32_e32 v4, 0x70
	v_cndmask_b32_e32 v25, v1, v4, vcc
	v_add_u32_e32 v4, 21, v25
	v_or_b32_e32 v2, 0x800000, v32
	v_lshlrev_b64 v[4:5], v4, -1
	v_cndmask_b32_e32 v1, v2, v32, vcc
	v_mov_b32_e32 v2, v33
	v_add_u32_e32 v31, 20, v25
	v_bfi_b32 v4, v4, 0, v1
	v_lshlrev_b64 v[31:32], v31, 1
	v_lshrrev_b64 v[1:2], v25, v[1:2]
	v_bfi_b32 v5, v5, 0, 0
	v_cmp_eq_u64_e64 s[28:29], v[4:5], v[31:32]
	v_mov_b32_e32 v5, v2
	v_mov_b32_e32 v4, v1
	s_and_saveexec_b64 s[48:49], s[28:29]
; %bb.11958:                            ;   in Loop: Header=BB6_10588 Depth=4
	v_bfe_u32 v2, v1, 21, 1
	v_add_co_u32_e64 v2, s[28:29], v1, v2
	v_add_co_u32_e64 v4, s[28:29], -1, v2
; %bb.11959:                            ;   in Loop: Header=BB6_10588 Depth=4
	s_or_b64 exec, exec, s[48:49]
	v_add_u32_e32 v2, 0xffffff81, v16
	v_mov_b32_e32 v5, 0xffffff82
	v_cndmask_b32_e32 v2, v2, v5, vcc
	v_lshrrev_b32_e32 v5, 23, v1
	v_add3_u32 v16, v25, v2, v5
	v_add_u32_e32 v5, 14, v16
	v_and_b32_e32 v2, 0x1fffff, v4
	v_add_u32_e32 v32, v2, v1
	v_cmp_ne_u32_e32 vcc, 0, v5
                                        ; implicit-def: $vgpr1_vgpr2
                                        ; implicit-def: $vgpr4
	s_and_saveexec_b64 s[28:29], vcc
	s_xor_b64 s[28:29], exec, s[28:29]
; %bb.11960:                            ;   in Loop: Header=BB6_10588 Depth=4
	v_cmp_lt_u64_e32 vcc, s[88:89], v[32:33]
	v_add_u32_e32 v1, 15, v16
	v_cndmask_b32_e32 v4, v5, v1, vcc
	v_cndmask_b32_e64 v1, 0, 1, vcc
	v_lshrrev_b64 v[1:2], v1, v[32:33]
; %bb.11961:                            ;   in Loop: Header=BB6_10588 Depth=4
	s_andn2_saveexec_b64 s[28:29], s[28:29]
; %bb.11962:                            ;   in Loop: Header=BB6_10588 Depth=4
	v_mov_b32_e32 v1, v32
	v_mov_b32_e32 v2, v33
	v_bfe_u32 v4, v32, 23, 1
; %bb.11963:                            ;   in Loop: Header=BB6_10588 Depth=4
	s_or_b64 exec, exec, s[28:29]
	v_lshrrev_b64 v[1:2], 21, v[1:2]
	v_cmp_gt_i32_e32 vcc, 32, v4
	v_cndmask_b32_e32 v2, 0, v2, vcc
	v_cndmask_b32_e32 v1, 3, v1, vcc
	v_cmp_ne_u64_e32 vcc, 0, v[1:2]
	v_cmp_ne_u32_e64 s[28:29], 0, v4
	s_or_b64 s[28:29], s[28:29], vcc
                                        ; implicit-def: $vgpr5
	s_and_saveexec_b64 s[62:63], s[28:29]
	s_xor_b64 s[28:29], exec, s[62:63]
; %bb.11964:                            ;   in Loop: Header=BB6_10588 Depth=4
	v_min_i32_e32 v2, 31, v4
	v_lshl_or_b32 v2, v2, 2, v7
	v_and_or_b32 v5, v1, 3, v2
                                        ; implicit-def: $vgpr7
; %bb.11965:                            ;   in Loop: Header=BB6_10588 Depth=4
	s_andn2_saveexec_b64 s[28:29], s[28:29]
; %bb.11966:                            ;   in Loop: Header=BB6_10588 Depth=4
	v_mov_b32_e32 v5, v7
; %bb.11967:                            ;   in Loop: Header=BB6_10588 Depth=4
	s_or_b64 exec, exec, s[28:29]
.LBB6_11968:                            ;   in Loop: Header=BB6_10588 Depth=4
	s_or_b64 exec, exec, s[38:39]
                                        ; implicit-def: $vgpr7
.LBB6_11969:                            ;   in Loop: Header=BB6_10588 Depth=4
	s_andn2_saveexec_b64 s[28:29], s[36:37]
; %bb.11970:                            ;   in Loop: Header=BB6_10588 Depth=4
	v_or_b32_e32 v5, 0x7b, v7
; %bb.11971:                            ;   in Loop: Header=BB6_10588 Depth=4
	s_or_b64 exec, exec, s[28:29]
                                        ; implicit-def: $vgpr1
.LBB6_11972:                            ;   in Loop: Header=BB6_10588 Depth=4
	s_andn2_saveexec_b64 s[28:29], s[34:35]
	s_cbranch_execz .LBB6_11978
; %bb.11973:                            ;   in Loop: Header=BB6_10588 Depth=4
	v_cmp_ne_u64_e32 vcc, 0, v[32:33]
                                        ; implicit-def: $vgpr5
	s_and_saveexec_b64 s[62:63], vcc
	s_xor_b64 vcc, exec, s[62:63]
; %bb.11974:                            ;   in Loop: Header=BB6_10588 Depth=4
	v_or_b32_sdwa v5, v1, s44 dst_sel:DWORD dst_unused:UNUSED_PAD src0_sel:BYTE_3 src1_sel:DWORD
                                        ; implicit-def: $vgpr1
; %bb.11975:                            ;   in Loop: Header=BB6_10588 Depth=4
	s_andn2_saveexec_b64 s[34:35], vcc
; %bb.11976:                            ;   in Loop: Header=BB6_10588 Depth=4
	v_cmp_lt_i32_e32 vcc, -1, v1
	v_mov_b32_e32 v1, 0x7c
	v_cndmask_b32_e32 v5, -4, v1, vcc
; %bb.11977:                            ;   in Loop: Header=BB6_10588 Depth=4
	s_or_b64 exec, exec, s[34:35]
.LBB6_11978:                            ;   in Loop: Header=BB6_10588 Depth=4
	s_or_b64 exec, exec, s[28:29]
	v_and_b32_e32 v7, 0xff, v0
	v_cmp_ne_u16_e32 vcc, 0, v7
	v_mov_b32_e32 v2, 0
	v_mov_b32_e32 v1, 0
	s_and_saveexec_b64 s[28:29], vcc
	s_cbranch_execz .LBB6_11986
; %bb.11979:                            ;   in Loop: Header=BB6_10588 Depth=4
	v_cmp_ne_u16_e32 vcc, s97, v7
	v_bfrev_b32_e32 v1, 1
	s_and_saveexec_b64 s[34:35], vcc
	s_cbranch_execz .LBB6_11985
; %bb.11980:                            ;   in Loop: Header=BB6_10588 Depth=4
	v_and_b32_e32 v1, 0x7c, v0
	v_and_b32_e32 v4, 3, v0
	v_cmp_ne_u32_e32 vcc, s86, v1
                                        ; implicit-def: $vgpr1
	s_and_saveexec_b64 s[62:63], vcc
	s_xor_b64 s[36:37], exec, s[62:63]
	s_cbranch_execz .LBB6_11982
; %bb.11981:                            ;   in Loop: Header=BB6_10588 Depth=4
	v_ffbh_u32_e32 v16, v4
	v_min_u32_e32 v16, 32, v16
	v_mov_b32_e32 v1, v33
	v_subrev_u32_e32 v25, 29, v16
	v_bfe_u32 v7, v7, 2, 5
	v_lshlrev_b64 v[31:32], v25, v[0:1]
	v_sub_u32_e32 v1, 30, v16
	v_cmp_eq_u32_e32 vcc, 0, v7
	v_lshlrev_b32_e32 v0, 24, v0
	v_and_b32_e32 v16, 3, v31
	v_cndmask_b32_e32 v1, v7, v1, vcc
	v_and_b32_e32 v0, 0x80000000, v0
	v_cndmask_b32_e32 v4, v4, v16, vcc
	v_lshl_add_u32 v0, v1, 23, v0
	v_lshl_or_b32 v0, v4, 21, v0
	v_add_u32_e32 v1, 0x38000000, v0
                                        ; implicit-def: $vgpr4
                                        ; implicit-def: $vgpr0
.LBB6_11982:                            ;   in Loop: Header=BB6_10588 Depth=4
	s_andn2_saveexec_b64 s[36:37], s[36:37]
; %bb.11983:                            ;   in Loop: Header=BB6_10588 Depth=4
	v_mov_b32_e32 v1, -1
	v_cmp_gt_i16_sdwa vcc, sext(v0), v1 src0_sel:BYTE_0 src1_sel:DWORD
	v_mov_b32_e32 v0, 0xff800000
	v_mov_b32_e32 v1, 0x7f800000
	v_cndmask_b32_e32 v0, v0, v1, vcc
	v_cmp_eq_u32_e32 vcc, 0, v4
	v_mov_b32_e32 v1, 0x7f800001
	v_cndmask_b32_e32 v1, v1, v0, vcc
; %bb.11984:                            ;   in Loop: Header=BB6_10588 Depth=4
	s_or_b64 exec, exec, s[36:37]
.LBB6_11985:                            ;   in Loop: Header=BB6_10588 Depth=4
	s_or_b64 exec, exec, s[34:35]
.LBB6_11986:                            ;   in Loop: Header=BB6_10588 Depth=4
	s_or_b64 exec, exec, s[28:29]
	v_cmp_ne_u16_e32 vcc, 0, v3
	s_and_saveexec_b64 s[28:29], vcc
	s_cbranch_execz .LBB6_11994
; %bb.11987:                            ;   in Loop: Header=BB6_10588 Depth=4
	v_cmp_ne_u16_e32 vcc, s46, v3
	v_bfrev_b32_e32 v2, 1
	s_and_saveexec_b64 s[34:35], vcc
	s_cbranch_execz .LBB6_11993
; %bb.11988:                            ;   in Loop: Header=BB6_10588 Depth=4
	v_and_b32_e32 v2, 0x7c, v3
	v_and_b32_e32 v0, 3, v3
	v_cmp_ne_u32_e32 vcc, s86, v2
                                        ; implicit-def: $vgpr2
	s_and_saveexec_b64 s[62:63], vcc
	s_xor_b64 s[36:37], exec, s[62:63]
	s_cbranch_execz .LBB6_11990
; %bb.11989:                            ;   in Loop: Header=BB6_10588 Depth=4
	v_ffbh_u32_e32 v7, v0
	v_min_u32_e32 v7, 32, v7
	v_and_b32_e32 v2, 0xff, v3
	v_mov_b32_e32 v4, v33
	v_subrev_u32_e32 v16, 29, v7
	v_bfe_u32 v2, v2, 2, 5
	v_lshlrev_b64 v[31:32], v16, v[3:4]
	v_sub_u32_e32 v4, 30, v7
	v_cmp_eq_u32_e32 vcc, 0, v2
	v_and_b32_e32 v7, 3, v31
	v_cndmask_b32_e32 v2, v2, v4, vcc
	v_and_b32_sdwa v3, sext(v3), s87 dst_sel:DWORD dst_unused:UNUSED_PAD src0_sel:WORD_0 src1_sel:DWORD
	v_cndmask_b32_e32 v0, v0, v7, vcc
	v_lshl_add_u32 v2, v2, 23, v3
	v_lshl_or_b32 v0, v0, 21, v2
	v_add_u32_e32 v2, 0x38000000, v0
                                        ; implicit-def: $vgpr0
                                        ; implicit-def: $vgpr3
.LBB6_11990:                            ;   in Loop: Header=BB6_10588 Depth=4
	s_andn2_saveexec_b64 s[36:37], s[36:37]
; %bb.11991:                            ;   in Loop: Header=BB6_10588 Depth=4
	v_cmp_lt_i16_e32 vcc, -1, v3
	v_mov_b32_e32 v2, 0xff800000
	v_mov_b32_e32 v3, 0x7f800000
	v_cndmask_b32_e32 v2, v2, v3, vcc
	v_cmp_eq_u32_e32 vcc, 0, v0
	v_mov_b32_e32 v0, 0x7f800001
	v_cndmask_b32_e32 v2, v0, v2, vcc
; %bb.11992:                            ;   in Loop: Header=BB6_10588 Depth=4
	s_or_b64 exec, exec, s[36:37]
.LBB6_11993:                            ;   in Loop: Header=BB6_10588 Depth=4
	s_or_b64 exec, exec, s[34:35]
.LBB6_11994:                            ;   in Loop: Header=BB6_10588 Depth=4
	s_or_b64 exec, exec, s[28:29]
	v_add_f32_e32 v0, v1, v2
	v_and_b32_e32 v1, 0x7f800000, v0
	v_mov_b32_e32 v2, v33
	v_cmp_ne_u64_e32 vcc, s[76:77], v[1:2]
	v_and_b32_e32 v32, 0x7fffff, v0
                                        ; implicit-def: $vgpr3
	s_and_saveexec_b64 s[28:29], vcc
	s_xor_b64 s[34:35], exec, s[28:29]
	s_cbranch_execz .LBB6_12012
; %bb.11995:                            ;   in Loop: Header=BB6_10588 Depth=4
	v_and_b32_e32 v1, 0x7fffffff, v0
	v_mov_b32_e32 v2, v33
	v_cmp_gt_u64_e32 vcc, s[78:79], v[1:2]
	v_and_b32_sdwa v4, v0, s97 dst_sel:DWORD dst_unused:UNUSED_PAD src0_sel:BYTE_3 src1_sel:DWORD
                                        ; implicit-def: $vgpr3
	s_and_saveexec_b64 s[28:29], vcc
	s_xor_b64 s[36:37], exec, s[28:29]
	s_cbranch_execz .LBB6_12009
; %bb.11996:                            ;   in Loop: Header=BB6_10588 Depth=4
	v_cmp_ne_u32_e32 vcc, 0, v0
	v_mov_b32_e32 v3, 0
	s_and_saveexec_b64 s[38:39], vcc
	s_cbranch_execz .LBB6_12008
; %bb.11997:                            ;   in Loop: Header=BB6_10588 Depth=4
	v_bfe_u32 v3, v0, 23, 8
	v_cmp_gt_u32_e64 s[28:29], s47, v3
	v_sub_u32_e32 v0, 0x71, v3
	v_cmp_eq_u32_e32 vcc, 0, v3
	v_cndmask_b32_e64 v0, 0, v0, s[28:29]
	v_mov_b32_e32 v2, 0x70
	v_cndmask_b32_e32 v7, v0, v2, vcc
	v_or_b32_e32 v1, 0x800000, v32
	v_add_u32_e32 v2, 21, v7
	v_cndmask_b32_e32 v0, v1, v32, vcc
	v_lshlrev_b64 v[31:32], v2, -1
	v_mov_b32_e32 v1, v33
	v_add_u32_e32 v2, 20, v7
	v_bfi_b32 v31, v31, 0, v0
	v_lshlrev_b64 v[50:51], v2, 1
	v_lshrrev_b64 v[0:1], v7, v[0:1]
	v_bfi_b32 v32, v32, 0, 0
	v_cmp_eq_u64_e64 s[28:29], v[31:32], v[50:51]
	v_mov_b32_e32 v2, v1
	v_mov_b32_e32 v1, v0
	s_and_saveexec_b64 s[48:49], s[28:29]
; %bb.11998:                            ;   in Loop: Header=BB6_10588 Depth=4
	v_bfe_u32 v1, v0, 21, 1
	v_add_co_u32_e64 v1, s[28:29], v0, v1
	v_add_co_u32_e64 v1, s[28:29], -1, v1
; %bb.11999:                            ;   in Loop: Header=BB6_10588 Depth=4
	s_or_b64 exec, exec, s[48:49]
	v_add_u32_e32 v2, 0xffffff81, v3
	v_mov_b32_e32 v3, 0xffffff82
	v_cndmask_b32_e32 v2, v2, v3, vcc
	v_lshrrev_b32_e32 v3, 23, v0
	v_add3_u32 v7, v7, v2, v3
	v_add_u32_e32 v3, 14, v7
	v_and_b32_e32 v1, 0x1fffff, v1
	v_add_u32_e32 v32, v1, v0
	v_cmp_ne_u32_e32 vcc, 0, v3
                                        ; implicit-def: $vgpr0_vgpr1
                                        ; implicit-def: $vgpr2
	s_and_saveexec_b64 s[28:29], vcc
	s_xor_b64 s[28:29], exec, s[28:29]
; %bb.12000:                            ;   in Loop: Header=BB6_10588 Depth=4
	v_cmp_lt_u64_e32 vcc, s[88:89], v[32:33]
	v_add_u32_e32 v0, 15, v7
	v_cndmask_b32_e32 v2, v3, v0, vcc
	v_cndmask_b32_e64 v0, 0, 1, vcc
	v_lshrrev_b64 v[0:1], v0, v[32:33]
; %bb.12001:                            ;   in Loop: Header=BB6_10588 Depth=4
	s_andn2_saveexec_b64 s[28:29], s[28:29]
; %bb.12002:                            ;   in Loop: Header=BB6_10588 Depth=4
	v_mov_b32_e32 v0, v32
	v_mov_b32_e32 v1, v33
	v_bfe_u32 v2, v32, 23, 1
; %bb.12003:                            ;   in Loop: Header=BB6_10588 Depth=4
	s_or_b64 exec, exec, s[28:29]
	v_lshrrev_b64 v[0:1], 21, v[0:1]
	v_cmp_gt_i32_e32 vcc, 32, v2
	v_cndmask_b32_e32 v1, 0, v1, vcc
	v_cndmask_b32_e32 v0, 3, v0, vcc
	v_cmp_ne_u64_e32 vcc, 0, v[0:1]
	v_cmp_ne_u32_e64 s[28:29], 0, v2
	s_or_b64 s[28:29], s[28:29], vcc
                                        ; implicit-def: $vgpr3
	s_and_saveexec_b64 s[62:63], s[28:29]
	s_xor_b64 s[28:29], exec, s[62:63]
; %bb.12004:                            ;   in Loop: Header=BB6_10588 Depth=4
	v_min_i32_e32 v1, 31, v2
	v_lshl_or_b32 v1, v1, 2, v4
	v_and_or_b32 v3, v0, 3, v1
                                        ; implicit-def: $vgpr4
; %bb.12005:                            ;   in Loop: Header=BB6_10588 Depth=4
	s_andn2_saveexec_b64 s[28:29], s[28:29]
; %bb.12006:                            ;   in Loop: Header=BB6_10588 Depth=4
	v_mov_b32_e32 v3, v4
; %bb.12007:                            ;   in Loop: Header=BB6_10588 Depth=4
	s_or_b64 exec, exec, s[28:29]
.LBB6_12008:                            ;   in Loop: Header=BB6_10588 Depth=4
	s_or_b64 exec, exec, s[38:39]
                                        ; implicit-def: $vgpr4
.LBB6_12009:                            ;   in Loop: Header=BB6_10588 Depth=4
	s_andn2_saveexec_b64 s[28:29], s[36:37]
; %bb.12010:                            ;   in Loop: Header=BB6_10588 Depth=4
	v_or_b32_e32 v3, 0x7b, v4
; %bb.12011:                            ;   in Loop: Header=BB6_10588 Depth=4
	s_or_b64 exec, exec, s[28:29]
                                        ; implicit-def: $vgpr0
.LBB6_12012:                            ;   in Loop: Header=BB6_10588 Depth=4
	s_andn2_saveexec_b64 s[28:29], s[34:35]
	s_cbranch_execz .LBB6_12018
; %bb.12013:                            ;   in Loop: Header=BB6_10588 Depth=4
	v_cmp_ne_u64_e32 vcc, 0, v[32:33]
                                        ; implicit-def: $vgpr3
	s_and_saveexec_b64 s[62:63], vcc
	s_xor_b64 vcc, exec, s[62:63]
; %bb.12014:                            ;   in Loop: Header=BB6_10588 Depth=4
	v_or_b32_sdwa v3, v0, s44 dst_sel:DWORD dst_unused:UNUSED_PAD src0_sel:BYTE_3 src1_sel:DWORD
                                        ; implicit-def: $vgpr0
; %bb.12015:                            ;   in Loop: Header=BB6_10588 Depth=4
	s_andn2_saveexec_b64 s[34:35], vcc
; %bb.12016:                            ;   in Loop: Header=BB6_10588 Depth=4
	v_cmp_lt_i32_e32 vcc, -1, v0
	v_mov_b32_e32 v0, 0x7c
	v_cndmask_b32_e32 v3, -4, v0, vcc
; %bb.12017:                            ;   in Loop: Header=BB6_10588 Depth=4
	s_or_b64 exec, exec, s[34:35]
.LBB6_12018:                            ;   in Loop: Header=BB6_10588 Depth=4
	s_or_b64 exec, exec, s[28:29]
	buffer_load_dword v0, off, s[0:3], s33 offset:236 ; 4-byte Folded Reload
	buffer_load_dword v1, off, s[0:3], s33 offset:240 ; 4-byte Folded Reload
	s_waitcnt vmcnt(0)
	v_mov_b32_e32 v1, 0
	v_and_b32_e32 v4, 0xff, v0
	v_cmp_ne_u16_e32 vcc, 0, v4
	v_mov_b32_e32 v0, 0
	s_and_saveexec_b64 s[28:29], vcc
	s_cbranch_execz .LBB6_12026
; %bb.12019:                            ;   in Loop: Header=BB6_10588 Depth=4
	v_cmp_ne_u16_e32 vcc, s97, v4
	v_bfrev_b32_e32 v1, 1
	s_and_saveexec_b64 s[34:35], vcc
	s_cbranch_execz .LBB6_12025
; %bb.12020:                            ;   in Loop: Header=BB6_10588 Depth=4
	buffer_load_dword v1, off, s[0:3], s33 offset:236 ; 4-byte Folded Reload
	buffer_load_dword v2, off, s[0:3], s33 offset:240 ; 4-byte Folded Reload
	s_waitcnt vmcnt(0)
	v_and_b32_e32 v2, 3, v1
	v_and_b32_e32 v1, 0x7c, v1
	v_cmp_ne_u32_e32 vcc, s86, v1
                                        ; implicit-def: $vgpr1
	s_and_saveexec_b64 s[62:63], vcc
	s_xor_b64 s[36:37], exec, s[62:63]
	s_cbranch_execz .LBB6_12022
; %bb.12021:                            ;   in Loop: Header=BB6_10588 Depth=4
	buffer_load_dword v50, off, s[0:3], s33 offset:236 ; 4-byte Folded Reload
	buffer_load_dword v51, off, s[0:3], s33 offset:240 ; 4-byte Folded Reload
	v_bfe_u32 v1, v4, 2, 5
	v_ffbh_u32_e32 v4, v2
	v_min_u32_e32 v4, 32, v4
	s_waitcnt vmcnt(0)
	v_mov_b32_e32 v51, v33
	v_subrev_u32_e32 v7, 29, v4
	v_sub_u32_e32 v4, 30, v4
	v_cmp_eq_u32_e32 vcc, 0, v1
	v_cndmask_b32_e32 v1, v1, v4, vcc
	v_lshlrev_b32_e32 v4, 24, v50
	v_lshlrev_b64 v[31:32], v7, v[50:51]
	v_and_b32_e32 v4, 0x80000000, v4
	v_and_b32_e32 v7, 3, v31
	v_cndmask_b32_e32 v2, v2, v7, vcc
	v_lshl_add_u32 v1, v1, 23, v4
	v_lshl_or_b32 v1, v2, 21, v1
	v_add_u32_e32 v1, 0x38000000, v1
                                        ; implicit-def: $vgpr4
                                        ; implicit-def: $vgpr2
	buffer_store_dword v4, off, s[0:3], s33 offset:236 ; 4-byte Folded Spill
	s_nop 0
	buffer_store_dword v5, off, s[0:3], s33 offset:240 ; 4-byte Folded Spill
.LBB6_12022:                            ;   in Loop: Header=BB6_10588 Depth=4
	s_andn2_saveexec_b64 s[36:37], s[36:37]
	s_cbranch_execz .LBB6_12024
; %bb.12023:                            ;   in Loop: Header=BB6_10588 Depth=4
	buffer_load_dword v31, off, s[0:3], s33 offset:236 ; 4-byte Folded Reload
	buffer_load_dword v32, off, s[0:3], s33 offset:240 ; 4-byte Folded Reload
	v_mov_b32_e32 v1, -1
	v_mov_b32_e32 v4, 0x7f800000
	s_waitcnt vmcnt(1)
	v_cmp_gt_i16_sdwa vcc, sext(v31), v1 src0_sel:BYTE_0 src1_sel:DWORD
	v_mov_b32_e32 v1, 0xff800000
	v_cndmask_b32_e32 v1, v1, v4, vcc
	v_cmp_eq_u32_e32 vcc, 0, v2
	v_mov_b32_e32 v2, 0x7f800001
	v_cndmask_b32_e32 v1, v2, v1, vcc
.LBB6_12024:                            ;   in Loop: Header=BB6_10588 Depth=4
	s_or_b64 exec, exec, s[36:37]
.LBB6_12025:                            ;   in Loop: Header=BB6_10588 Depth=4
	s_or_b64 exec, exec, s[34:35]
.LBB6_12026:                            ;   in Loop: Header=BB6_10588 Depth=4
	s_or_b64 exec, exec, s[28:29]
	v_cmp_ne_u16_e32 vcc, 0, v24
	s_and_saveexec_b64 s[28:29], vcc
	s_cbranch_execz .LBB6_12034
; %bb.12027:                            ;   in Loop: Header=BB6_10588 Depth=4
	v_cmp_ne_u16_e32 vcc, s46, v24
	v_bfrev_b32_e32 v0, 1
	s_and_saveexec_b64 s[34:35], vcc
	s_cbranch_execz .LBB6_12033
; %bb.12028:                            ;   in Loop: Header=BB6_10588 Depth=4
	v_and_b32_e32 v0, 0x7c, v24
	v_and_b32_e32 v2, 3, v24
	v_cmp_ne_u32_e32 vcc, s86, v0
                                        ; implicit-def: $vgpr0
	s_and_saveexec_b64 s[62:63], vcc
	s_xor_b64 s[36:37], exec, s[62:63]
	s_cbranch_execz .LBB6_12030
; %bb.12029:                            ;   in Loop: Header=BB6_10588 Depth=4
	v_ffbh_u32_e32 v4, v2
	v_min_u32_e32 v4, 32, v4
	v_and_b32_e32 v0, 0xff, v24
	v_mov_b32_e32 v25, v33
	v_subrev_u32_e32 v7, 29, v4
	v_bfe_u32 v0, v0, 2, 5
	s_waitcnt vmcnt(0)
	v_lshlrev_b64 v[31:32], v7, v[24:25]
	v_sub_u32_e32 v4, 30, v4
	v_cmp_eq_u32_e32 vcc, 0, v0
	v_and_b32_e32 v7, 3, v31
	v_cndmask_b32_e32 v0, v0, v4, vcc
	v_and_b32_sdwa v4, sext(v24), s87 dst_sel:DWORD dst_unused:UNUSED_PAD src0_sel:WORD_0 src1_sel:DWORD
	v_cndmask_b32_e32 v2, v2, v7, vcc
	v_lshl_add_u32 v0, v0, 23, v4
	v_lshl_or_b32 v0, v2, 21, v0
	v_add_u32_e32 v0, 0x38000000, v0
                                        ; implicit-def: $vgpr2
                                        ; implicit-def: $vgpr24
.LBB6_12030:                            ;   in Loop: Header=BB6_10588 Depth=4
	s_andn2_saveexec_b64 s[36:37], s[36:37]
; %bb.12031:                            ;   in Loop: Header=BB6_10588 Depth=4
	v_cmp_lt_i16_e32 vcc, -1, v24
	v_mov_b32_e32 v0, 0xff800000
	v_mov_b32_e32 v4, 0x7f800000
	v_cndmask_b32_e32 v0, v0, v4, vcc
	v_cmp_eq_u32_e32 vcc, 0, v2
	v_mov_b32_e32 v2, 0x7f800001
	v_cndmask_b32_e32 v0, v2, v0, vcc
; %bb.12032:                            ;   in Loop: Header=BB6_10588 Depth=4
	s_or_b64 exec, exec, s[36:37]
.LBB6_12033:                            ;   in Loop: Header=BB6_10588 Depth=4
	s_or_b64 exec, exec, s[34:35]
.LBB6_12034:                            ;   in Loop: Header=BB6_10588 Depth=4
	s_or_b64 exec, exec, s[28:29]
	v_add_f32_e32 v0, v1, v0
	v_and_b32_e32 v1, 0x7f800000, v0
	v_mov_b32_e32 v2, v33
	v_cmp_ne_u64_e32 vcc, s[76:77], v[1:2]
	s_waitcnt vmcnt(0)
	v_and_b32_e32 v32, 0x7fffff, v0
                                        ; implicit-def: $vgpr4
	s_and_saveexec_b64 s[28:29], vcc
	s_xor_b64 s[34:35], exec, s[28:29]
	s_cbranch_execz .LBB6_12052
; %bb.12035:                            ;   in Loop: Header=BB6_10588 Depth=4
	v_and_b32_e32 v1, 0x7fffffff, v0
	v_mov_b32_e32 v2, v33
	v_cmp_gt_u64_e32 vcc, s[78:79], v[1:2]
	v_and_b32_sdwa v7, v0, s97 dst_sel:DWORD dst_unused:UNUSED_PAD src0_sel:BYTE_3 src1_sel:DWORD
                                        ; implicit-def: $vgpr4
	s_and_saveexec_b64 s[28:29], vcc
	s_xor_b64 s[36:37], exec, s[28:29]
	s_cbranch_execz .LBB6_12049
; %bb.12036:                            ;   in Loop: Header=BB6_10588 Depth=4
	v_cmp_ne_u32_e32 vcc, 0, v0
	v_mov_b32_e32 v4, 0
	s_and_saveexec_b64 s[38:39], vcc
	s_cbranch_execz .LBB6_12048
; %bb.12037:                            ;   in Loop: Header=BB6_10588 Depth=4
	v_bfe_u32 v4, v0, 23, 8
	v_cmp_gt_u32_e64 s[28:29], s47, v4
	v_sub_u32_e32 v0, 0x71, v4
	v_cmp_eq_u32_e32 vcc, 0, v4
	v_cndmask_b32_e64 v0, 0, v0, s[28:29]
	v_mov_b32_e32 v2, 0x70
	v_cndmask_b32_e32 v16, v0, v2, vcc
	v_add_u32_e32 v2, 21, v16
	v_or_b32_e32 v1, 0x800000, v32
	v_lshlrev_b64 v[24:25], v2, -1
	v_cndmask_b32_e32 v0, v1, v32, vcc
	v_mov_b32_e32 v1, v33
	v_add_u32_e32 v2, 20, v16
	v_bfi_b32 v24, v24, 0, v0
	v_lshlrev_b64 v[31:32], v2, 1
	v_lshrrev_b64 v[0:1], v16, v[0:1]
	v_bfi_b32 v25, v25, 0, 0
	v_cmp_eq_u64_e64 s[28:29], v[24:25], v[31:32]
	v_mov_b32_e32 v2, v1
	v_mov_b32_e32 v1, v0
	s_and_saveexec_b64 s[48:49], s[28:29]
; %bb.12038:                            ;   in Loop: Header=BB6_10588 Depth=4
	v_bfe_u32 v1, v0, 21, 1
	v_add_co_u32_e64 v1, s[28:29], v0, v1
	v_add_co_u32_e64 v1, s[28:29], -1, v1
; %bb.12039:                            ;   in Loop: Header=BB6_10588 Depth=4
	s_or_b64 exec, exec, s[48:49]
	v_add_u32_e32 v2, 0xffffff81, v4
	v_mov_b32_e32 v4, 0xffffff82
	v_cndmask_b32_e32 v2, v2, v4, vcc
	v_lshrrev_b32_e32 v4, 23, v0
	v_add3_u32 v16, v16, v2, v4
	v_add_u32_e32 v4, 14, v16
	v_and_b32_e32 v1, 0x1fffff, v1
	v_add_u32_e32 v32, v1, v0
	v_cmp_ne_u32_e32 vcc, 0, v4
                                        ; implicit-def: $vgpr0_vgpr1
                                        ; implicit-def: $vgpr2
	s_and_saveexec_b64 s[28:29], vcc
	s_xor_b64 s[28:29], exec, s[28:29]
; %bb.12040:                            ;   in Loop: Header=BB6_10588 Depth=4
	v_cmp_lt_u64_e32 vcc, s[88:89], v[32:33]
	v_add_u32_e32 v0, 15, v16
	v_cndmask_b32_e32 v2, v4, v0, vcc
	v_cndmask_b32_e64 v0, 0, 1, vcc
	v_lshrrev_b64 v[0:1], v0, v[32:33]
; %bb.12041:                            ;   in Loop: Header=BB6_10588 Depth=4
	s_andn2_saveexec_b64 s[28:29], s[28:29]
; %bb.12042:                            ;   in Loop: Header=BB6_10588 Depth=4
	v_mov_b32_e32 v0, v32
	v_mov_b32_e32 v1, v33
	v_bfe_u32 v2, v32, 23, 1
; %bb.12043:                            ;   in Loop: Header=BB6_10588 Depth=4
	s_or_b64 exec, exec, s[28:29]
	v_lshrrev_b64 v[0:1], 21, v[0:1]
	v_cmp_gt_i32_e32 vcc, 32, v2
	v_cndmask_b32_e32 v1, 0, v1, vcc
	v_cndmask_b32_e32 v0, 3, v0, vcc
	v_cmp_ne_u64_e32 vcc, 0, v[0:1]
	v_cmp_ne_u32_e64 s[28:29], 0, v2
	s_or_b64 s[28:29], s[28:29], vcc
                                        ; implicit-def: $vgpr4
	s_and_saveexec_b64 s[62:63], s[28:29]
	s_xor_b64 s[28:29], exec, s[62:63]
; %bb.12044:                            ;   in Loop: Header=BB6_10588 Depth=4
	v_min_i32_e32 v1, 31, v2
	v_lshl_or_b32 v1, v1, 2, v7
	v_and_or_b32 v4, v0, 3, v1
                                        ; implicit-def: $vgpr7
; %bb.12045:                            ;   in Loop: Header=BB6_10588 Depth=4
	s_andn2_saveexec_b64 s[28:29], s[28:29]
; %bb.12046:                            ;   in Loop: Header=BB6_10588 Depth=4
	v_mov_b32_e32 v4, v7
; %bb.12047:                            ;   in Loop: Header=BB6_10588 Depth=4
	s_or_b64 exec, exec, s[28:29]
.LBB6_12048:                            ;   in Loop: Header=BB6_10588 Depth=4
	s_or_b64 exec, exec, s[38:39]
                                        ; implicit-def: $vgpr7
.LBB6_12049:                            ;   in Loop: Header=BB6_10588 Depth=4
	s_andn2_saveexec_b64 s[28:29], s[36:37]
; %bb.12050:                            ;   in Loop: Header=BB6_10588 Depth=4
	v_or_b32_e32 v4, 0x7b, v7
; %bb.12051:                            ;   in Loop: Header=BB6_10588 Depth=4
	s_or_b64 exec, exec, s[28:29]
                                        ; implicit-def: $vgpr0
.LBB6_12052:                            ;   in Loop: Header=BB6_10588 Depth=4
	s_andn2_saveexec_b64 s[28:29], s[34:35]
	s_cbranch_execz .LBB6_12058
; %bb.12053:                            ;   in Loop: Header=BB6_10588 Depth=4
	v_cmp_ne_u64_e32 vcc, 0, v[32:33]
                                        ; implicit-def: $vgpr4
	s_and_saveexec_b64 s[62:63], vcc
	s_xor_b64 vcc, exec, s[62:63]
; %bb.12054:                            ;   in Loop: Header=BB6_10588 Depth=4
	v_or_b32_sdwa v4, v0, s44 dst_sel:DWORD dst_unused:UNUSED_PAD src0_sel:BYTE_3 src1_sel:DWORD
                                        ; implicit-def: $vgpr0
; %bb.12055:                            ;   in Loop: Header=BB6_10588 Depth=4
	s_andn2_saveexec_b64 s[34:35], vcc
; %bb.12056:                            ;   in Loop: Header=BB6_10588 Depth=4
	v_cmp_lt_i32_e32 vcc, -1, v0
	v_mov_b32_e32 v0, 0x7c
	v_cndmask_b32_e32 v4, -4, v0, vcc
; %bb.12057:                            ;   in Loop: Header=BB6_10588 Depth=4
	s_or_b64 exec, exec, s[34:35]
.LBB6_12058:                            ;   in Loop: Header=BB6_10588 Depth=4
	s_or_b64 exec, exec, s[28:29]
	buffer_load_dword v0, off, s[0:3], s33 offset:228 ; 4-byte Folded Reload
	buffer_load_dword v1, off, s[0:3], s33 offset:232 ; 4-byte Folded Reload
	s_waitcnt vmcnt(0)
	v_mov_b32_e32 v1, 0
	v_and_b32_e32 v7, 0xff, v0
	v_cmp_ne_u16_e32 vcc, 0, v7
	v_mov_b32_e32 v0, 0
	s_and_saveexec_b64 s[28:29], vcc
	s_cbranch_execz .LBB6_12066
; %bb.12059:                            ;   in Loop: Header=BB6_10588 Depth=4
	v_cmp_ne_u16_e32 vcc, s97, v7
	v_bfrev_b32_e32 v1, 1
	s_and_saveexec_b64 s[34:35], vcc
	s_cbranch_execz .LBB6_12065
; %bb.12060:                            ;   in Loop: Header=BB6_10588 Depth=4
	buffer_load_dword v1, off, s[0:3], s33 offset:228 ; 4-byte Folded Reload
	buffer_load_dword v2, off, s[0:3], s33 offset:232 ; 4-byte Folded Reload
	s_waitcnt vmcnt(0)
	v_and_b32_e32 v2, 3, v1
	v_and_b32_e32 v1, 0x7c, v1
	v_cmp_ne_u32_e32 vcc, s86, v1
                                        ; implicit-def: $vgpr1
	s_and_saveexec_b64 s[62:63], vcc
	s_xor_b64 s[36:37], exec, s[62:63]
	s_cbranch_execz .LBB6_12062
; %bb.12061:                            ;   in Loop: Header=BB6_10588 Depth=4
	buffer_load_dword v31, off, s[0:3], s33 offset:228 ; 4-byte Folded Reload
	buffer_load_dword v32, off, s[0:3], s33 offset:232 ; 4-byte Folded Reload
	v_bfe_u32 v1, v7, 2, 5
	v_ffbh_u32_e32 v7, v2
	v_min_u32_e32 v7, 32, v7
	s_waitcnt vmcnt(0)
	v_mov_b32_e32 v32, v33
	v_subrev_u32_e32 v16, 29, v7
	v_sub_u32_e32 v7, 30, v7
	v_cmp_eq_u32_e32 vcc, 0, v1
	v_cndmask_b32_e32 v1, v1, v7, vcc
	v_lshlrev_b32_e32 v7, 24, v31
	v_lshlrev_b64 v[24:25], v16, v[31:32]
	v_and_b32_e32 v7, 0x80000000, v7
	v_and_b32_e32 v16, 3, v24
	v_cndmask_b32_e32 v2, v2, v16, vcc
	v_lshl_add_u32 v1, v1, 23, v7
	v_lshl_or_b32 v1, v2, 21, v1
	v_add_u32_e32 v1, 0x38000000, v1
                                        ; implicit-def: $vgpr7
                                        ; implicit-def: $vgpr2
	buffer_store_dword v7, off, s[0:3], s33 offset:228 ; 4-byte Folded Spill
	s_nop 0
	buffer_store_dword v8, off, s[0:3], s33 offset:232 ; 4-byte Folded Spill
.LBB6_12062:                            ;   in Loop: Header=BB6_10588 Depth=4
	s_andn2_saveexec_b64 s[36:37], s[36:37]
	s_cbranch_execz .LBB6_12064
; %bb.12063:                            ;   in Loop: Header=BB6_10588 Depth=4
	buffer_load_dword v24, off, s[0:3], s33 offset:228 ; 4-byte Folded Reload
	buffer_load_dword v25, off, s[0:3], s33 offset:232 ; 4-byte Folded Reload
	v_mov_b32_e32 v1, -1
	v_mov_b32_e32 v7, 0x7f800000
	s_waitcnt vmcnt(1)
	v_cmp_gt_i16_sdwa vcc, sext(v24), v1 src0_sel:BYTE_0 src1_sel:DWORD
	v_mov_b32_e32 v1, 0xff800000
	v_cndmask_b32_e32 v1, v1, v7, vcc
	v_cmp_eq_u32_e32 vcc, 0, v2
	v_mov_b32_e32 v2, 0x7f800001
	v_cndmask_b32_e32 v1, v2, v1, vcc
.LBB6_12064:                            ;   in Loop: Header=BB6_10588 Depth=4
	s_or_b64 exec, exec, s[36:37]
.LBB6_12065:                            ;   in Loop: Header=BB6_10588 Depth=4
	s_or_b64 exec, exec, s[34:35]
.LBB6_12066:                            ;   in Loop: Header=BB6_10588 Depth=4
	s_or_b64 exec, exec, s[28:29]
	v_cmp_ne_u16_e32 vcc, 0, v23
	s_and_saveexec_b64 s[28:29], vcc
	s_cbranch_execz .LBB6_12074
; %bb.12067:                            ;   in Loop: Header=BB6_10588 Depth=4
	v_cmp_ne_u16_e32 vcc, s46, v23
	v_bfrev_b32_e32 v0, 1
	s_and_saveexec_b64 s[34:35], vcc
	s_cbranch_execz .LBB6_12073
; %bb.12068:                            ;   in Loop: Header=BB6_10588 Depth=4
	v_and_b32_e32 v0, 0x7c, v23
	v_and_b32_e32 v2, 3, v23
	v_cmp_ne_u32_e32 vcc, s86, v0
                                        ; implicit-def: $vgpr0
	s_and_saveexec_b64 s[62:63], vcc
	s_xor_b64 s[36:37], exec, s[62:63]
	s_cbranch_execz .LBB6_12070
; %bb.12069:                            ;   in Loop: Header=BB6_10588 Depth=4
	v_ffbh_u32_e32 v7, v2
	v_min_u32_e32 v7, 32, v7
	v_and_b32_e32 v0, 0xff, v23
	v_mov_b32_e32 v24, v33
	v_subrev_u32_e32 v16, 29, v7
	v_bfe_u32 v0, v0, 2, 5
	s_waitcnt vmcnt(0)
	v_lshlrev_b64 v[24:25], v16, v[23:24]
	v_sub_u32_e32 v7, 30, v7
	v_cmp_eq_u32_e32 vcc, 0, v0
	v_and_b32_e32 v16, 3, v24
	v_cndmask_b32_e32 v0, v0, v7, vcc
	v_and_b32_sdwa v7, sext(v23), s87 dst_sel:DWORD dst_unused:UNUSED_PAD src0_sel:WORD_0 src1_sel:DWORD
	v_cndmask_b32_e32 v2, v2, v16, vcc
	v_lshl_add_u32 v0, v0, 23, v7
	v_lshl_or_b32 v0, v2, 21, v0
	v_add_u32_e32 v0, 0x38000000, v0
                                        ; implicit-def: $vgpr2
                                        ; implicit-def: $vgpr23
.LBB6_12070:                            ;   in Loop: Header=BB6_10588 Depth=4
	s_andn2_saveexec_b64 s[36:37], s[36:37]
; %bb.12071:                            ;   in Loop: Header=BB6_10588 Depth=4
	v_cmp_lt_i16_e32 vcc, -1, v23
	v_mov_b32_e32 v0, 0xff800000
	v_mov_b32_e32 v7, 0x7f800000
	v_cndmask_b32_e32 v0, v0, v7, vcc
	v_cmp_eq_u32_e32 vcc, 0, v2
	v_mov_b32_e32 v2, 0x7f800001
	v_cndmask_b32_e32 v0, v2, v0, vcc
; %bb.12072:                            ;   in Loop: Header=BB6_10588 Depth=4
	s_or_b64 exec, exec, s[36:37]
.LBB6_12073:                            ;   in Loop: Header=BB6_10588 Depth=4
	s_or_b64 exec, exec, s[34:35]
.LBB6_12074:                            ;   in Loop: Header=BB6_10588 Depth=4
	s_or_b64 exec, exec, s[28:29]
	v_add_f32_e32 v0, v1, v0
	v_and_b32_e32 v1, 0x7f800000, v0
	v_mov_b32_e32 v2, v33
	v_cmp_ne_u64_e32 vcc, s[76:77], v[1:2]
	v_and_b32_e32 v32, 0x7fffff, v0
                                        ; implicit-def: $vgpr24
	s_and_saveexec_b64 s[28:29], vcc
	s_xor_b64 s[34:35], exec, s[28:29]
	s_cbranch_execz .LBB6_12092
; %bb.12075:                            ;   in Loop: Header=BB6_10588 Depth=4
	v_and_b32_e32 v1, 0x7fffffff, v0
	v_mov_b32_e32 v2, v33
	v_cmp_gt_u64_e32 vcc, s[78:79], v[1:2]
	v_and_b32_sdwa v7, v0, s97 dst_sel:DWORD dst_unused:UNUSED_PAD src0_sel:BYTE_3 src1_sel:DWORD
                                        ; implicit-def: $vgpr24
	s_and_saveexec_b64 s[28:29], vcc
	s_xor_b64 s[36:37], exec, s[28:29]
	s_cbranch_execz .LBB6_12089
; %bb.12076:                            ;   in Loop: Header=BB6_10588 Depth=4
	v_cmp_ne_u32_e32 vcc, 0, v0
	v_mov_b32_e32 v24, 0
	s_and_saveexec_b64 s[38:39], vcc
	s_cbranch_execz .LBB6_12088
; %bb.12077:                            ;   in Loop: Header=BB6_10588 Depth=4
	v_bfe_u32 v16, v0, 23, 8
	v_cmp_gt_u32_e64 s[28:29], s47, v16
	v_sub_u32_e32 v0, 0x71, v16
	v_cmp_eq_u32_e32 vcc, 0, v16
	v_cndmask_b32_e64 v0, 0, v0, s[28:29]
	v_mov_b32_e32 v2, 0x70
	v_cndmask_b32_e32 v23, v0, v2, vcc
	v_add_u32_e32 v2, 21, v23
	v_or_b32_e32 v1, 0x800000, v32
	s_waitcnt vmcnt(0)
	v_lshlrev_b64 v[24:25], v2, -1
	v_cndmask_b32_e32 v0, v1, v32, vcc
	v_mov_b32_e32 v1, v33
	v_add_u32_e32 v2, 20, v23
	v_bfi_b32 v24, v24, 0, v0
	v_lshlrev_b64 v[31:32], v2, 1
	v_lshrrev_b64 v[0:1], v23, v[0:1]
	v_bfi_b32 v25, v25, 0, 0
	v_cmp_eq_u64_e64 s[28:29], v[24:25], v[31:32]
	v_mov_b32_e32 v2, v1
	v_mov_b32_e32 v1, v0
	s_and_saveexec_b64 s[48:49], s[28:29]
; %bb.12078:                            ;   in Loop: Header=BB6_10588 Depth=4
	v_bfe_u32 v1, v0, 21, 1
	v_add_co_u32_e64 v1, s[28:29], v0, v1
	v_add_co_u32_e64 v1, s[28:29], -1, v1
; %bb.12079:                            ;   in Loop: Header=BB6_10588 Depth=4
	s_or_b64 exec, exec, s[48:49]
	v_add_u32_e32 v2, 0xffffff81, v16
	v_mov_b32_e32 v16, 0xffffff82
	v_cndmask_b32_e32 v2, v2, v16, vcc
	v_lshrrev_b32_e32 v16, 23, v0
	v_add3_u32 v23, v23, v2, v16
	v_add_u32_e32 v16, 14, v23
	v_and_b32_e32 v1, 0x1fffff, v1
	v_add_u32_e32 v32, v1, v0
	v_cmp_ne_u32_e32 vcc, 0, v16
                                        ; implicit-def: $vgpr0_vgpr1
                                        ; implicit-def: $vgpr2
	s_and_saveexec_b64 s[28:29], vcc
	s_xor_b64 s[28:29], exec, s[28:29]
; %bb.12080:                            ;   in Loop: Header=BB6_10588 Depth=4
	v_cmp_lt_u64_e32 vcc, s[88:89], v[32:33]
	v_add_u32_e32 v0, 15, v23
	v_cndmask_b32_e32 v2, v16, v0, vcc
	v_cndmask_b32_e64 v0, 0, 1, vcc
	v_lshrrev_b64 v[0:1], v0, v[32:33]
; %bb.12081:                            ;   in Loop: Header=BB6_10588 Depth=4
	s_andn2_saveexec_b64 s[28:29], s[28:29]
; %bb.12082:                            ;   in Loop: Header=BB6_10588 Depth=4
	v_mov_b32_e32 v0, v32
	v_mov_b32_e32 v1, v33
	v_bfe_u32 v2, v32, 23, 1
; %bb.12083:                            ;   in Loop: Header=BB6_10588 Depth=4
	s_or_b64 exec, exec, s[28:29]
	v_lshrrev_b64 v[0:1], 21, v[0:1]
	v_cmp_gt_i32_e32 vcc, 32, v2
	v_cndmask_b32_e32 v1, 0, v1, vcc
	v_cndmask_b32_e32 v0, 3, v0, vcc
	v_cmp_ne_u64_e32 vcc, 0, v[0:1]
	v_cmp_ne_u32_e64 s[28:29], 0, v2
	s_or_b64 s[28:29], s[28:29], vcc
                                        ; implicit-def: $vgpr24
	s_and_saveexec_b64 s[62:63], s[28:29]
	s_xor_b64 s[28:29], exec, s[62:63]
; %bb.12084:                            ;   in Loop: Header=BB6_10588 Depth=4
	v_min_i32_e32 v1, 31, v2
	v_lshl_or_b32 v1, v1, 2, v7
	v_and_or_b32 v24, v0, 3, v1
                                        ; implicit-def: $vgpr7
; %bb.12085:                            ;   in Loop: Header=BB6_10588 Depth=4
	s_andn2_saveexec_b64 s[28:29], s[28:29]
; %bb.12086:                            ;   in Loop: Header=BB6_10588 Depth=4
	v_mov_b32_e32 v24, v7
; %bb.12087:                            ;   in Loop: Header=BB6_10588 Depth=4
	s_or_b64 exec, exec, s[28:29]
.LBB6_12088:                            ;   in Loop: Header=BB6_10588 Depth=4
	s_or_b64 exec, exec, s[38:39]
                                        ; implicit-def: $vgpr7
.LBB6_12089:                            ;   in Loop: Header=BB6_10588 Depth=4
	s_andn2_saveexec_b64 s[28:29], s[36:37]
; %bb.12090:                            ;   in Loop: Header=BB6_10588 Depth=4
	v_or_b32_e32 v24, 0x7b, v7
; %bb.12091:                            ;   in Loop: Header=BB6_10588 Depth=4
	s_or_b64 exec, exec, s[28:29]
                                        ; implicit-def: $vgpr0
.LBB6_12092:                            ;   in Loop: Header=BB6_10588 Depth=4
	s_andn2_saveexec_b64 s[28:29], s[34:35]
	s_cbranch_execz .LBB6_12098
; %bb.12093:                            ;   in Loop: Header=BB6_10588 Depth=4
	v_cmp_ne_u64_e32 vcc, 0, v[32:33]
                                        ; implicit-def: $vgpr24
	s_and_saveexec_b64 s[62:63], vcc
	s_xor_b64 vcc, exec, s[62:63]
; %bb.12094:                            ;   in Loop: Header=BB6_10588 Depth=4
	v_or_b32_sdwa v24, v0, s44 dst_sel:DWORD dst_unused:UNUSED_PAD src0_sel:BYTE_3 src1_sel:DWORD
                                        ; implicit-def: $vgpr0
; %bb.12095:                            ;   in Loop: Header=BB6_10588 Depth=4
	s_andn2_saveexec_b64 s[34:35], vcc
; %bb.12096:                            ;   in Loop: Header=BB6_10588 Depth=4
	v_cmp_lt_i32_e32 vcc, -1, v0
	v_mov_b32_e32 v0, 0x7c
	v_cndmask_b32_e32 v24, -4, v0, vcc
; %bb.12097:                            ;   in Loop: Header=BB6_10588 Depth=4
	s_or_b64 exec, exec, s[34:35]
.LBB6_12098:                            ;   in Loop: Header=BB6_10588 Depth=4
	s_or_b64 exec, exec, s[28:29]
	buffer_load_dword v0, off, s[0:3], s33 offset:220 ; 4-byte Folded Reload
	buffer_load_dword v1, off, s[0:3], s33 offset:224 ; 4-byte Folded Reload
	s_waitcnt vmcnt(0)
	v_mov_b32_e32 v1, 0
	v_and_b32_e32 v7, 0xff, v0
	v_cmp_ne_u16_e32 vcc, 0, v7
	v_mov_b32_e32 v0, 0
	s_and_saveexec_b64 s[28:29], vcc
	s_cbranch_execz .LBB6_12106
; %bb.12099:                            ;   in Loop: Header=BB6_10588 Depth=4
	v_cmp_ne_u16_e32 vcc, s97, v7
	v_bfrev_b32_e32 v1, 1
	s_and_saveexec_b64 s[34:35], vcc
	s_cbranch_execz .LBB6_12105
; %bb.12100:                            ;   in Loop: Header=BB6_10588 Depth=4
	buffer_load_dword v1, off, s[0:3], s33 offset:220 ; 4-byte Folded Reload
	buffer_load_dword v2, off, s[0:3], s33 offset:224 ; 4-byte Folded Reload
	s_waitcnt vmcnt(0)
	v_and_b32_e32 v2, 3, v1
	v_and_b32_e32 v1, 0x7c, v1
	v_cmp_ne_u32_e32 vcc, s86, v1
                                        ; implicit-def: $vgpr1
	s_and_saveexec_b64 s[62:63], vcc
	s_xor_b64 s[36:37], exec, s[62:63]
	s_cbranch_execz .LBB6_12102
; %bb.12101:                            ;   in Loop: Header=BB6_10588 Depth=4
	buffer_load_dword v50, off, s[0:3], s33 offset:220 ; 4-byte Folded Reload
	buffer_load_dword v51, off, s[0:3], s33 offset:224 ; 4-byte Folded Reload
	v_bfe_u32 v1, v7, 2, 5
	v_ffbh_u32_e32 v7, v2
	v_min_u32_e32 v7, 32, v7
	s_waitcnt vmcnt(0)
	v_mov_b32_e32 v51, v33
	v_subrev_u32_e32 v16, 29, v7
	v_sub_u32_e32 v7, 30, v7
	v_cmp_eq_u32_e32 vcc, 0, v1
	v_cndmask_b32_e32 v1, v1, v7, vcc
	v_lshlrev_b32_e32 v7, 24, v50
	v_lshlrev_b64 v[31:32], v16, v[50:51]
	v_and_b32_e32 v7, 0x80000000, v7
	v_and_b32_e32 v16, 3, v31
	v_cndmask_b32_e32 v2, v2, v16, vcc
	v_lshl_add_u32 v1, v1, 23, v7
	v_lshl_or_b32 v1, v2, 21, v1
	v_add_u32_e32 v1, 0x38000000, v1
                                        ; implicit-def: $vgpr7
                                        ; implicit-def: $vgpr2
	buffer_store_dword v7, off, s[0:3], s33 offset:220 ; 4-byte Folded Spill
	s_nop 0
	buffer_store_dword v8, off, s[0:3], s33 offset:224 ; 4-byte Folded Spill
.LBB6_12102:                            ;   in Loop: Header=BB6_10588 Depth=4
	s_andn2_saveexec_b64 s[36:37], s[36:37]
	s_cbranch_execz .LBB6_12104
; %bb.12103:                            ;   in Loop: Header=BB6_10588 Depth=4
	buffer_load_dword v31, off, s[0:3], s33 offset:220 ; 4-byte Folded Reload
	buffer_load_dword v32, off, s[0:3], s33 offset:224 ; 4-byte Folded Reload
	v_mov_b32_e32 v1, -1
	v_mov_b32_e32 v7, 0x7f800000
	s_waitcnt vmcnt(1)
	v_cmp_gt_i16_sdwa vcc, sext(v31), v1 src0_sel:BYTE_0 src1_sel:DWORD
	v_mov_b32_e32 v1, 0xff800000
	v_cndmask_b32_e32 v1, v1, v7, vcc
	v_cmp_eq_u32_e32 vcc, 0, v2
	v_mov_b32_e32 v2, 0x7f800001
	v_cndmask_b32_e32 v1, v2, v1, vcc
.LBB6_12104:                            ;   in Loop: Header=BB6_10588 Depth=4
	s_or_b64 exec, exec, s[36:37]
.LBB6_12105:                            ;   in Loop: Header=BB6_10588 Depth=4
	s_or_b64 exec, exec, s[34:35]
.LBB6_12106:                            ;   in Loop: Header=BB6_10588 Depth=4
	s_or_b64 exec, exec, s[28:29]
	v_cmp_ne_u16_e32 vcc, 0, v22
	s_and_saveexec_b64 s[28:29], vcc
	s_cbranch_execz .LBB6_12114
; %bb.12107:                            ;   in Loop: Header=BB6_10588 Depth=4
	v_cmp_ne_u16_e32 vcc, s46, v22
	v_bfrev_b32_e32 v0, 1
	s_and_saveexec_b64 s[34:35], vcc
	s_cbranch_execz .LBB6_12113
; %bb.12108:                            ;   in Loop: Header=BB6_10588 Depth=4
	v_and_b32_e32 v0, 0x7c, v22
	v_and_b32_e32 v2, 3, v22
	v_cmp_ne_u32_e32 vcc, s86, v0
                                        ; implicit-def: $vgpr0
	s_and_saveexec_b64 s[62:63], vcc
	s_xor_b64 s[36:37], exec, s[62:63]
	s_cbranch_execz .LBB6_12110
; %bb.12109:                            ;   in Loop: Header=BB6_10588 Depth=4
	v_ffbh_u32_e32 v7, v2
	v_min_u32_e32 v7, 32, v7
	v_and_b32_e32 v0, 0xff, v22
	v_mov_b32_e32 v23, v33
	v_subrev_u32_e32 v16, 29, v7
	v_bfe_u32 v0, v0, 2, 5
	s_waitcnt vmcnt(0)
	v_lshlrev_b64 v[31:32], v16, v[22:23]
	v_sub_u32_e32 v7, 30, v7
	v_cmp_eq_u32_e32 vcc, 0, v0
	v_and_b32_e32 v16, 3, v31
	v_cndmask_b32_e32 v0, v0, v7, vcc
	v_and_b32_sdwa v7, sext(v22), s87 dst_sel:DWORD dst_unused:UNUSED_PAD src0_sel:WORD_0 src1_sel:DWORD
	v_cndmask_b32_e32 v2, v2, v16, vcc
	v_lshl_add_u32 v0, v0, 23, v7
	v_lshl_or_b32 v0, v2, 21, v0
	v_add_u32_e32 v0, 0x38000000, v0
                                        ; implicit-def: $vgpr2
                                        ; implicit-def: $vgpr22
.LBB6_12110:                            ;   in Loop: Header=BB6_10588 Depth=4
	s_andn2_saveexec_b64 s[36:37], s[36:37]
; %bb.12111:                            ;   in Loop: Header=BB6_10588 Depth=4
	v_cmp_lt_i16_e32 vcc, -1, v22
	v_mov_b32_e32 v0, 0xff800000
	v_mov_b32_e32 v7, 0x7f800000
	v_cndmask_b32_e32 v0, v0, v7, vcc
	v_cmp_eq_u32_e32 vcc, 0, v2
	v_mov_b32_e32 v2, 0x7f800001
	v_cndmask_b32_e32 v0, v2, v0, vcc
; %bb.12112:                            ;   in Loop: Header=BB6_10588 Depth=4
	s_or_b64 exec, exec, s[36:37]
.LBB6_12113:                            ;   in Loop: Header=BB6_10588 Depth=4
	s_or_b64 exec, exec, s[34:35]
.LBB6_12114:                            ;   in Loop: Header=BB6_10588 Depth=4
	s_or_b64 exec, exec, s[28:29]
	v_add_f32_e32 v0, v1, v0
	v_and_b32_e32 v1, 0x7f800000, v0
	v_mov_b32_e32 v2, v33
	v_cmp_ne_u64_e32 vcc, s[76:77], v[1:2]
	s_waitcnt vmcnt(0)
	v_and_b32_e32 v32, 0x7fffff, v0
                                        ; implicit-def: $vgpr23
	s_and_saveexec_b64 s[28:29], vcc
	s_xor_b64 s[34:35], exec, s[28:29]
	s_cbranch_execz .LBB6_12132
; %bb.12115:                            ;   in Loop: Header=BB6_10588 Depth=4
	v_and_b32_e32 v1, 0x7fffffff, v0
	v_mov_b32_e32 v2, v33
	v_cmp_gt_u64_e32 vcc, s[78:79], v[1:2]
	v_and_b32_sdwa v7, v0, s97 dst_sel:DWORD dst_unused:UNUSED_PAD src0_sel:BYTE_3 src1_sel:DWORD
                                        ; implicit-def: $vgpr23
	s_and_saveexec_b64 s[28:29], vcc
	s_xor_b64 s[36:37], exec, s[28:29]
	s_cbranch_execz .LBB6_12129
; %bb.12116:                            ;   in Loop: Header=BB6_10588 Depth=4
	v_cmp_ne_u32_e32 vcc, 0, v0
	v_mov_b32_e32 v23, 0
	s_and_saveexec_b64 s[38:39], vcc
	s_cbranch_execz .LBB6_12128
; %bb.12117:                            ;   in Loop: Header=BB6_10588 Depth=4
	v_bfe_u32 v16, v0, 23, 8
	v_cmp_gt_u32_e64 s[28:29], s47, v16
	v_sub_u32_e32 v0, 0x71, v16
	v_cmp_eq_u32_e32 vcc, 0, v16
	v_cndmask_b32_e64 v0, 0, v0, s[28:29]
	v_mov_b32_e32 v2, 0x70
	v_cndmask_b32_e32 v22, v0, v2, vcc
	v_or_b32_e32 v1, 0x800000, v32
	v_add_u32_e32 v2, 21, v22
	v_cndmask_b32_e32 v0, v1, v32, vcc
	v_lshlrev_b64 v[31:32], v2, -1
	v_mov_b32_e32 v1, v33
	v_add_u32_e32 v2, 20, v22
	v_bfi_b32 v31, v31, 0, v0
	v_lshlrev_b64 v[50:51], v2, 1
	v_lshrrev_b64 v[0:1], v22, v[0:1]
	v_bfi_b32 v32, v32, 0, 0
	v_cmp_eq_u64_e64 s[28:29], v[31:32], v[50:51]
	v_mov_b32_e32 v2, v1
	v_mov_b32_e32 v1, v0
	s_and_saveexec_b64 s[48:49], s[28:29]
; %bb.12118:                            ;   in Loop: Header=BB6_10588 Depth=4
	v_bfe_u32 v1, v0, 21, 1
	v_add_co_u32_e64 v1, s[28:29], v0, v1
	v_add_co_u32_e64 v1, s[28:29], -1, v1
; %bb.12119:                            ;   in Loop: Header=BB6_10588 Depth=4
	s_or_b64 exec, exec, s[48:49]
	v_add_u32_e32 v2, 0xffffff81, v16
	v_mov_b32_e32 v16, 0xffffff82
	v_cndmask_b32_e32 v2, v2, v16, vcc
	v_lshrrev_b32_e32 v16, 23, v0
	v_add3_u32 v22, v22, v2, v16
	v_add_u32_e32 v16, 14, v22
	v_and_b32_e32 v1, 0x1fffff, v1
	v_add_u32_e32 v32, v1, v0
	v_cmp_ne_u32_e32 vcc, 0, v16
                                        ; implicit-def: $vgpr0_vgpr1
                                        ; implicit-def: $vgpr2
	s_and_saveexec_b64 s[28:29], vcc
	s_xor_b64 s[28:29], exec, s[28:29]
; %bb.12120:                            ;   in Loop: Header=BB6_10588 Depth=4
	v_cmp_lt_u64_e32 vcc, s[88:89], v[32:33]
	v_add_u32_e32 v0, 15, v22
	v_cndmask_b32_e32 v2, v16, v0, vcc
	v_cndmask_b32_e64 v0, 0, 1, vcc
	v_lshrrev_b64 v[0:1], v0, v[32:33]
; %bb.12121:                            ;   in Loop: Header=BB6_10588 Depth=4
	s_andn2_saveexec_b64 s[28:29], s[28:29]
; %bb.12122:                            ;   in Loop: Header=BB6_10588 Depth=4
	v_mov_b32_e32 v0, v32
	v_mov_b32_e32 v1, v33
	v_bfe_u32 v2, v32, 23, 1
; %bb.12123:                            ;   in Loop: Header=BB6_10588 Depth=4
	s_or_b64 exec, exec, s[28:29]
	v_lshrrev_b64 v[0:1], 21, v[0:1]
	v_cmp_gt_i32_e32 vcc, 32, v2
	v_cndmask_b32_e32 v1, 0, v1, vcc
	v_cndmask_b32_e32 v0, 3, v0, vcc
	v_cmp_ne_u64_e32 vcc, 0, v[0:1]
	v_cmp_ne_u32_e64 s[28:29], 0, v2
	s_or_b64 s[28:29], s[28:29], vcc
                                        ; implicit-def: $vgpr23
	s_and_saveexec_b64 s[62:63], s[28:29]
	s_xor_b64 s[28:29], exec, s[62:63]
; %bb.12124:                            ;   in Loop: Header=BB6_10588 Depth=4
	v_min_i32_e32 v1, 31, v2
	v_lshl_or_b32 v1, v1, 2, v7
	v_and_or_b32 v23, v0, 3, v1
                                        ; implicit-def: $vgpr7
; %bb.12125:                            ;   in Loop: Header=BB6_10588 Depth=4
	s_andn2_saveexec_b64 s[28:29], s[28:29]
; %bb.12126:                            ;   in Loop: Header=BB6_10588 Depth=4
	v_mov_b32_e32 v23, v7
; %bb.12127:                            ;   in Loop: Header=BB6_10588 Depth=4
	s_or_b64 exec, exec, s[28:29]
.LBB6_12128:                            ;   in Loop: Header=BB6_10588 Depth=4
	s_or_b64 exec, exec, s[38:39]
                                        ; implicit-def: $vgpr7
.LBB6_12129:                            ;   in Loop: Header=BB6_10588 Depth=4
	s_andn2_saveexec_b64 s[28:29], s[36:37]
; %bb.12130:                            ;   in Loop: Header=BB6_10588 Depth=4
	v_or_b32_e32 v23, 0x7b, v7
; %bb.12131:                            ;   in Loop: Header=BB6_10588 Depth=4
	s_or_b64 exec, exec, s[28:29]
                                        ; implicit-def: $vgpr0
.LBB6_12132:                            ;   in Loop: Header=BB6_10588 Depth=4
	s_andn2_saveexec_b64 s[28:29], s[34:35]
	s_cbranch_execz .LBB6_12138
; %bb.12133:                            ;   in Loop: Header=BB6_10588 Depth=4
	v_cmp_ne_u64_e32 vcc, 0, v[32:33]
                                        ; implicit-def: $vgpr23
	s_and_saveexec_b64 s[62:63], vcc
	s_xor_b64 vcc, exec, s[62:63]
; %bb.12134:                            ;   in Loop: Header=BB6_10588 Depth=4
	v_or_b32_sdwa v23, v0, s44 dst_sel:DWORD dst_unused:UNUSED_PAD src0_sel:BYTE_3 src1_sel:DWORD
                                        ; implicit-def: $vgpr0
; %bb.12135:                            ;   in Loop: Header=BB6_10588 Depth=4
	s_andn2_saveexec_b64 s[34:35], vcc
; %bb.12136:                            ;   in Loop: Header=BB6_10588 Depth=4
	v_cmp_lt_i32_e32 vcc, -1, v0
	v_mov_b32_e32 v0, 0x7c
	v_cndmask_b32_e32 v23, -4, v0, vcc
; %bb.12137:                            ;   in Loop: Header=BB6_10588 Depth=4
	s_or_b64 exec, exec, s[34:35]
.LBB6_12138:                            ;   in Loop: Header=BB6_10588 Depth=4
	s_or_b64 exec, exec, s[28:29]
	v_and_b32_e32 v7, 0xff, v57
	v_cmp_ne_u16_e32 vcc, 0, v7
	v_mov_b32_e32 v0, 0
	v_mov_b32_e32 v1, 0
	s_and_saveexec_b64 s[28:29], vcc
	s_cbranch_execz .LBB6_12146
; %bb.12139:                            ;   in Loop: Header=BB6_10588 Depth=4
	v_cmp_ne_u16_e32 vcc, s97, v7
	v_bfrev_b32_e32 v1, 1
	s_and_saveexec_b64 s[34:35], vcc
	s_cbranch_execz .LBB6_12145
; %bb.12140:                            ;   in Loop: Header=BB6_10588 Depth=4
	v_mov_b32_e32 v1, v57
	v_and_b32_e32 v2, 3, v1
	v_and_b32_e32 v1, 0x7c, v1
	v_cmp_ne_u32_e32 vcc, s86, v1
                                        ; implicit-def: $vgpr1
	s_and_saveexec_b64 s[62:63], vcc
	s_xor_b64 s[36:37], exec, s[62:63]
	s_cbranch_execz .LBB6_12142
; %bb.12141:                            ;   in Loop: Header=BB6_10588 Depth=4
	v_bfe_u32 v1, v7, 2, 5
	v_ffbh_u32_e32 v7, v2
	v_min_u32_e32 v7, 32, v7
	v_mov_b32_e32 v50, v57
	v_mov_b32_e32 v51, v33
	v_subrev_u32_e32 v16, 29, v7
	v_lshlrev_b64 v[31:32], v16, v[50:51]
	v_sub_u32_e32 v7, 30, v7
	v_cmp_eq_u32_e32 vcc, 0, v1
	v_cndmask_b32_e32 v1, v1, v7, vcc
	v_lshlrev_b32_e32 v7, 24, v50
	v_and_b32_e32 v16, 3, v31
	v_and_b32_e32 v7, 0x80000000, v7
	v_cndmask_b32_e32 v2, v2, v16, vcc
	v_lshl_add_u32 v1, v1, 23, v7
	v_lshl_or_b32 v1, v2, 21, v1
	v_add_u32_e32 v1, 0x38000000, v1
                                        ; implicit-def: $vgpr2
                                        ; implicit-def: $vgpr57
.LBB6_12142:                            ;   in Loop: Header=BB6_10588 Depth=4
	s_andn2_saveexec_b64 s[36:37], s[36:37]
; %bb.12143:                            ;   in Loop: Header=BB6_10588 Depth=4
	v_mov_b32_e32 v1, -1
	v_cmp_gt_i16_sdwa vcc, sext(v57), v1 src0_sel:BYTE_0 src1_sel:DWORD
	v_mov_b32_e32 v1, 0xff800000
	v_mov_b32_e32 v7, 0x7f800000
	v_cndmask_b32_e32 v1, v1, v7, vcc
	v_cmp_eq_u32_e32 vcc, 0, v2
	v_mov_b32_e32 v2, 0x7f800001
	v_cndmask_b32_e32 v1, v2, v1, vcc
; %bb.12144:                            ;   in Loop: Header=BB6_10588 Depth=4
	s_or_b64 exec, exec, s[36:37]
.LBB6_12145:                            ;   in Loop: Header=BB6_10588 Depth=4
	s_or_b64 exec, exec, s[34:35]
.LBB6_12146:                            ;   in Loop: Header=BB6_10588 Depth=4
	s_or_b64 exec, exec, s[28:29]
	v_cmp_ne_u16_e32 vcc, 0, v56
	s_and_saveexec_b64 s[28:29], vcc
	s_cbranch_execz .LBB6_12154
; %bb.12147:                            ;   in Loop: Header=BB6_10588 Depth=4
	v_cmp_ne_u16_e32 vcc, s46, v56
	v_bfrev_b32_e32 v0, 1
	s_and_saveexec_b64 s[34:35], vcc
	s_cbranch_execz .LBB6_12153
; %bb.12148:                            ;   in Loop: Header=BB6_10588 Depth=4
	v_and_b32_e32 v0, 0x7c, v56
	v_and_b32_e32 v2, 3, v56
	v_cmp_ne_u32_e32 vcc, s86, v0
                                        ; implicit-def: $vgpr0
	s_and_saveexec_b64 s[62:63], vcc
	s_xor_b64 s[36:37], exec, s[62:63]
	s_cbranch_execz .LBB6_12150
; %bb.12149:                            ;   in Loop: Header=BB6_10588 Depth=4
	v_ffbh_u32_e32 v7, v2
	v_min_u32_e32 v7, 32, v7
	v_and_b32_e32 v0, 0xff, v56
	v_mov_b32_e32 v57, v33
	v_subrev_u32_e32 v16, 29, v7
	v_bfe_u32 v0, v0, 2, 5
	v_lshlrev_b64 v[31:32], v16, v[56:57]
	v_sub_u32_e32 v7, 30, v7
	v_cmp_eq_u32_e32 vcc, 0, v0
	v_and_b32_e32 v16, 3, v31
	v_cndmask_b32_e32 v0, v0, v7, vcc
	v_and_b32_sdwa v7, sext(v56), s87 dst_sel:DWORD dst_unused:UNUSED_PAD src0_sel:WORD_0 src1_sel:DWORD
	v_cndmask_b32_e32 v2, v2, v16, vcc
	v_lshl_add_u32 v0, v0, 23, v7
	v_lshl_or_b32 v0, v2, 21, v0
	v_add_u32_e32 v0, 0x38000000, v0
                                        ; implicit-def: $vgpr2
                                        ; implicit-def: $vgpr56
.LBB6_12150:                            ;   in Loop: Header=BB6_10588 Depth=4
	s_andn2_saveexec_b64 s[36:37], s[36:37]
; %bb.12151:                            ;   in Loop: Header=BB6_10588 Depth=4
	v_cmp_lt_i16_e32 vcc, -1, v56
	v_mov_b32_e32 v0, 0xff800000
	v_mov_b32_e32 v7, 0x7f800000
	v_cndmask_b32_e32 v0, v0, v7, vcc
	v_cmp_eq_u32_e32 vcc, 0, v2
	v_mov_b32_e32 v2, 0x7f800001
	v_cndmask_b32_e32 v0, v2, v0, vcc
; %bb.12152:                            ;   in Loop: Header=BB6_10588 Depth=4
	s_or_b64 exec, exec, s[36:37]
.LBB6_12153:                            ;   in Loop: Header=BB6_10588 Depth=4
	s_or_b64 exec, exec, s[34:35]
.LBB6_12154:                            ;   in Loop: Header=BB6_10588 Depth=4
	s_or_b64 exec, exec, s[28:29]
	v_add_f32_e32 v0, v1, v0
	v_and_b32_e32 v1, 0x7f800000, v0
	v_mov_b32_e32 v2, v33
	v_cmp_ne_u64_e32 vcc, s[76:77], v[1:2]
	v_and_b32_e32 v32, 0x7fffff, v0
                                        ; implicit-def: $vgpr25
	s_and_saveexec_b64 s[28:29], vcc
	s_xor_b64 s[34:35], exec, s[28:29]
	s_cbranch_execz .LBB6_12172
; %bb.12155:                            ;   in Loop: Header=BB6_10588 Depth=4
	v_and_b32_e32 v1, 0x7fffffff, v0
	v_mov_b32_e32 v2, v33
	v_cmp_gt_u64_e32 vcc, s[78:79], v[1:2]
	v_and_b32_sdwa v7, v0, s97 dst_sel:DWORD dst_unused:UNUSED_PAD src0_sel:BYTE_3 src1_sel:DWORD
                                        ; implicit-def: $vgpr25
	s_and_saveexec_b64 s[28:29], vcc
	s_xor_b64 s[36:37], exec, s[28:29]
	s_cbranch_execz .LBB6_12169
; %bb.12156:                            ;   in Loop: Header=BB6_10588 Depth=4
	v_cmp_ne_u32_e32 vcc, 0, v0
	v_mov_b32_e32 v25, 0
	s_and_saveexec_b64 s[38:39], vcc
	s_cbranch_execz .LBB6_12168
; %bb.12157:                            ;   in Loop: Header=BB6_10588 Depth=4
	v_bfe_u32 v16, v0, 23, 8
	v_cmp_gt_u32_e64 s[28:29], s47, v16
	v_sub_u32_e32 v0, 0x71, v16
	v_cmp_eq_u32_e32 vcc, 0, v16
	v_cndmask_b32_e64 v0, 0, v0, s[28:29]
	v_mov_b32_e32 v2, 0x70
	v_cndmask_b32_e32 v22, v0, v2, vcc
	v_or_b32_e32 v1, 0x800000, v32
	v_add_u32_e32 v2, 21, v22
	v_cndmask_b32_e32 v0, v1, v32, vcc
	v_lshlrev_b64 v[31:32], v2, -1
	v_mov_b32_e32 v1, v33
	v_add_u32_e32 v2, 20, v22
	v_bfi_b32 v31, v31, 0, v0
	v_lshlrev_b64 v[50:51], v2, 1
	v_lshrrev_b64 v[0:1], v22, v[0:1]
	v_bfi_b32 v32, v32, 0, 0
	v_cmp_eq_u64_e64 s[28:29], v[31:32], v[50:51]
	v_mov_b32_e32 v2, v1
	v_mov_b32_e32 v1, v0
	s_and_saveexec_b64 s[48:49], s[28:29]
; %bb.12158:                            ;   in Loop: Header=BB6_10588 Depth=4
	v_bfe_u32 v1, v0, 21, 1
	v_add_co_u32_e64 v1, s[28:29], v0, v1
	v_add_co_u32_e64 v1, s[28:29], -1, v1
; %bb.12159:                            ;   in Loop: Header=BB6_10588 Depth=4
	s_or_b64 exec, exec, s[48:49]
	v_add_u32_e32 v2, 0xffffff81, v16
	v_mov_b32_e32 v16, 0xffffff82
	v_cndmask_b32_e32 v2, v2, v16, vcc
	v_lshrrev_b32_e32 v16, 23, v0
	v_add3_u32 v22, v22, v2, v16
	v_add_u32_e32 v16, 14, v22
	v_and_b32_e32 v1, 0x1fffff, v1
	v_add_u32_e32 v32, v1, v0
	v_cmp_ne_u32_e32 vcc, 0, v16
                                        ; implicit-def: $vgpr0_vgpr1
                                        ; implicit-def: $vgpr2
	s_and_saveexec_b64 s[28:29], vcc
	s_xor_b64 s[28:29], exec, s[28:29]
; %bb.12160:                            ;   in Loop: Header=BB6_10588 Depth=4
	v_cmp_lt_u64_e32 vcc, s[88:89], v[32:33]
	v_add_u32_e32 v0, 15, v22
	v_cndmask_b32_e32 v2, v16, v0, vcc
	v_cndmask_b32_e64 v0, 0, 1, vcc
	v_lshrrev_b64 v[0:1], v0, v[32:33]
; %bb.12161:                            ;   in Loop: Header=BB6_10588 Depth=4
	s_andn2_saveexec_b64 s[28:29], s[28:29]
; %bb.12162:                            ;   in Loop: Header=BB6_10588 Depth=4
	v_mov_b32_e32 v0, v32
	v_mov_b32_e32 v1, v33
	v_bfe_u32 v2, v32, 23, 1
; %bb.12163:                            ;   in Loop: Header=BB6_10588 Depth=4
	s_or_b64 exec, exec, s[28:29]
	v_lshrrev_b64 v[0:1], 21, v[0:1]
	v_cmp_gt_i32_e32 vcc, 32, v2
	v_cndmask_b32_e32 v1, 0, v1, vcc
	v_cndmask_b32_e32 v0, 3, v0, vcc
	v_cmp_ne_u64_e32 vcc, 0, v[0:1]
	v_cmp_ne_u32_e64 s[28:29], 0, v2
	s_or_b64 s[28:29], s[28:29], vcc
                                        ; implicit-def: $vgpr25
	s_and_saveexec_b64 s[62:63], s[28:29]
	s_xor_b64 s[28:29], exec, s[62:63]
; %bb.12164:                            ;   in Loop: Header=BB6_10588 Depth=4
	v_min_i32_e32 v1, 31, v2
	v_lshl_or_b32 v1, v1, 2, v7
	v_and_or_b32 v25, v0, 3, v1
                                        ; implicit-def: $vgpr7
; %bb.12165:                            ;   in Loop: Header=BB6_10588 Depth=4
	s_andn2_saveexec_b64 s[28:29], s[28:29]
; %bb.12166:                            ;   in Loop: Header=BB6_10588 Depth=4
	v_mov_b32_e32 v25, v7
; %bb.12167:                            ;   in Loop: Header=BB6_10588 Depth=4
	s_or_b64 exec, exec, s[28:29]
.LBB6_12168:                            ;   in Loop: Header=BB6_10588 Depth=4
	s_or_b64 exec, exec, s[38:39]
                                        ; implicit-def: $vgpr7
.LBB6_12169:                            ;   in Loop: Header=BB6_10588 Depth=4
	s_andn2_saveexec_b64 s[28:29], s[36:37]
; %bb.12170:                            ;   in Loop: Header=BB6_10588 Depth=4
	v_or_b32_e32 v25, 0x7b, v7
; %bb.12171:                            ;   in Loop: Header=BB6_10588 Depth=4
	s_or_b64 exec, exec, s[28:29]
                                        ; implicit-def: $vgpr0
.LBB6_12172:                            ;   in Loop: Header=BB6_10588 Depth=4
	s_andn2_saveexec_b64 s[28:29], s[34:35]
	s_cbranch_execz .LBB6_12178
; %bb.12173:                            ;   in Loop: Header=BB6_10588 Depth=4
	v_cmp_ne_u64_e32 vcc, 0, v[32:33]
                                        ; implicit-def: $vgpr25
	s_and_saveexec_b64 s[62:63], vcc
	s_xor_b64 vcc, exec, s[62:63]
; %bb.12174:                            ;   in Loop: Header=BB6_10588 Depth=4
	v_or_b32_sdwa v25, v0, s44 dst_sel:DWORD dst_unused:UNUSED_PAD src0_sel:BYTE_3 src1_sel:DWORD
                                        ; implicit-def: $vgpr0
; %bb.12175:                            ;   in Loop: Header=BB6_10588 Depth=4
	s_andn2_saveexec_b64 s[34:35], vcc
; %bb.12176:                            ;   in Loop: Header=BB6_10588 Depth=4
	v_cmp_lt_i32_e32 vcc, -1, v0
	v_mov_b32_e32 v0, 0x7c
	v_cndmask_b32_e32 v25, -4, v0, vcc
; %bb.12177:                            ;   in Loop: Header=BB6_10588 Depth=4
	s_or_b64 exec, exec, s[34:35]
.LBB6_12178:                            ;   in Loop: Header=BB6_10588 Depth=4
	s_or_b64 exec, exec, s[28:29]
	buffer_load_dword v0, off, s[0:3], s33 offset:212 ; 4-byte Folded Reload
	buffer_load_dword v1, off, s[0:3], s33 offset:216 ; 4-byte Folded Reload
	s_waitcnt vmcnt(0)
	v_mov_b32_e32 v1, 0
	v_and_b32_e32 v7, 0xff, v0
	v_cmp_ne_u16_e32 vcc, 0, v7
	v_mov_b32_e32 v0, 0
	s_and_saveexec_b64 s[28:29], vcc
	s_cbranch_execz .LBB6_12186
; %bb.12179:                            ;   in Loop: Header=BB6_10588 Depth=4
	v_cmp_ne_u16_e32 vcc, s97, v7
	v_bfrev_b32_e32 v1, 1
	s_and_saveexec_b64 s[34:35], vcc
	s_cbranch_execz .LBB6_12185
; %bb.12180:                            ;   in Loop: Header=BB6_10588 Depth=4
	buffer_load_dword v1, off, s[0:3], s33 offset:212 ; 4-byte Folded Reload
	buffer_load_dword v2, off, s[0:3], s33 offset:216 ; 4-byte Folded Reload
	s_waitcnt vmcnt(0)
	v_and_b32_e32 v2, 3, v1
	v_and_b32_e32 v1, 0x7c, v1
	v_cmp_ne_u32_e32 vcc, s86, v1
                                        ; implicit-def: $vgpr1
	s_and_saveexec_b64 s[62:63], vcc
	s_xor_b64 s[36:37], exec, s[62:63]
	s_cbranch_execz .LBB6_12182
; %bb.12181:                            ;   in Loop: Header=BB6_10588 Depth=4
	buffer_load_dword v50, off, s[0:3], s33 offset:212 ; 4-byte Folded Reload
	buffer_load_dword v51, off, s[0:3], s33 offset:216 ; 4-byte Folded Reload
	v_bfe_u32 v1, v7, 2, 5
	v_ffbh_u32_e32 v7, v2
	v_min_u32_e32 v7, 32, v7
	s_waitcnt vmcnt(0)
	v_mov_b32_e32 v51, v33
	v_subrev_u32_e32 v16, 29, v7
	v_sub_u32_e32 v7, 30, v7
	v_cmp_eq_u32_e32 vcc, 0, v1
	v_cndmask_b32_e32 v1, v1, v7, vcc
	v_lshlrev_b32_e32 v7, 24, v50
	v_lshlrev_b64 v[31:32], v16, v[50:51]
	v_and_b32_e32 v7, 0x80000000, v7
	v_and_b32_e32 v16, 3, v31
	v_cndmask_b32_e32 v2, v2, v16, vcc
	v_lshl_add_u32 v1, v1, 23, v7
	v_lshl_or_b32 v1, v2, 21, v1
	v_add_u32_e32 v1, 0x38000000, v1
                                        ; implicit-def: $vgpr7
                                        ; implicit-def: $vgpr2
	buffer_store_dword v7, off, s[0:3], s33 offset:212 ; 4-byte Folded Spill
	s_nop 0
	buffer_store_dword v8, off, s[0:3], s33 offset:216 ; 4-byte Folded Spill
.LBB6_12182:                            ;   in Loop: Header=BB6_10588 Depth=4
	s_andn2_saveexec_b64 s[36:37], s[36:37]
	s_cbranch_execz .LBB6_12184
; %bb.12183:                            ;   in Loop: Header=BB6_10588 Depth=4
	buffer_load_dword v31, off, s[0:3], s33 offset:212 ; 4-byte Folded Reload
	buffer_load_dword v32, off, s[0:3], s33 offset:216 ; 4-byte Folded Reload
	v_mov_b32_e32 v1, -1
	v_mov_b32_e32 v7, 0x7f800000
	s_waitcnt vmcnt(1)
	v_cmp_gt_i16_sdwa vcc, sext(v31), v1 src0_sel:BYTE_0 src1_sel:DWORD
	v_mov_b32_e32 v1, 0xff800000
	v_cndmask_b32_e32 v1, v1, v7, vcc
	v_cmp_eq_u32_e32 vcc, 0, v2
	v_mov_b32_e32 v2, 0x7f800001
	v_cndmask_b32_e32 v1, v2, v1, vcc
.LBB6_12184:                            ;   in Loop: Header=BB6_10588 Depth=4
	s_or_b64 exec, exec, s[36:37]
.LBB6_12185:                            ;   in Loop: Header=BB6_10588 Depth=4
	s_or_b64 exec, exec, s[34:35]
.LBB6_12186:                            ;   in Loop: Header=BB6_10588 Depth=4
	s_or_b64 exec, exec, s[28:29]
	v_cmp_ne_u16_e32 vcc, 0, v30
	s_and_saveexec_b64 s[28:29], vcc
	s_cbranch_execz .LBB6_12194
; %bb.12187:                            ;   in Loop: Header=BB6_10588 Depth=4
	v_cmp_ne_u16_e32 vcc, s46, v30
	v_bfrev_b32_e32 v0, 1
	s_and_saveexec_b64 s[34:35], vcc
	s_cbranch_execz .LBB6_12193
; %bb.12188:                            ;   in Loop: Header=BB6_10588 Depth=4
	v_and_b32_e32 v0, 0x7c, v30
	v_and_b32_e32 v2, 3, v30
	v_cmp_ne_u32_e32 vcc, s86, v0
                                        ; implicit-def: $vgpr0
	s_and_saveexec_b64 s[62:63], vcc
	s_xor_b64 s[36:37], exec, s[62:63]
	s_cbranch_execz .LBB6_12190
; %bb.12189:                            ;   in Loop: Header=BB6_10588 Depth=4
	v_ffbh_u32_e32 v7, v2
	v_min_u32_e32 v7, 32, v7
	v_and_b32_e32 v0, 0xff, v30
	v_mov_b32_e32 v31, v33
	v_subrev_u32_e32 v16, 29, v7
	v_bfe_u32 v0, v0, 2, 5
	s_waitcnt vmcnt(0)
	v_lshlrev_b64 v[31:32], v16, v[30:31]
	v_sub_u32_e32 v7, 30, v7
	v_cmp_eq_u32_e32 vcc, 0, v0
	v_and_b32_e32 v16, 3, v31
	v_cndmask_b32_e32 v0, v0, v7, vcc
	v_and_b32_sdwa v7, sext(v30), s87 dst_sel:DWORD dst_unused:UNUSED_PAD src0_sel:WORD_0 src1_sel:DWORD
	v_cndmask_b32_e32 v2, v2, v16, vcc
	v_lshl_add_u32 v0, v0, 23, v7
	v_lshl_or_b32 v0, v2, 21, v0
	v_add_u32_e32 v0, 0x38000000, v0
                                        ; implicit-def: $vgpr2
                                        ; implicit-def: $vgpr30
.LBB6_12190:                            ;   in Loop: Header=BB6_10588 Depth=4
	s_andn2_saveexec_b64 s[36:37], s[36:37]
; %bb.12191:                            ;   in Loop: Header=BB6_10588 Depth=4
	v_cmp_lt_i16_e32 vcc, -1, v30
	v_mov_b32_e32 v0, 0xff800000
	v_mov_b32_e32 v7, 0x7f800000
	v_cndmask_b32_e32 v0, v0, v7, vcc
	v_cmp_eq_u32_e32 vcc, 0, v2
	v_mov_b32_e32 v2, 0x7f800001
	v_cndmask_b32_e32 v0, v2, v0, vcc
; %bb.12192:                            ;   in Loop: Header=BB6_10588 Depth=4
	s_or_b64 exec, exec, s[36:37]
.LBB6_12193:                            ;   in Loop: Header=BB6_10588 Depth=4
	s_or_b64 exec, exec, s[34:35]
.LBB6_12194:                            ;   in Loop: Header=BB6_10588 Depth=4
	s_or_b64 exec, exec, s[28:29]
	v_add_f32_e32 v0, v1, v0
	v_and_b32_e32 v1, 0x7f800000, v0
	v_mov_b32_e32 v2, v33
	v_cmp_ne_u64_e32 vcc, s[76:77], v[1:2]
	s_waitcnt vmcnt(0)
	v_and_b32_e32 v32, 0x7fffff, v0
                                        ; implicit-def: $vgpr31
	s_and_saveexec_b64 s[28:29], vcc
	s_xor_b64 s[34:35], exec, s[28:29]
	s_cbranch_execz .LBB6_12212
; %bb.12195:                            ;   in Loop: Header=BB6_10588 Depth=4
	v_and_b32_e32 v1, 0x7fffffff, v0
	v_mov_b32_e32 v2, v33
	v_cmp_gt_u64_e32 vcc, s[78:79], v[1:2]
	v_and_b32_sdwa v7, v0, s97 dst_sel:DWORD dst_unused:UNUSED_PAD src0_sel:BYTE_3 src1_sel:DWORD
                                        ; implicit-def: $vgpr31
	s_and_saveexec_b64 s[28:29], vcc
	s_xor_b64 s[36:37], exec, s[28:29]
	s_cbranch_execz .LBB6_12209
; %bb.12196:                            ;   in Loop: Header=BB6_10588 Depth=4
	v_cmp_ne_u32_e32 vcc, 0, v0
	v_mov_b32_e32 v31, 0
	s_and_saveexec_b64 s[38:39], vcc
	s_cbranch_execz .LBB6_12208
; %bb.12197:                            ;   in Loop: Header=BB6_10588 Depth=4
	v_bfe_u32 v16, v0, 23, 8
	v_cmp_gt_u32_e64 s[28:29], s47, v16
	v_sub_u32_e32 v0, 0x71, v16
	v_cmp_eq_u32_e32 vcc, 0, v16
	v_cndmask_b32_e64 v0, 0, v0, s[28:29]
	v_mov_b32_e32 v2, 0x70
	v_cndmask_b32_e32 v22, v0, v2, vcc
	v_add_u32_e32 v2, 21, v22
	v_or_b32_e32 v1, 0x800000, v32
	v_lshlrev_b64 v[30:31], v2, -1
	v_cndmask_b32_e32 v0, v1, v32, vcc
	v_mov_b32_e32 v1, v33
	v_add_u32_e32 v2, 20, v22
	v_bfi_b32 v30, v30, 0, v0
	v_lshlrev_b64 v[50:51], v2, 1
	v_lshrrev_b64 v[0:1], v22, v[0:1]
	v_bfi_b32 v31, v31, 0, 0
	v_cmp_eq_u64_e64 s[28:29], v[30:31], v[50:51]
	v_mov_b32_e32 v2, v1
	v_mov_b32_e32 v1, v0
	s_and_saveexec_b64 s[48:49], s[28:29]
; %bb.12198:                            ;   in Loop: Header=BB6_10588 Depth=4
	v_bfe_u32 v1, v0, 21, 1
	v_add_co_u32_e64 v1, s[28:29], v0, v1
	v_add_co_u32_e64 v1, s[28:29], -1, v1
; %bb.12199:                            ;   in Loop: Header=BB6_10588 Depth=4
	s_or_b64 exec, exec, s[48:49]
	v_add_u32_e32 v2, 0xffffff81, v16
	v_mov_b32_e32 v16, 0xffffff82
	v_cndmask_b32_e32 v2, v2, v16, vcc
	v_lshrrev_b32_e32 v16, 23, v0
	v_add3_u32 v22, v22, v2, v16
	v_add_u32_e32 v16, 14, v22
	v_and_b32_e32 v1, 0x1fffff, v1
	v_add_u32_e32 v32, v1, v0
	v_cmp_ne_u32_e32 vcc, 0, v16
                                        ; implicit-def: $vgpr0_vgpr1
                                        ; implicit-def: $vgpr2
	s_and_saveexec_b64 s[28:29], vcc
	s_xor_b64 s[28:29], exec, s[28:29]
; %bb.12200:                            ;   in Loop: Header=BB6_10588 Depth=4
	v_cmp_lt_u64_e32 vcc, s[88:89], v[32:33]
	v_add_u32_e32 v0, 15, v22
	v_cndmask_b32_e32 v2, v16, v0, vcc
	v_cndmask_b32_e64 v0, 0, 1, vcc
	v_lshrrev_b64 v[0:1], v0, v[32:33]
; %bb.12201:                            ;   in Loop: Header=BB6_10588 Depth=4
	s_andn2_saveexec_b64 s[28:29], s[28:29]
; %bb.12202:                            ;   in Loop: Header=BB6_10588 Depth=4
	v_mov_b32_e32 v0, v32
	v_mov_b32_e32 v1, v33
	v_bfe_u32 v2, v32, 23, 1
; %bb.12203:                            ;   in Loop: Header=BB6_10588 Depth=4
	s_or_b64 exec, exec, s[28:29]
	v_lshrrev_b64 v[0:1], 21, v[0:1]
	v_cmp_gt_i32_e32 vcc, 32, v2
	v_cndmask_b32_e32 v1, 0, v1, vcc
	v_cndmask_b32_e32 v0, 3, v0, vcc
	v_cmp_ne_u64_e32 vcc, 0, v[0:1]
	v_cmp_ne_u32_e64 s[28:29], 0, v2
	s_or_b64 s[28:29], s[28:29], vcc
                                        ; implicit-def: $vgpr31
	s_and_saveexec_b64 s[62:63], s[28:29]
	s_xor_b64 s[28:29], exec, s[62:63]
; %bb.12204:                            ;   in Loop: Header=BB6_10588 Depth=4
	v_min_i32_e32 v1, 31, v2
	v_lshl_or_b32 v1, v1, 2, v7
	v_and_or_b32 v31, v0, 3, v1
                                        ; implicit-def: $vgpr7
; %bb.12205:                            ;   in Loop: Header=BB6_10588 Depth=4
	s_andn2_saveexec_b64 s[28:29], s[28:29]
; %bb.12206:                            ;   in Loop: Header=BB6_10588 Depth=4
	v_mov_b32_e32 v31, v7
; %bb.12207:                            ;   in Loop: Header=BB6_10588 Depth=4
	s_or_b64 exec, exec, s[28:29]
.LBB6_12208:                            ;   in Loop: Header=BB6_10588 Depth=4
	s_or_b64 exec, exec, s[38:39]
                                        ; implicit-def: $vgpr7
.LBB6_12209:                            ;   in Loop: Header=BB6_10588 Depth=4
	s_andn2_saveexec_b64 s[28:29], s[36:37]
; %bb.12210:                            ;   in Loop: Header=BB6_10588 Depth=4
	v_or_b32_e32 v31, 0x7b, v7
; %bb.12211:                            ;   in Loop: Header=BB6_10588 Depth=4
	s_or_b64 exec, exec, s[28:29]
                                        ; implicit-def: $vgpr0
.LBB6_12212:                            ;   in Loop: Header=BB6_10588 Depth=4
	s_andn2_saveexec_b64 s[28:29], s[34:35]
	s_cbranch_execz .LBB6_12218
; %bb.12213:                            ;   in Loop: Header=BB6_10588 Depth=4
	v_cmp_ne_u64_e32 vcc, 0, v[32:33]
                                        ; implicit-def: $vgpr31
	s_and_saveexec_b64 s[62:63], vcc
	s_xor_b64 vcc, exec, s[62:63]
; %bb.12214:                            ;   in Loop: Header=BB6_10588 Depth=4
	v_or_b32_sdwa v31, v0, s44 dst_sel:DWORD dst_unused:UNUSED_PAD src0_sel:BYTE_3 src1_sel:DWORD
                                        ; implicit-def: $vgpr0
; %bb.12215:                            ;   in Loop: Header=BB6_10588 Depth=4
	s_andn2_saveexec_b64 s[34:35], vcc
; %bb.12216:                            ;   in Loop: Header=BB6_10588 Depth=4
	v_cmp_lt_i32_e32 vcc, -1, v0
	v_mov_b32_e32 v0, 0x7c
	v_cndmask_b32_e32 v31, -4, v0, vcc
; %bb.12217:                            ;   in Loop: Header=BB6_10588 Depth=4
	s_or_b64 exec, exec, s[34:35]
.LBB6_12218:                            ;   in Loop: Header=BB6_10588 Depth=4
	s_or_b64 exec, exec, s[28:29]
	buffer_load_dword v0, off, s[0:3], s33 offset:204 ; 4-byte Folded Reload
	buffer_load_dword v1, off, s[0:3], s33 offset:208 ; 4-byte Folded Reload
	s_waitcnt vmcnt(0)
	v_mov_b32_e32 v1, 0
	v_and_b32_e32 v7, 0xff, v0
	v_cmp_ne_u16_e32 vcc, 0, v7
	v_mov_b32_e32 v0, 0
	s_and_saveexec_b64 s[28:29], vcc
	s_cbranch_execz .LBB6_12226
; %bb.12219:                            ;   in Loop: Header=BB6_10588 Depth=4
	v_cmp_ne_u16_e32 vcc, s97, v7
	v_bfrev_b32_e32 v1, 1
	s_and_saveexec_b64 s[34:35], vcc
	s_cbranch_execz .LBB6_12225
; %bb.12220:                            ;   in Loop: Header=BB6_10588 Depth=4
	buffer_load_dword v1, off, s[0:3], s33 offset:204 ; 4-byte Folded Reload
	buffer_load_dword v2, off, s[0:3], s33 offset:208 ; 4-byte Folded Reload
	s_waitcnt vmcnt(0)
	v_and_b32_e32 v2, 3, v1
	v_and_b32_e32 v1, 0x7c, v1
	v_cmp_ne_u32_e32 vcc, s86, v1
                                        ; implicit-def: $vgpr1
	s_and_saveexec_b64 s[62:63], vcc
	s_xor_b64 s[36:37], exec, s[62:63]
	s_cbranch_execz .LBB6_12222
; %bb.12221:                            ;   in Loop: Header=BB6_10588 Depth=4
	buffer_load_dword v40, off, s[0:3], s33 offset:204 ; 4-byte Folded Reload
	buffer_load_dword v41, off, s[0:3], s33 offset:208 ; 4-byte Folded Reload
	v_bfe_u32 v1, v7, 2, 5
	v_ffbh_u32_e32 v7, v2
	v_min_u32_e32 v7, 32, v7
	s_waitcnt vmcnt(0)
	v_mov_b32_e32 v41, v33
	v_subrev_u32_e32 v16, 29, v7
	v_sub_u32_e32 v7, 30, v7
	v_cmp_eq_u32_e32 vcc, 0, v1
	v_cndmask_b32_e32 v1, v1, v7, vcc
	v_lshlrev_b32_e32 v7, 24, v40
	v_lshlrev_b64 v[50:51], v16, v[40:41]
	v_and_b32_e32 v7, 0x80000000, v7
	v_and_b32_e32 v16, 3, v50
	v_cndmask_b32_e32 v2, v2, v16, vcc
	v_lshl_add_u32 v1, v1, 23, v7
	v_lshl_or_b32 v1, v2, 21, v1
	v_add_u32_e32 v1, 0x38000000, v1
                                        ; implicit-def: $vgpr7
                                        ; implicit-def: $vgpr2
	buffer_store_dword v7, off, s[0:3], s33 offset:204 ; 4-byte Folded Spill
	s_nop 0
	buffer_store_dword v8, off, s[0:3], s33 offset:208 ; 4-byte Folded Spill
.LBB6_12222:                            ;   in Loop: Header=BB6_10588 Depth=4
	s_andn2_saveexec_b64 s[36:37], s[36:37]
	s_cbranch_execz .LBB6_12224
; %bb.12223:                            ;   in Loop: Header=BB6_10588 Depth=4
	buffer_load_dword v50, off, s[0:3], s33 offset:204 ; 4-byte Folded Reload
	buffer_load_dword v51, off, s[0:3], s33 offset:208 ; 4-byte Folded Reload
	v_mov_b32_e32 v1, -1
	v_mov_b32_e32 v7, 0x7f800000
	s_waitcnt vmcnt(1)
	v_cmp_gt_i16_sdwa vcc, sext(v50), v1 src0_sel:BYTE_0 src1_sel:DWORD
	v_mov_b32_e32 v1, 0xff800000
	v_cndmask_b32_e32 v1, v1, v7, vcc
	v_cmp_eq_u32_e32 vcc, 0, v2
	v_mov_b32_e32 v2, 0x7f800001
	v_cndmask_b32_e32 v1, v2, v1, vcc
.LBB6_12224:                            ;   in Loop: Header=BB6_10588 Depth=4
	s_or_b64 exec, exec, s[36:37]
.LBB6_12225:                            ;   in Loop: Header=BB6_10588 Depth=4
	s_or_b64 exec, exec, s[34:35]
.LBB6_12226:                            ;   in Loop: Header=BB6_10588 Depth=4
	s_or_b64 exec, exec, s[28:29]
	v_cmp_ne_u16_e32 vcc, 0, v29
	s_and_saveexec_b64 s[28:29], vcc
	s_cbranch_execz .LBB6_12234
; %bb.12227:                            ;   in Loop: Header=BB6_10588 Depth=4
	v_cmp_ne_u16_e32 vcc, s46, v29
	v_bfrev_b32_e32 v0, 1
	s_and_saveexec_b64 s[34:35], vcc
	s_cbranch_execz .LBB6_12233
; %bb.12228:                            ;   in Loop: Header=BB6_10588 Depth=4
	v_and_b32_e32 v0, 0x7c, v29
	v_and_b32_e32 v2, 3, v29
	v_cmp_ne_u32_e32 vcc, s86, v0
                                        ; implicit-def: $vgpr0
	s_and_saveexec_b64 s[62:63], vcc
	s_xor_b64 s[36:37], exec, s[62:63]
	s_cbranch_execz .LBB6_12230
; %bb.12229:                            ;   in Loop: Header=BB6_10588 Depth=4
	v_ffbh_u32_e32 v7, v2
	v_min_u32_e32 v7, 32, v7
	v_and_b32_e32 v0, 0xff, v29
	v_mov_b32_e32 v30, v33
	v_subrev_u32_e32 v16, 29, v7
	v_bfe_u32 v0, v0, 2, 5
	s_waitcnt vmcnt(0)
	v_lshlrev_b64 v[50:51], v16, v[29:30]
	v_sub_u32_e32 v7, 30, v7
	v_cmp_eq_u32_e32 vcc, 0, v0
	v_and_b32_e32 v16, 3, v50
	v_cndmask_b32_e32 v0, v0, v7, vcc
	v_and_b32_sdwa v7, sext(v29), s87 dst_sel:DWORD dst_unused:UNUSED_PAD src0_sel:WORD_0 src1_sel:DWORD
	v_cndmask_b32_e32 v2, v2, v16, vcc
	v_lshl_add_u32 v0, v0, 23, v7
	v_lshl_or_b32 v0, v2, 21, v0
	v_add_u32_e32 v0, 0x38000000, v0
                                        ; implicit-def: $vgpr2
                                        ; implicit-def: $vgpr29
.LBB6_12230:                            ;   in Loop: Header=BB6_10588 Depth=4
	s_andn2_saveexec_b64 s[36:37], s[36:37]
; %bb.12231:                            ;   in Loop: Header=BB6_10588 Depth=4
	v_cmp_lt_i16_e32 vcc, -1, v29
	v_mov_b32_e32 v0, 0xff800000
	v_mov_b32_e32 v7, 0x7f800000
	v_cndmask_b32_e32 v0, v0, v7, vcc
	v_cmp_eq_u32_e32 vcc, 0, v2
	v_mov_b32_e32 v2, 0x7f800001
	v_cndmask_b32_e32 v0, v2, v0, vcc
; %bb.12232:                            ;   in Loop: Header=BB6_10588 Depth=4
	s_or_b64 exec, exec, s[36:37]
.LBB6_12233:                            ;   in Loop: Header=BB6_10588 Depth=4
	s_or_b64 exec, exec, s[34:35]
.LBB6_12234:                            ;   in Loop: Header=BB6_10588 Depth=4
	s_or_b64 exec, exec, s[28:29]
	v_add_f32_e32 v0, v1, v0
	v_and_b32_e32 v1, 0x7f800000, v0
	v_mov_b32_e32 v2, v33
	v_cmp_ne_u64_e32 vcc, s[76:77], v[1:2]
	v_and_b32_e32 v32, 0x7fffff, v0
                                        ; implicit-def: $vgpr30
	s_and_saveexec_b64 s[28:29], vcc
	s_xor_b64 s[34:35], exec, s[28:29]
	s_cbranch_execz .LBB6_12252
; %bb.12235:                            ;   in Loop: Header=BB6_10588 Depth=4
	v_and_b32_e32 v1, 0x7fffffff, v0
	v_mov_b32_e32 v2, v33
	v_cmp_gt_u64_e32 vcc, s[78:79], v[1:2]
	v_and_b32_sdwa v7, v0, s97 dst_sel:DWORD dst_unused:UNUSED_PAD src0_sel:BYTE_3 src1_sel:DWORD
                                        ; implicit-def: $vgpr30
	s_and_saveexec_b64 s[28:29], vcc
	s_xor_b64 s[36:37], exec, s[28:29]
	s_cbranch_execz .LBB6_12249
; %bb.12236:                            ;   in Loop: Header=BB6_10588 Depth=4
	v_cmp_ne_u32_e32 vcc, 0, v0
	v_mov_b32_e32 v30, 0
	s_and_saveexec_b64 s[38:39], vcc
	s_cbranch_execz .LBB6_12248
; %bb.12237:                            ;   in Loop: Header=BB6_10588 Depth=4
	v_bfe_u32 v16, v0, 23, 8
	v_cmp_gt_u32_e64 s[28:29], s47, v16
	v_sub_u32_e32 v0, 0x71, v16
	v_cmp_eq_u32_e32 vcc, 0, v16
	v_cndmask_b32_e64 v0, 0, v0, s[28:29]
	v_mov_b32_e32 v2, 0x70
	v_cndmask_b32_e32 v22, v0, v2, vcc
	v_add_u32_e32 v2, 21, v22
	v_or_b32_e32 v1, 0x800000, v32
	v_lshlrev_b64 v[29:30], v2, -1
	v_cndmask_b32_e32 v0, v1, v32, vcc
	v_mov_b32_e32 v1, v33
	v_add_u32_e32 v2, 20, v22
	v_bfi_b32 v29, v29, 0, v0
	s_waitcnt vmcnt(0)
	v_lshlrev_b64 v[50:51], v2, 1
	v_lshrrev_b64 v[0:1], v22, v[0:1]
	v_bfi_b32 v30, v30, 0, 0
	v_cmp_eq_u64_e64 s[28:29], v[29:30], v[50:51]
	v_mov_b32_e32 v2, v1
	v_mov_b32_e32 v1, v0
	s_and_saveexec_b64 s[48:49], s[28:29]
; %bb.12238:                            ;   in Loop: Header=BB6_10588 Depth=4
	v_bfe_u32 v1, v0, 21, 1
	v_add_co_u32_e64 v1, s[28:29], v0, v1
	v_add_co_u32_e64 v1, s[28:29], -1, v1
; %bb.12239:                            ;   in Loop: Header=BB6_10588 Depth=4
	s_or_b64 exec, exec, s[48:49]
	v_add_u32_e32 v2, 0xffffff81, v16
	v_mov_b32_e32 v16, 0xffffff82
	v_cndmask_b32_e32 v2, v2, v16, vcc
	v_lshrrev_b32_e32 v16, 23, v0
	v_add3_u32 v22, v22, v2, v16
	v_add_u32_e32 v16, 14, v22
	v_and_b32_e32 v1, 0x1fffff, v1
	v_add_u32_e32 v32, v1, v0
	v_cmp_ne_u32_e32 vcc, 0, v16
                                        ; implicit-def: $vgpr0_vgpr1
                                        ; implicit-def: $vgpr2
	s_and_saveexec_b64 s[28:29], vcc
	s_xor_b64 s[28:29], exec, s[28:29]
; %bb.12240:                            ;   in Loop: Header=BB6_10588 Depth=4
	v_cmp_lt_u64_e32 vcc, s[88:89], v[32:33]
	v_add_u32_e32 v0, 15, v22
	v_cndmask_b32_e32 v2, v16, v0, vcc
	v_cndmask_b32_e64 v0, 0, 1, vcc
	v_lshrrev_b64 v[0:1], v0, v[32:33]
; %bb.12241:                            ;   in Loop: Header=BB6_10588 Depth=4
	s_andn2_saveexec_b64 s[28:29], s[28:29]
; %bb.12242:                            ;   in Loop: Header=BB6_10588 Depth=4
	v_mov_b32_e32 v0, v32
	v_mov_b32_e32 v1, v33
	v_bfe_u32 v2, v32, 23, 1
; %bb.12243:                            ;   in Loop: Header=BB6_10588 Depth=4
	s_or_b64 exec, exec, s[28:29]
	v_lshrrev_b64 v[0:1], 21, v[0:1]
	v_cmp_gt_i32_e32 vcc, 32, v2
	v_cndmask_b32_e32 v1, 0, v1, vcc
	v_cndmask_b32_e32 v0, 3, v0, vcc
	v_cmp_ne_u64_e32 vcc, 0, v[0:1]
	v_cmp_ne_u32_e64 s[28:29], 0, v2
	s_or_b64 s[28:29], s[28:29], vcc
                                        ; implicit-def: $vgpr30
	s_and_saveexec_b64 s[62:63], s[28:29]
	s_xor_b64 s[28:29], exec, s[62:63]
; %bb.12244:                            ;   in Loop: Header=BB6_10588 Depth=4
	v_min_i32_e32 v1, 31, v2
	v_lshl_or_b32 v1, v1, 2, v7
	v_and_or_b32 v30, v0, 3, v1
                                        ; implicit-def: $vgpr7
; %bb.12245:                            ;   in Loop: Header=BB6_10588 Depth=4
	s_andn2_saveexec_b64 s[28:29], s[28:29]
; %bb.12246:                            ;   in Loop: Header=BB6_10588 Depth=4
	v_mov_b32_e32 v30, v7
; %bb.12247:                            ;   in Loop: Header=BB6_10588 Depth=4
	s_or_b64 exec, exec, s[28:29]
.LBB6_12248:                            ;   in Loop: Header=BB6_10588 Depth=4
	s_or_b64 exec, exec, s[38:39]
                                        ; implicit-def: $vgpr7
.LBB6_12249:                            ;   in Loop: Header=BB6_10588 Depth=4
	s_andn2_saveexec_b64 s[28:29], s[36:37]
; %bb.12250:                            ;   in Loop: Header=BB6_10588 Depth=4
	v_or_b32_e32 v30, 0x7b, v7
; %bb.12251:                            ;   in Loop: Header=BB6_10588 Depth=4
	s_or_b64 exec, exec, s[28:29]
                                        ; implicit-def: $vgpr0
.LBB6_12252:                            ;   in Loop: Header=BB6_10588 Depth=4
	s_andn2_saveexec_b64 s[28:29], s[34:35]
	s_cbranch_execz .LBB6_12258
; %bb.12253:                            ;   in Loop: Header=BB6_10588 Depth=4
	v_cmp_ne_u64_e32 vcc, 0, v[32:33]
                                        ; implicit-def: $vgpr30
	s_and_saveexec_b64 s[62:63], vcc
	s_xor_b64 vcc, exec, s[62:63]
; %bb.12254:                            ;   in Loop: Header=BB6_10588 Depth=4
	v_or_b32_sdwa v30, v0, s44 dst_sel:DWORD dst_unused:UNUSED_PAD src0_sel:BYTE_3 src1_sel:DWORD
                                        ; implicit-def: $vgpr0
; %bb.12255:                            ;   in Loop: Header=BB6_10588 Depth=4
	s_andn2_saveexec_b64 s[34:35], vcc
; %bb.12256:                            ;   in Loop: Header=BB6_10588 Depth=4
	v_cmp_lt_i32_e32 vcc, -1, v0
	v_mov_b32_e32 v0, 0x7c
	v_cndmask_b32_e32 v30, -4, v0, vcc
; %bb.12257:                            ;   in Loop: Header=BB6_10588 Depth=4
	s_or_b64 exec, exec, s[34:35]
.LBB6_12258:                            ;   in Loop: Header=BB6_10588 Depth=4
	s_or_b64 exec, exec, s[28:29]
	buffer_load_dword v0, off, s[0:3], s33 offset:196 ; 4-byte Folded Reload
	buffer_load_dword v1, off, s[0:3], s33 offset:200 ; 4-byte Folded Reload
	s_waitcnt vmcnt(0)
	v_mov_b32_e32 v1, 0
	v_and_b32_e32 v7, 0xff, v0
	v_cmp_ne_u16_e32 vcc, 0, v7
	v_mov_b32_e32 v0, 0
	s_and_saveexec_b64 s[28:29], vcc
	s_cbranch_execz .LBB6_12266
; %bb.12259:                            ;   in Loop: Header=BB6_10588 Depth=4
	v_cmp_ne_u16_e32 vcc, s97, v7
	v_bfrev_b32_e32 v1, 1
	s_and_saveexec_b64 s[34:35], vcc
	s_cbranch_execz .LBB6_12265
; %bb.12260:                            ;   in Loop: Header=BB6_10588 Depth=4
	buffer_load_dword v1, off, s[0:3], s33 offset:196 ; 4-byte Folded Reload
	buffer_load_dword v2, off, s[0:3], s33 offset:200 ; 4-byte Folded Reload
	s_waitcnt vmcnt(0)
	v_and_b32_e32 v2, 3, v1
	v_and_b32_e32 v1, 0x7c, v1
	v_cmp_ne_u32_e32 vcc, s86, v1
                                        ; implicit-def: $vgpr1
	s_and_saveexec_b64 s[62:63], vcc
	s_xor_b64 s[36:37], exec, s[62:63]
	s_cbranch_execz .LBB6_12262
; %bb.12261:                            ;   in Loop: Header=BB6_10588 Depth=4
	buffer_load_dword v40, off, s[0:3], s33 offset:196 ; 4-byte Folded Reload
	buffer_load_dword v41, off, s[0:3], s33 offset:200 ; 4-byte Folded Reload
	v_bfe_u32 v1, v7, 2, 5
	v_ffbh_u32_e32 v7, v2
	v_min_u32_e32 v7, 32, v7
	s_waitcnt vmcnt(0)
	v_mov_b32_e32 v41, v33
	v_subrev_u32_e32 v16, 29, v7
	v_sub_u32_e32 v7, 30, v7
	v_cmp_eq_u32_e32 vcc, 0, v1
	v_cndmask_b32_e32 v1, v1, v7, vcc
	v_lshlrev_b32_e32 v7, 24, v40
	v_lshlrev_b64 v[50:51], v16, v[40:41]
	v_and_b32_e32 v7, 0x80000000, v7
	v_and_b32_e32 v16, 3, v50
	v_cndmask_b32_e32 v2, v2, v16, vcc
	v_lshl_add_u32 v1, v1, 23, v7
	v_lshl_or_b32 v1, v2, 21, v1
	v_add_u32_e32 v1, 0x38000000, v1
                                        ; implicit-def: $vgpr7
                                        ; implicit-def: $vgpr2
	buffer_store_dword v7, off, s[0:3], s33 offset:196 ; 4-byte Folded Spill
	s_nop 0
	buffer_store_dword v8, off, s[0:3], s33 offset:200 ; 4-byte Folded Spill
.LBB6_12262:                            ;   in Loop: Header=BB6_10588 Depth=4
	s_andn2_saveexec_b64 s[36:37], s[36:37]
	s_cbranch_execz .LBB6_12264
; %bb.12263:                            ;   in Loop: Header=BB6_10588 Depth=4
	buffer_load_dword v50, off, s[0:3], s33 offset:196 ; 4-byte Folded Reload
	buffer_load_dword v51, off, s[0:3], s33 offset:200 ; 4-byte Folded Reload
	v_mov_b32_e32 v1, -1
	v_mov_b32_e32 v7, 0x7f800000
	s_waitcnt vmcnt(1)
	v_cmp_gt_i16_sdwa vcc, sext(v50), v1 src0_sel:BYTE_0 src1_sel:DWORD
	v_mov_b32_e32 v1, 0xff800000
	v_cndmask_b32_e32 v1, v1, v7, vcc
	v_cmp_eq_u32_e32 vcc, 0, v2
	v_mov_b32_e32 v2, 0x7f800001
	v_cndmask_b32_e32 v1, v2, v1, vcc
.LBB6_12264:                            ;   in Loop: Header=BB6_10588 Depth=4
	s_or_b64 exec, exec, s[36:37]
.LBB6_12265:                            ;   in Loop: Header=BB6_10588 Depth=4
	s_or_b64 exec, exec, s[34:35]
.LBB6_12266:                            ;   in Loop: Header=BB6_10588 Depth=4
	s_or_b64 exec, exec, s[28:29]
	v_cmp_ne_u16_e32 vcc, 0, v28
	s_and_saveexec_b64 s[28:29], vcc
	s_cbranch_execz .LBB6_12274
; %bb.12267:                            ;   in Loop: Header=BB6_10588 Depth=4
	v_cmp_ne_u16_e32 vcc, s46, v28
	v_bfrev_b32_e32 v0, 1
	s_and_saveexec_b64 s[34:35], vcc
	s_cbranch_execz .LBB6_12273
; %bb.12268:                            ;   in Loop: Header=BB6_10588 Depth=4
	v_and_b32_e32 v0, 0x7c, v28
	v_and_b32_e32 v2, 3, v28
	v_cmp_ne_u32_e32 vcc, s86, v0
                                        ; implicit-def: $vgpr0
	s_and_saveexec_b64 s[62:63], vcc
	s_xor_b64 s[36:37], exec, s[62:63]
	s_cbranch_execz .LBB6_12270
; %bb.12269:                            ;   in Loop: Header=BB6_10588 Depth=4
	v_ffbh_u32_e32 v7, v2
	v_min_u32_e32 v7, 32, v7
	v_and_b32_e32 v0, 0xff, v28
	v_mov_b32_e32 v29, v33
	v_subrev_u32_e32 v16, 29, v7
	v_bfe_u32 v0, v0, 2, 5
	s_waitcnt vmcnt(0)
	v_lshlrev_b64 v[50:51], v16, v[28:29]
	v_sub_u32_e32 v7, 30, v7
	v_cmp_eq_u32_e32 vcc, 0, v0
	v_and_b32_e32 v16, 3, v50
	v_cndmask_b32_e32 v0, v0, v7, vcc
	v_and_b32_sdwa v7, sext(v28), s87 dst_sel:DWORD dst_unused:UNUSED_PAD src0_sel:WORD_0 src1_sel:DWORD
	v_cndmask_b32_e32 v2, v2, v16, vcc
	v_lshl_add_u32 v0, v0, 23, v7
	v_lshl_or_b32 v0, v2, 21, v0
	v_add_u32_e32 v0, 0x38000000, v0
                                        ; implicit-def: $vgpr2
                                        ; implicit-def: $vgpr28
.LBB6_12270:                            ;   in Loop: Header=BB6_10588 Depth=4
	s_andn2_saveexec_b64 s[36:37], s[36:37]
; %bb.12271:                            ;   in Loop: Header=BB6_10588 Depth=4
	v_cmp_lt_i16_e32 vcc, -1, v28
	v_mov_b32_e32 v0, 0xff800000
	v_mov_b32_e32 v7, 0x7f800000
	v_cndmask_b32_e32 v0, v0, v7, vcc
	v_cmp_eq_u32_e32 vcc, 0, v2
	v_mov_b32_e32 v2, 0x7f800001
	v_cndmask_b32_e32 v0, v2, v0, vcc
; %bb.12272:                            ;   in Loop: Header=BB6_10588 Depth=4
	s_or_b64 exec, exec, s[36:37]
.LBB6_12273:                            ;   in Loop: Header=BB6_10588 Depth=4
	s_or_b64 exec, exec, s[34:35]
.LBB6_12274:                            ;   in Loop: Header=BB6_10588 Depth=4
	s_or_b64 exec, exec, s[28:29]
	v_add_f32_e32 v0, v1, v0
	v_and_b32_e32 v1, 0x7f800000, v0
	v_mov_b32_e32 v2, v33
	v_cmp_ne_u64_e32 vcc, s[76:77], v[1:2]
	v_and_b32_e32 v32, 0x7fffff, v0
                                        ; implicit-def: $vgpr29
	s_and_saveexec_b64 s[28:29], vcc
	s_xor_b64 s[34:35], exec, s[28:29]
	s_cbranch_execz .LBB6_12292
; %bb.12275:                            ;   in Loop: Header=BB6_10588 Depth=4
	v_and_b32_e32 v1, 0x7fffffff, v0
	v_mov_b32_e32 v2, v33
	v_cmp_gt_u64_e32 vcc, s[78:79], v[1:2]
	v_and_b32_sdwa v7, v0, s97 dst_sel:DWORD dst_unused:UNUSED_PAD src0_sel:BYTE_3 src1_sel:DWORD
                                        ; implicit-def: $vgpr29
	s_and_saveexec_b64 s[28:29], vcc
	s_xor_b64 s[36:37], exec, s[28:29]
	s_cbranch_execz .LBB6_12289
; %bb.12276:                            ;   in Loop: Header=BB6_10588 Depth=4
	v_cmp_ne_u32_e32 vcc, 0, v0
	v_mov_b32_e32 v29, 0
	s_and_saveexec_b64 s[38:39], vcc
	s_cbranch_execz .LBB6_12288
; %bb.12277:                            ;   in Loop: Header=BB6_10588 Depth=4
	v_bfe_u32 v16, v0, 23, 8
	v_cmp_gt_u32_e64 s[28:29], s47, v16
	v_sub_u32_e32 v0, 0x71, v16
	v_cmp_eq_u32_e32 vcc, 0, v16
	v_cndmask_b32_e64 v0, 0, v0, s[28:29]
	v_mov_b32_e32 v2, 0x70
	v_cndmask_b32_e32 v22, v0, v2, vcc
	v_add_u32_e32 v2, 21, v22
	v_or_b32_e32 v1, 0x800000, v32
	v_lshlrev_b64 v[28:29], v2, -1
	v_cndmask_b32_e32 v0, v1, v32, vcc
	v_mov_b32_e32 v1, v33
	v_add_u32_e32 v2, 20, v22
	v_bfi_b32 v28, v28, 0, v0
	s_waitcnt vmcnt(0)
	v_lshlrev_b64 v[50:51], v2, 1
	v_lshrrev_b64 v[0:1], v22, v[0:1]
	v_bfi_b32 v29, v29, 0, 0
	v_cmp_eq_u64_e64 s[28:29], v[28:29], v[50:51]
	v_mov_b32_e32 v2, v1
	v_mov_b32_e32 v1, v0
	s_and_saveexec_b64 s[48:49], s[28:29]
; %bb.12278:                            ;   in Loop: Header=BB6_10588 Depth=4
	v_bfe_u32 v1, v0, 21, 1
	v_add_co_u32_e64 v1, s[28:29], v0, v1
	v_add_co_u32_e64 v1, s[28:29], -1, v1
; %bb.12279:                            ;   in Loop: Header=BB6_10588 Depth=4
	s_or_b64 exec, exec, s[48:49]
	v_add_u32_e32 v2, 0xffffff81, v16
	v_mov_b32_e32 v16, 0xffffff82
	v_cndmask_b32_e32 v2, v2, v16, vcc
	v_lshrrev_b32_e32 v16, 23, v0
	v_add3_u32 v22, v22, v2, v16
	v_add_u32_e32 v16, 14, v22
	v_and_b32_e32 v1, 0x1fffff, v1
	v_add_u32_e32 v32, v1, v0
	v_cmp_ne_u32_e32 vcc, 0, v16
                                        ; implicit-def: $vgpr0_vgpr1
                                        ; implicit-def: $vgpr2
	s_and_saveexec_b64 s[28:29], vcc
	s_xor_b64 s[28:29], exec, s[28:29]
; %bb.12280:                            ;   in Loop: Header=BB6_10588 Depth=4
	v_cmp_lt_u64_e32 vcc, s[88:89], v[32:33]
	v_add_u32_e32 v0, 15, v22
	v_cndmask_b32_e32 v2, v16, v0, vcc
	v_cndmask_b32_e64 v0, 0, 1, vcc
	v_lshrrev_b64 v[0:1], v0, v[32:33]
; %bb.12281:                            ;   in Loop: Header=BB6_10588 Depth=4
	s_andn2_saveexec_b64 s[28:29], s[28:29]
; %bb.12282:                            ;   in Loop: Header=BB6_10588 Depth=4
	v_mov_b32_e32 v0, v32
	v_mov_b32_e32 v1, v33
	v_bfe_u32 v2, v32, 23, 1
; %bb.12283:                            ;   in Loop: Header=BB6_10588 Depth=4
	s_or_b64 exec, exec, s[28:29]
	v_lshrrev_b64 v[0:1], 21, v[0:1]
	v_cmp_gt_i32_e32 vcc, 32, v2
	v_cndmask_b32_e32 v1, 0, v1, vcc
	v_cndmask_b32_e32 v0, 3, v0, vcc
	v_cmp_ne_u64_e32 vcc, 0, v[0:1]
	v_cmp_ne_u32_e64 s[28:29], 0, v2
	s_or_b64 s[28:29], s[28:29], vcc
                                        ; implicit-def: $vgpr29
	s_and_saveexec_b64 s[62:63], s[28:29]
	s_xor_b64 s[28:29], exec, s[62:63]
; %bb.12284:                            ;   in Loop: Header=BB6_10588 Depth=4
	v_min_i32_e32 v1, 31, v2
	v_lshl_or_b32 v1, v1, 2, v7
	v_and_or_b32 v29, v0, 3, v1
                                        ; implicit-def: $vgpr7
; %bb.12285:                            ;   in Loop: Header=BB6_10588 Depth=4
	s_andn2_saveexec_b64 s[28:29], s[28:29]
; %bb.12286:                            ;   in Loop: Header=BB6_10588 Depth=4
	v_mov_b32_e32 v29, v7
; %bb.12287:                            ;   in Loop: Header=BB6_10588 Depth=4
	s_or_b64 exec, exec, s[28:29]
.LBB6_12288:                            ;   in Loop: Header=BB6_10588 Depth=4
	s_or_b64 exec, exec, s[38:39]
                                        ; implicit-def: $vgpr7
.LBB6_12289:                            ;   in Loop: Header=BB6_10588 Depth=4
	s_andn2_saveexec_b64 s[28:29], s[36:37]
; %bb.12290:                            ;   in Loop: Header=BB6_10588 Depth=4
	v_or_b32_e32 v29, 0x7b, v7
; %bb.12291:                            ;   in Loop: Header=BB6_10588 Depth=4
	s_or_b64 exec, exec, s[28:29]
                                        ; implicit-def: $vgpr0
.LBB6_12292:                            ;   in Loop: Header=BB6_10588 Depth=4
	s_andn2_saveexec_b64 s[28:29], s[34:35]
	s_cbranch_execz .LBB6_12298
; %bb.12293:                            ;   in Loop: Header=BB6_10588 Depth=4
	v_cmp_ne_u64_e32 vcc, 0, v[32:33]
                                        ; implicit-def: $vgpr29
	s_and_saveexec_b64 s[62:63], vcc
	s_xor_b64 vcc, exec, s[62:63]
; %bb.12294:                            ;   in Loop: Header=BB6_10588 Depth=4
	v_or_b32_sdwa v29, v0, s44 dst_sel:DWORD dst_unused:UNUSED_PAD src0_sel:BYTE_3 src1_sel:DWORD
                                        ; implicit-def: $vgpr0
; %bb.12295:                            ;   in Loop: Header=BB6_10588 Depth=4
	s_andn2_saveexec_b64 s[34:35], vcc
; %bb.12296:                            ;   in Loop: Header=BB6_10588 Depth=4
	v_cmp_lt_i32_e32 vcc, -1, v0
	v_mov_b32_e32 v0, 0x7c
	v_cndmask_b32_e32 v29, -4, v0, vcc
; %bb.12297:                            ;   in Loop: Header=BB6_10588 Depth=4
	s_or_b64 exec, exec, s[34:35]
.LBB6_12298:                            ;   in Loop: Header=BB6_10588 Depth=4
	s_or_b64 exec, exec, s[28:29]
	buffer_load_dword v0, off, s[0:3], s33 offset:188 ; 4-byte Folded Reload
	buffer_load_dword v1, off, s[0:3], s33 offset:192 ; 4-byte Folded Reload
	s_waitcnt vmcnt(0)
	v_mov_b32_e32 v1, 0
	v_and_b32_e32 v7, 0xff, v0
	v_cmp_ne_u16_e32 vcc, 0, v7
	v_mov_b32_e32 v0, 0
	s_and_saveexec_b64 s[28:29], vcc
	s_cbranch_execz .LBB6_12306
; %bb.12299:                            ;   in Loop: Header=BB6_10588 Depth=4
	v_cmp_ne_u16_e32 vcc, s97, v7
	v_bfrev_b32_e32 v1, 1
	s_and_saveexec_b64 s[34:35], vcc
	s_cbranch_execz .LBB6_12305
; %bb.12300:                            ;   in Loop: Header=BB6_10588 Depth=4
	buffer_load_dword v1, off, s[0:3], s33 offset:188 ; 4-byte Folded Reload
	buffer_load_dword v2, off, s[0:3], s33 offset:192 ; 4-byte Folded Reload
	s_waitcnt vmcnt(0)
	v_and_b32_e32 v2, 3, v1
	v_and_b32_e32 v1, 0x7c, v1
	v_cmp_ne_u32_e32 vcc, s86, v1
                                        ; implicit-def: $vgpr1
	s_and_saveexec_b64 s[62:63], vcc
	s_xor_b64 s[36:37], exec, s[62:63]
	s_cbranch_execz .LBB6_12302
; %bb.12301:                            ;   in Loop: Header=BB6_10588 Depth=4
	buffer_load_dword v40, off, s[0:3], s33 offset:188 ; 4-byte Folded Reload
	buffer_load_dword v41, off, s[0:3], s33 offset:192 ; 4-byte Folded Reload
	v_bfe_u32 v1, v7, 2, 5
	v_ffbh_u32_e32 v7, v2
	v_min_u32_e32 v7, 32, v7
	s_waitcnt vmcnt(0)
	v_mov_b32_e32 v41, v33
	v_subrev_u32_e32 v16, 29, v7
	v_sub_u32_e32 v7, 30, v7
	v_cmp_eq_u32_e32 vcc, 0, v1
	v_cndmask_b32_e32 v1, v1, v7, vcc
	v_lshlrev_b32_e32 v7, 24, v40
	v_lshlrev_b64 v[50:51], v16, v[40:41]
	v_and_b32_e32 v7, 0x80000000, v7
	v_and_b32_e32 v16, 3, v50
	v_cndmask_b32_e32 v2, v2, v16, vcc
	v_lshl_add_u32 v1, v1, 23, v7
	v_lshl_or_b32 v1, v2, 21, v1
	v_add_u32_e32 v1, 0x38000000, v1
                                        ; implicit-def: $vgpr7
                                        ; implicit-def: $vgpr2
	buffer_store_dword v7, off, s[0:3], s33 offset:188 ; 4-byte Folded Spill
	s_nop 0
	buffer_store_dword v8, off, s[0:3], s33 offset:192 ; 4-byte Folded Spill
.LBB6_12302:                            ;   in Loop: Header=BB6_10588 Depth=4
	s_andn2_saveexec_b64 s[36:37], s[36:37]
	s_cbranch_execz .LBB6_12304
; %bb.12303:                            ;   in Loop: Header=BB6_10588 Depth=4
	buffer_load_dword v50, off, s[0:3], s33 offset:188 ; 4-byte Folded Reload
	buffer_load_dword v51, off, s[0:3], s33 offset:192 ; 4-byte Folded Reload
	v_mov_b32_e32 v1, -1
	v_mov_b32_e32 v7, 0x7f800000
	s_waitcnt vmcnt(1)
	v_cmp_gt_i16_sdwa vcc, sext(v50), v1 src0_sel:BYTE_0 src1_sel:DWORD
	v_mov_b32_e32 v1, 0xff800000
	v_cndmask_b32_e32 v1, v1, v7, vcc
	v_cmp_eq_u32_e32 vcc, 0, v2
	v_mov_b32_e32 v2, 0x7f800001
	v_cndmask_b32_e32 v1, v2, v1, vcc
.LBB6_12304:                            ;   in Loop: Header=BB6_10588 Depth=4
	s_or_b64 exec, exec, s[36:37]
.LBB6_12305:                            ;   in Loop: Header=BB6_10588 Depth=4
	s_or_b64 exec, exec, s[34:35]
.LBB6_12306:                            ;   in Loop: Header=BB6_10588 Depth=4
	s_or_b64 exec, exec, s[28:29]
	v_cmp_ne_u16_e32 vcc, 0, v27
	s_and_saveexec_b64 s[28:29], vcc
	s_cbranch_execz .LBB6_12314
; %bb.12307:                            ;   in Loop: Header=BB6_10588 Depth=4
	v_cmp_ne_u16_e32 vcc, s46, v27
	v_bfrev_b32_e32 v0, 1
	s_and_saveexec_b64 s[34:35], vcc
	s_cbranch_execz .LBB6_12313
; %bb.12308:                            ;   in Loop: Header=BB6_10588 Depth=4
	v_and_b32_e32 v0, 0x7c, v27
	v_and_b32_e32 v2, 3, v27
	v_cmp_ne_u32_e32 vcc, s86, v0
                                        ; implicit-def: $vgpr0
	s_and_saveexec_b64 s[62:63], vcc
	s_xor_b64 s[36:37], exec, s[62:63]
	s_cbranch_execz .LBB6_12310
; %bb.12309:                            ;   in Loop: Header=BB6_10588 Depth=4
	v_ffbh_u32_e32 v7, v2
	v_min_u32_e32 v7, 32, v7
	v_and_b32_e32 v0, 0xff, v27
	v_mov_b32_e32 v28, v33
	v_subrev_u32_e32 v16, 29, v7
	v_bfe_u32 v0, v0, 2, 5
	s_waitcnt vmcnt(0)
	v_lshlrev_b64 v[50:51], v16, v[27:28]
	v_sub_u32_e32 v7, 30, v7
	v_cmp_eq_u32_e32 vcc, 0, v0
	v_and_b32_e32 v16, 3, v50
	v_cndmask_b32_e32 v0, v0, v7, vcc
	v_and_b32_sdwa v7, sext(v27), s87 dst_sel:DWORD dst_unused:UNUSED_PAD src0_sel:WORD_0 src1_sel:DWORD
	v_cndmask_b32_e32 v2, v2, v16, vcc
	v_lshl_add_u32 v0, v0, 23, v7
	v_lshl_or_b32 v0, v2, 21, v0
	v_add_u32_e32 v0, 0x38000000, v0
                                        ; implicit-def: $vgpr2
                                        ; implicit-def: $vgpr27
.LBB6_12310:                            ;   in Loop: Header=BB6_10588 Depth=4
	s_andn2_saveexec_b64 s[36:37], s[36:37]
; %bb.12311:                            ;   in Loop: Header=BB6_10588 Depth=4
	v_cmp_lt_i16_e32 vcc, -1, v27
	v_mov_b32_e32 v0, 0xff800000
	v_mov_b32_e32 v7, 0x7f800000
	v_cndmask_b32_e32 v0, v0, v7, vcc
	v_cmp_eq_u32_e32 vcc, 0, v2
	v_mov_b32_e32 v2, 0x7f800001
	v_cndmask_b32_e32 v0, v2, v0, vcc
; %bb.12312:                            ;   in Loop: Header=BB6_10588 Depth=4
	s_or_b64 exec, exec, s[36:37]
.LBB6_12313:                            ;   in Loop: Header=BB6_10588 Depth=4
	s_or_b64 exec, exec, s[34:35]
.LBB6_12314:                            ;   in Loop: Header=BB6_10588 Depth=4
	s_or_b64 exec, exec, s[28:29]
	v_add_f32_e32 v0, v1, v0
	v_and_b32_e32 v1, 0x7f800000, v0
	v_mov_b32_e32 v2, v33
	v_cmp_ne_u64_e32 vcc, s[76:77], v[1:2]
	v_and_b32_e32 v32, 0x7fffff, v0
                                        ; implicit-def: $vgpr28
	s_and_saveexec_b64 s[28:29], vcc
	s_xor_b64 s[34:35], exec, s[28:29]
	s_cbranch_execz .LBB6_12332
; %bb.12315:                            ;   in Loop: Header=BB6_10588 Depth=4
	v_and_b32_e32 v1, 0x7fffffff, v0
	v_mov_b32_e32 v2, v33
	v_cmp_gt_u64_e32 vcc, s[78:79], v[1:2]
	v_and_b32_sdwa v7, v0, s97 dst_sel:DWORD dst_unused:UNUSED_PAD src0_sel:BYTE_3 src1_sel:DWORD
                                        ; implicit-def: $vgpr28
	s_and_saveexec_b64 s[28:29], vcc
	s_xor_b64 s[36:37], exec, s[28:29]
	s_cbranch_execz .LBB6_12329
; %bb.12316:                            ;   in Loop: Header=BB6_10588 Depth=4
	v_cmp_ne_u32_e32 vcc, 0, v0
	v_mov_b32_e32 v28, 0
	s_and_saveexec_b64 s[38:39], vcc
	s_cbranch_execz .LBB6_12328
; %bb.12317:                            ;   in Loop: Header=BB6_10588 Depth=4
	v_bfe_u32 v16, v0, 23, 8
	v_cmp_gt_u32_e64 s[28:29], s47, v16
	v_sub_u32_e32 v0, 0x71, v16
	v_cmp_eq_u32_e32 vcc, 0, v16
	v_cndmask_b32_e64 v0, 0, v0, s[28:29]
	v_mov_b32_e32 v2, 0x70
	v_cndmask_b32_e32 v22, v0, v2, vcc
	v_add_u32_e32 v2, 21, v22
	v_or_b32_e32 v1, 0x800000, v32
	v_lshlrev_b64 v[27:28], v2, -1
	v_cndmask_b32_e32 v0, v1, v32, vcc
	v_mov_b32_e32 v1, v33
	v_add_u32_e32 v2, 20, v22
	v_bfi_b32 v27, v27, 0, v0
	s_waitcnt vmcnt(0)
	v_lshlrev_b64 v[50:51], v2, 1
	v_lshrrev_b64 v[0:1], v22, v[0:1]
	v_bfi_b32 v28, v28, 0, 0
	v_cmp_eq_u64_e64 s[28:29], v[27:28], v[50:51]
	v_mov_b32_e32 v2, v1
	v_mov_b32_e32 v1, v0
	s_and_saveexec_b64 s[48:49], s[28:29]
; %bb.12318:                            ;   in Loop: Header=BB6_10588 Depth=4
	v_bfe_u32 v1, v0, 21, 1
	v_add_co_u32_e64 v1, s[28:29], v0, v1
	v_add_co_u32_e64 v1, s[28:29], -1, v1
; %bb.12319:                            ;   in Loop: Header=BB6_10588 Depth=4
	s_or_b64 exec, exec, s[48:49]
	v_add_u32_e32 v2, 0xffffff81, v16
	v_mov_b32_e32 v16, 0xffffff82
	v_cndmask_b32_e32 v2, v2, v16, vcc
	v_lshrrev_b32_e32 v16, 23, v0
	v_add3_u32 v22, v22, v2, v16
	v_add_u32_e32 v16, 14, v22
	v_and_b32_e32 v1, 0x1fffff, v1
	v_add_u32_e32 v32, v1, v0
	v_cmp_ne_u32_e32 vcc, 0, v16
                                        ; implicit-def: $vgpr0_vgpr1
                                        ; implicit-def: $vgpr2
	s_and_saveexec_b64 s[28:29], vcc
	s_xor_b64 s[28:29], exec, s[28:29]
; %bb.12320:                            ;   in Loop: Header=BB6_10588 Depth=4
	v_cmp_lt_u64_e32 vcc, s[88:89], v[32:33]
	v_add_u32_e32 v0, 15, v22
	v_cndmask_b32_e32 v2, v16, v0, vcc
	v_cndmask_b32_e64 v0, 0, 1, vcc
	v_lshrrev_b64 v[0:1], v0, v[32:33]
; %bb.12321:                            ;   in Loop: Header=BB6_10588 Depth=4
	s_andn2_saveexec_b64 s[28:29], s[28:29]
; %bb.12322:                            ;   in Loop: Header=BB6_10588 Depth=4
	v_mov_b32_e32 v0, v32
	v_mov_b32_e32 v1, v33
	v_bfe_u32 v2, v32, 23, 1
; %bb.12323:                            ;   in Loop: Header=BB6_10588 Depth=4
	s_or_b64 exec, exec, s[28:29]
	v_lshrrev_b64 v[0:1], 21, v[0:1]
	v_cmp_gt_i32_e32 vcc, 32, v2
	v_cndmask_b32_e32 v1, 0, v1, vcc
	v_cndmask_b32_e32 v0, 3, v0, vcc
	v_cmp_ne_u64_e32 vcc, 0, v[0:1]
	v_cmp_ne_u32_e64 s[28:29], 0, v2
	s_or_b64 s[28:29], s[28:29], vcc
                                        ; implicit-def: $vgpr28
	s_and_saveexec_b64 s[62:63], s[28:29]
	s_xor_b64 s[28:29], exec, s[62:63]
; %bb.12324:                            ;   in Loop: Header=BB6_10588 Depth=4
	v_min_i32_e32 v1, 31, v2
	v_lshl_or_b32 v1, v1, 2, v7
	v_and_or_b32 v28, v0, 3, v1
                                        ; implicit-def: $vgpr7
; %bb.12325:                            ;   in Loop: Header=BB6_10588 Depth=4
	s_andn2_saveexec_b64 s[28:29], s[28:29]
; %bb.12326:                            ;   in Loop: Header=BB6_10588 Depth=4
	v_mov_b32_e32 v28, v7
; %bb.12327:                            ;   in Loop: Header=BB6_10588 Depth=4
	s_or_b64 exec, exec, s[28:29]
.LBB6_12328:                            ;   in Loop: Header=BB6_10588 Depth=4
	s_or_b64 exec, exec, s[38:39]
                                        ; implicit-def: $vgpr7
.LBB6_12329:                            ;   in Loop: Header=BB6_10588 Depth=4
	s_andn2_saveexec_b64 s[28:29], s[36:37]
; %bb.12330:                            ;   in Loop: Header=BB6_10588 Depth=4
	v_or_b32_e32 v28, 0x7b, v7
; %bb.12331:                            ;   in Loop: Header=BB6_10588 Depth=4
	s_or_b64 exec, exec, s[28:29]
                                        ; implicit-def: $vgpr0
.LBB6_12332:                            ;   in Loop: Header=BB6_10588 Depth=4
	s_andn2_saveexec_b64 s[28:29], s[34:35]
	s_cbranch_execz .LBB6_12338
; %bb.12333:                            ;   in Loop: Header=BB6_10588 Depth=4
	v_cmp_ne_u64_e32 vcc, 0, v[32:33]
                                        ; implicit-def: $vgpr28
	s_and_saveexec_b64 s[62:63], vcc
	s_xor_b64 vcc, exec, s[62:63]
; %bb.12334:                            ;   in Loop: Header=BB6_10588 Depth=4
	v_or_b32_sdwa v28, v0, s44 dst_sel:DWORD dst_unused:UNUSED_PAD src0_sel:BYTE_3 src1_sel:DWORD
                                        ; implicit-def: $vgpr0
; %bb.12335:                            ;   in Loop: Header=BB6_10588 Depth=4
	s_andn2_saveexec_b64 s[34:35], vcc
; %bb.12336:                            ;   in Loop: Header=BB6_10588 Depth=4
	v_cmp_lt_i32_e32 vcc, -1, v0
	v_mov_b32_e32 v0, 0x7c
	v_cndmask_b32_e32 v28, -4, v0, vcc
; %bb.12337:                            ;   in Loop: Header=BB6_10588 Depth=4
	s_or_b64 exec, exec, s[34:35]
.LBB6_12338:                            ;   in Loop: Header=BB6_10588 Depth=4
	s_or_b64 exec, exec, s[28:29]
	buffer_load_dword v0, off, s[0:3], s33 offset:180 ; 4-byte Folded Reload
	buffer_load_dword v1, off, s[0:3], s33 offset:184 ; 4-byte Folded Reload
	s_waitcnt vmcnt(0)
	v_mov_b32_e32 v1, 0
	v_and_b32_e32 v7, 0xff, v0
	v_cmp_ne_u16_e32 vcc, 0, v7
	v_mov_b32_e32 v0, 0
	s_and_saveexec_b64 s[28:29], vcc
	s_cbranch_execz .LBB6_12346
; %bb.12339:                            ;   in Loop: Header=BB6_10588 Depth=4
	v_cmp_ne_u16_e32 vcc, s97, v7
	v_bfrev_b32_e32 v1, 1
	s_and_saveexec_b64 s[34:35], vcc
	s_cbranch_execz .LBB6_12345
; %bb.12340:                            ;   in Loop: Header=BB6_10588 Depth=4
	buffer_load_dword v1, off, s[0:3], s33 offset:180 ; 4-byte Folded Reload
	buffer_load_dword v2, off, s[0:3], s33 offset:184 ; 4-byte Folded Reload
	s_waitcnt vmcnt(0)
	v_and_b32_e32 v2, 3, v1
	v_and_b32_e32 v1, 0x7c, v1
	v_cmp_ne_u32_e32 vcc, s86, v1
                                        ; implicit-def: $vgpr1
	s_and_saveexec_b64 s[62:63], vcc
	s_xor_b64 s[36:37], exec, s[62:63]
	s_cbranch_execz .LBB6_12342
; %bb.12341:                            ;   in Loop: Header=BB6_10588 Depth=4
	buffer_load_dword v40, off, s[0:3], s33 offset:180 ; 4-byte Folded Reload
	buffer_load_dword v41, off, s[0:3], s33 offset:184 ; 4-byte Folded Reload
	v_bfe_u32 v1, v7, 2, 5
	v_ffbh_u32_e32 v7, v2
	v_min_u32_e32 v7, 32, v7
	s_waitcnt vmcnt(0)
	v_mov_b32_e32 v41, v33
	v_subrev_u32_e32 v16, 29, v7
	v_sub_u32_e32 v7, 30, v7
	v_cmp_eq_u32_e32 vcc, 0, v1
	v_cndmask_b32_e32 v1, v1, v7, vcc
	v_lshlrev_b32_e32 v7, 24, v40
	v_lshlrev_b64 v[50:51], v16, v[40:41]
	v_and_b32_e32 v7, 0x80000000, v7
	v_and_b32_e32 v16, 3, v50
	v_cndmask_b32_e32 v2, v2, v16, vcc
	v_lshl_add_u32 v1, v1, 23, v7
	v_lshl_or_b32 v1, v2, 21, v1
	v_add_u32_e32 v1, 0x38000000, v1
                                        ; implicit-def: $vgpr7
                                        ; implicit-def: $vgpr2
	buffer_store_dword v7, off, s[0:3], s33 offset:180 ; 4-byte Folded Spill
	s_nop 0
	buffer_store_dword v8, off, s[0:3], s33 offset:184 ; 4-byte Folded Spill
.LBB6_12342:                            ;   in Loop: Header=BB6_10588 Depth=4
	s_andn2_saveexec_b64 s[36:37], s[36:37]
	s_cbranch_execz .LBB6_12344
; %bb.12343:                            ;   in Loop: Header=BB6_10588 Depth=4
	buffer_load_dword v50, off, s[0:3], s33 offset:180 ; 4-byte Folded Reload
	buffer_load_dword v51, off, s[0:3], s33 offset:184 ; 4-byte Folded Reload
	v_mov_b32_e32 v1, -1
	v_mov_b32_e32 v7, 0x7f800000
	s_waitcnt vmcnt(1)
	v_cmp_gt_i16_sdwa vcc, sext(v50), v1 src0_sel:BYTE_0 src1_sel:DWORD
	v_mov_b32_e32 v1, 0xff800000
	v_cndmask_b32_e32 v1, v1, v7, vcc
	v_cmp_eq_u32_e32 vcc, 0, v2
	v_mov_b32_e32 v2, 0x7f800001
	v_cndmask_b32_e32 v1, v2, v1, vcc
.LBB6_12344:                            ;   in Loop: Header=BB6_10588 Depth=4
	s_or_b64 exec, exec, s[36:37]
.LBB6_12345:                            ;   in Loop: Header=BB6_10588 Depth=4
	s_or_b64 exec, exec, s[34:35]
.LBB6_12346:                            ;   in Loop: Header=BB6_10588 Depth=4
	s_or_b64 exec, exec, s[28:29]
	v_cmp_ne_u16_e32 vcc, 0, v21
	s_and_saveexec_b64 s[28:29], vcc
	s_cbranch_execz .LBB6_12354
; %bb.12347:                            ;   in Loop: Header=BB6_10588 Depth=4
	v_cmp_ne_u16_e32 vcc, s46, v21
	v_bfrev_b32_e32 v0, 1
	s_and_saveexec_b64 s[34:35], vcc
	s_cbranch_execz .LBB6_12353
; %bb.12348:                            ;   in Loop: Header=BB6_10588 Depth=4
	v_and_b32_e32 v0, 0x7c, v21
	v_and_b32_e32 v2, 3, v21
	v_cmp_ne_u32_e32 vcc, s86, v0
                                        ; implicit-def: $vgpr0
	s_and_saveexec_b64 s[62:63], vcc
	s_xor_b64 s[36:37], exec, s[62:63]
	s_cbranch_execz .LBB6_12350
; %bb.12349:                            ;   in Loop: Header=BB6_10588 Depth=4
	v_ffbh_u32_e32 v7, v2
	v_min_u32_e32 v7, 32, v7
	v_and_b32_e32 v0, 0xff, v21
	v_mov_b32_e32 v22, v33
	v_subrev_u32_e32 v16, 29, v7
	v_bfe_u32 v0, v0, 2, 5
	s_waitcnt vmcnt(0)
	v_lshlrev_b64 v[50:51], v16, v[21:22]
	v_sub_u32_e32 v7, 30, v7
	v_cmp_eq_u32_e32 vcc, 0, v0
	v_and_b32_e32 v16, 3, v50
	v_cndmask_b32_e32 v0, v0, v7, vcc
	v_and_b32_sdwa v7, sext(v21), s87 dst_sel:DWORD dst_unused:UNUSED_PAD src0_sel:WORD_0 src1_sel:DWORD
	v_cndmask_b32_e32 v2, v2, v16, vcc
	v_lshl_add_u32 v0, v0, 23, v7
	v_lshl_or_b32 v0, v2, 21, v0
	v_add_u32_e32 v0, 0x38000000, v0
                                        ; implicit-def: $vgpr2
                                        ; implicit-def: $vgpr21
.LBB6_12350:                            ;   in Loop: Header=BB6_10588 Depth=4
	s_andn2_saveexec_b64 s[36:37], s[36:37]
; %bb.12351:                            ;   in Loop: Header=BB6_10588 Depth=4
	v_cmp_lt_i16_e32 vcc, -1, v21
	v_mov_b32_e32 v0, 0xff800000
	v_mov_b32_e32 v7, 0x7f800000
	v_cndmask_b32_e32 v0, v0, v7, vcc
	v_cmp_eq_u32_e32 vcc, 0, v2
	v_mov_b32_e32 v2, 0x7f800001
	v_cndmask_b32_e32 v0, v2, v0, vcc
; %bb.12352:                            ;   in Loop: Header=BB6_10588 Depth=4
	s_or_b64 exec, exec, s[36:37]
.LBB6_12353:                            ;   in Loop: Header=BB6_10588 Depth=4
	s_or_b64 exec, exec, s[34:35]
.LBB6_12354:                            ;   in Loop: Header=BB6_10588 Depth=4
	s_or_b64 exec, exec, s[28:29]
	v_add_f32_e32 v0, v1, v0
	v_and_b32_e32 v1, 0x7f800000, v0
	v_mov_b32_e32 v2, v33
	v_cmp_ne_u64_e32 vcc, s[76:77], v[1:2]
	v_and_b32_e32 v32, 0x7fffff, v0
                                        ; implicit-def: $vgpr22
	s_and_saveexec_b64 s[28:29], vcc
	s_xor_b64 s[34:35], exec, s[28:29]
	s_cbranch_execz .LBB6_12372
; %bb.12355:                            ;   in Loop: Header=BB6_10588 Depth=4
	v_and_b32_e32 v1, 0x7fffffff, v0
	v_mov_b32_e32 v2, v33
	v_cmp_gt_u64_e32 vcc, s[78:79], v[1:2]
	v_and_b32_sdwa v7, v0, s97 dst_sel:DWORD dst_unused:UNUSED_PAD src0_sel:BYTE_3 src1_sel:DWORD
                                        ; implicit-def: $vgpr22
	s_and_saveexec_b64 s[28:29], vcc
	s_xor_b64 s[36:37], exec, s[28:29]
	s_cbranch_execz .LBB6_12369
; %bb.12356:                            ;   in Loop: Header=BB6_10588 Depth=4
	v_cmp_ne_u32_e32 vcc, 0, v0
	v_mov_b32_e32 v22, 0
	s_and_saveexec_b64 s[38:39], vcc
	s_cbranch_execz .LBB6_12368
; %bb.12357:                            ;   in Loop: Header=BB6_10588 Depth=4
	v_bfe_u32 v16, v0, 23, 8
	v_cmp_gt_u32_e64 s[28:29], s47, v16
	v_sub_u32_e32 v0, 0x71, v16
	v_cmp_eq_u32_e32 vcc, 0, v16
	v_cndmask_b32_e64 v0, 0, v0, s[28:29]
	v_mov_b32_e32 v2, 0x70
	v_cndmask_b32_e32 v21, v0, v2, vcc
	v_add_u32_e32 v2, 21, v21
	v_or_b32_e32 v1, 0x800000, v32
	s_waitcnt vmcnt(0)
	v_lshlrev_b64 v[50:51], v2, -1
	v_cndmask_b32_e32 v0, v1, v32, vcc
	v_mov_b32_e32 v1, v33
	v_add_u32_e32 v2, 20, v21
	v_bfi_b32 v50, v50, 0, v0
	v_lshlrev_b64 v[53:54], v2, 1
	v_lshrrev_b64 v[0:1], v21, v[0:1]
	v_bfi_b32 v51, v51, 0, 0
	v_cmp_eq_u64_e64 s[28:29], v[50:51], v[53:54]
	v_mov_b32_e32 v2, v1
	v_mov_b32_e32 v1, v0
	s_and_saveexec_b64 s[48:49], s[28:29]
; %bb.12358:                            ;   in Loop: Header=BB6_10588 Depth=4
	v_bfe_u32 v1, v0, 21, 1
	v_add_co_u32_e64 v1, s[28:29], v0, v1
	v_add_co_u32_e64 v1, s[28:29], -1, v1
; %bb.12359:                            ;   in Loop: Header=BB6_10588 Depth=4
	s_or_b64 exec, exec, s[48:49]
	v_add_u32_e32 v2, 0xffffff81, v16
	v_mov_b32_e32 v16, 0xffffff82
	v_cndmask_b32_e32 v2, v2, v16, vcc
	v_lshrrev_b32_e32 v16, 23, v0
	v_add3_u32 v21, v21, v2, v16
	v_add_u32_e32 v16, 14, v21
	v_and_b32_e32 v1, 0x1fffff, v1
	v_add_u32_e32 v32, v1, v0
	v_cmp_ne_u32_e32 vcc, 0, v16
                                        ; implicit-def: $vgpr0_vgpr1
                                        ; implicit-def: $vgpr2
	s_and_saveexec_b64 s[28:29], vcc
	s_xor_b64 s[28:29], exec, s[28:29]
; %bb.12360:                            ;   in Loop: Header=BB6_10588 Depth=4
	v_cmp_lt_u64_e32 vcc, s[88:89], v[32:33]
	v_add_u32_e32 v0, 15, v21
	v_cndmask_b32_e32 v2, v16, v0, vcc
	v_cndmask_b32_e64 v0, 0, 1, vcc
	v_lshrrev_b64 v[0:1], v0, v[32:33]
; %bb.12361:                            ;   in Loop: Header=BB6_10588 Depth=4
	s_or_saveexec_b64 s[28:29], s[28:29]
	buffer_load_dword v54, off, s[0:3], s33 offset:268 ; 4-byte Folded Reload
	buffer_load_dword v55, off, s[0:3], s33 offset:272 ; 4-byte Folded Reload
	s_xor_b64 exec, exec, s[28:29]
; %bb.12362:                            ;   in Loop: Header=BB6_10588 Depth=4
	v_mov_b32_e32 v0, v32
	v_mov_b32_e32 v1, v33
	v_bfe_u32 v2, v32, 23, 1
; %bb.12363:                            ;   in Loop: Header=BB6_10588 Depth=4
	s_or_b64 exec, exec, s[28:29]
	v_lshrrev_b64 v[0:1], 21, v[0:1]
	v_cmp_gt_i32_e32 vcc, 32, v2
	v_cndmask_b32_e32 v1, 0, v1, vcc
	v_cndmask_b32_e32 v0, 3, v0, vcc
	v_cmp_ne_u64_e32 vcc, 0, v[0:1]
	v_cmp_ne_u32_e64 s[28:29], 0, v2
	s_or_b64 s[28:29], s[28:29], vcc
                                        ; implicit-def: $vgpr22
	s_and_saveexec_b64 s[62:63], s[28:29]
	s_xor_b64 s[28:29], exec, s[62:63]
; %bb.12364:                            ;   in Loop: Header=BB6_10588 Depth=4
	v_min_i32_e32 v1, 31, v2
	v_lshl_or_b32 v1, v1, 2, v7
	v_and_or_b32 v22, v0, 3, v1
                                        ; implicit-def: $vgpr7
; %bb.12365:                            ;   in Loop: Header=BB6_10588 Depth=4
	s_andn2_saveexec_b64 s[28:29], s[28:29]
; %bb.12366:                            ;   in Loop: Header=BB6_10588 Depth=4
	v_mov_b32_e32 v22, v7
; %bb.12367:                            ;   in Loop: Header=BB6_10588 Depth=4
	s_or_b64 exec, exec, s[28:29]
.LBB6_12368:                            ;   in Loop: Header=BB6_10588 Depth=4
	s_or_b64 exec, exec, s[38:39]
                                        ; implicit-def: $vgpr7
.LBB6_12369:                            ;   in Loop: Header=BB6_10588 Depth=4
	s_andn2_saveexec_b64 s[28:29], s[36:37]
; %bb.12370:                            ;   in Loop: Header=BB6_10588 Depth=4
	v_or_b32_e32 v22, 0x7b, v7
; %bb.12371:                            ;   in Loop: Header=BB6_10588 Depth=4
	s_or_b64 exec, exec, s[28:29]
                                        ; implicit-def: $vgpr0
.LBB6_12372:                            ;   in Loop: Header=BB6_10588 Depth=4
	s_andn2_saveexec_b64 s[28:29], s[34:35]
	s_cbranch_execz .LBB6_12378
; %bb.12373:                            ;   in Loop: Header=BB6_10588 Depth=4
	v_cmp_ne_u64_e32 vcc, 0, v[32:33]
                                        ; implicit-def: $vgpr22
	s_and_saveexec_b64 s[62:63], vcc
	s_xor_b64 vcc, exec, s[62:63]
; %bb.12374:                            ;   in Loop: Header=BB6_10588 Depth=4
	v_or_b32_sdwa v22, v0, s44 dst_sel:DWORD dst_unused:UNUSED_PAD src0_sel:BYTE_3 src1_sel:DWORD
                                        ; implicit-def: $vgpr0
; %bb.12375:                            ;   in Loop: Header=BB6_10588 Depth=4
	s_andn2_saveexec_b64 s[34:35], vcc
; %bb.12376:                            ;   in Loop: Header=BB6_10588 Depth=4
	v_cmp_lt_i32_e32 vcc, -1, v0
	v_mov_b32_e32 v0, 0x7c
	v_cndmask_b32_e32 v22, -4, v0, vcc
; %bb.12377:                            ;   in Loop: Header=BB6_10588 Depth=4
	s_or_b64 exec, exec, s[34:35]
.LBB6_12378:                            ;   in Loop: Header=BB6_10588 Depth=4
	s_or_b64 exec, exec, s[28:29]
	buffer_load_dword v0, off, s[0:3], s33 offset:172 ; 4-byte Folded Reload
	buffer_load_dword v1, off, s[0:3], s33 offset:176 ; 4-byte Folded Reload
	s_waitcnt vmcnt(0)
	v_mov_b32_e32 v1, 0
	v_and_b32_e32 v7, 0xff, v0
	v_cmp_ne_u16_e32 vcc, 0, v7
	v_mov_b32_e32 v0, 0
	s_and_saveexec_b64 s[28:29], vcc
	s_cbranch_execz .LBB6_12386
; %bb.12379:                            ;   in Loop: Header=BB6_10588 Depth=4
	v_cmp_ne_u16_e32 vcc, s97, v7
	v_bfrev_b32_e32 v1, 1
	s_and_saveexec_b64 s[34:35], vcc
	s_cbranch_execz .LBB6_12385
; %bb.12380:                            ;   in Loop: Header=BB6_10588 Depth=4
	buffer_load_dword v1, off, s[0:3], s33 offset:172 ; 4-byte Folded Reload
	buffer_load_dword v2, off, s[0:3], s33 offset:176 ; 4-byte Folded Reload
	s_waitcnt vmcnt(0)
	v_and_b32_e32 v2, 3, v1
	v_and_b32_e32 v1, 0x7c, v1
	v_cmp_ne_u32_e32 vcc, s86, v1
                                        ; implicit-def: $vgpr1
	s_and_saveexec_b64 s[62:63], vcc
	s_xor_b64 s[36:37], exec, s[62:63]
	s_cbranch_execz .LBB6_12382
; %bb.12381:                            ;   in Loop: Header=BB6_10588 Depth=4
	buffer_load_dword v40, off, s[0:3], s33 offset:172 ; 4-byte Folded Reload
	buffer_load_dword v41, off, s[0:3], s33 offset:176 ; 4-byte Folded Reload
	v_bfe_u32 v1, v7, 2, 5
	v_ffbh_u32_e32 v7, v2
	v_min_u32_e32 v7, 32, v7
	s_waitcnt vmcnt(0)
	v_mov_b32_e32 v41, v33
	v_subrev_u32_e32 v16, 29, v7
	v_sub_u32_e32 v7, 30, v7
	v_cmp_eq_u32_e32 vcc, 0, v1
	v_cndmask_b32_e32 v1, v1, v7, vcc
	v_lshlrev_b32_e32 v7, 24, v40
	v_lshlrev_b64 v[50:51], v16, v[40:41]
	v_and_b32_e32 v7, 0x80000000, v7
	v_and_b32_e32 v16, 3, v50
	v_cndmask_b32_e32 v2, v2, v16, vcc
	v_lshl_add_u32 v1, v1, 23, v7
	v_lshl_or_b32 v1, v2, 21, v1
	v_add_u32_e32 v1, 0x38000000, v1
                                        ; implicit-def: $vgpr7
                                        ; implicit-def: $vgpr2
	buffer_store_dword v7, off, s[0:3], s33 offset:172 ; 4-byte Folded Spill
	s_nop 0
	buffer_store_dword v8, off, s[0:3], s33 offset:176 ; 4-byte Folded Spill
.LBB6_12382:                            ;   in Loop: Header=BB6_10588 Depth=4
	s_andn2_saveexec_b64 s[36:37], s[36:37]
	s_cbranch_execz .LBB6_12384
; %bb.12383:                            ;   in Loop: Header=BB6_10588 Depth=4
	buffer_load_dword v50, off, s[0:3], s33 offset:172 ; 4-byte Folded Reload
	buffer_load_dword v51, off, s[0:3], s33 offset:176 ; 4-byte Folded Reload
	v_mov_b32_e32 v1, -1
	v_mov_b32_e32 v7, 0x7f800000
	s_waitcnt vmcnt(1)
	v_cmp_gt_i16_sdwa vcc, sext(v50), v1 src0_sel:BYTE_0 src1_sel:DWORD
	v_mov_b32_e32 v1, 0xff800000
	v_cndmask_b32_e32 v1, v1, v7, vcc
	v_cmp_eq_u32_e32 vcc, 0, v2
	v_mov_b32_e32 v2, 0x7f800001
	v_cndmask_b32_e32 v1, v2, v1, vcc
.LBB6_12384:                            ;   in Loop: Header=BB6_10588 Depth=4
	s_or_b64 exec, exec, s[36:37]
.LBB6_12385:                            ;   in Loop: Header=BB6_10588 Depth=4
	s_or_b64 exec, exec, s[34:35]
.LBB6_12386:                            ;   in Loop: Header=BB6_10588 Depth=4
	s_or_b64 exec, exec, s[28:29]
	v_cmp_ne_u16_e32 vcc, 0, v20
	s_and_saveexec_b64 s[28:29], vcc
	s_cbranch_execz .LBB6_12394
; %bb.12387:                            ;   in Loop: Header=BB6_10588 Depth=4
	v_cmp_ne_u16_e32 vcc, s46, v20
	v_bfrev_b32_e32 v0, 1
	s_and_saveexec_b64 s[34:35], vcc
	s_cbranch_execz .LBB6_12393
; %bb.12388:                            ;   in Loop: Header=BB6_10588 Depth=4
	v_and_b32_e32 v0, 0x7c, v20
	v_and_b32_e32 v2, 3, v20
	v_cmp_ne_u32_e32 vcc, s86, v0
                                        ; implicit-def: $vgpr0
	s_and_saveexec_b64 s[62:63], vcc
	s_xor_b64 s[36:37], exec, s[62:63]
	s_cbranch_execz .LBB6_12390
; %bb.12389:                            ;   in Loop: Header=BB6_10588 Depth=4
	v_ffbh_u32_e32 v7, v2
	v_min_u32_e32 v7, 32, v7
	v_and_b32_e32 v0, 0xff, v20
	v_mov_b32_e32 v21, v33
	v_subrev_u32_e32 v16, 29, v7
	v_bfe_u32 v0, v0, 2, 5
	s_waitcnt vmcnt(0)
	v_lshlrev_b64 v[50:51], v16, v[20:21]
	v_sub_u32_e32 v7, 30, v7
	v_cmp_eq_u32_e32 vcc, 0, v0
	v_and_b32_e32 v16, 3, v50
	v_cndmask_b32_e32 v0, v0, v7, vcc
	v_and_b32_sdwa v7, sext(v20), s87 dst_sel:DWORD dst_unused:UNUSED_PAD src0_sel:WORD_0 src1_sel:DWORD
	v_cndmask_b32_e32 v2, v2, v16, vcc
	v_lshl_add_u32 v0, v0, 23, v7
	v_lshl_or_b32 v0, v2, 21, v0
	v_add_u32_e32 v0, 0x38000000, v0
                                        ; implicit-def: $vgpr2
                                        ; implicit-def: $vgpr20
.LBB6_12390:                            ;   in Loop: Header=BB6_10588 Depth=4
	s_andn2_saveexec_b64 s[36:37], s[36:37]
; %bb.12391:                            ;   in Loop: Header=BB6_10588 Depth=4
	v_cmp_lt_i16_e32 vcc, -1, v20
	v_mov_b32_e32 v0, 0xff800000
	v_mov_b32_e32 v7, 0x7f800000
	v_cndmask_b32_e32 v0, v0, v7, vcc
	v_cmp_eq_u32_e32 vcc, 0, v2
	v_mov_b32_e32 v2, 0x7f800001
	v_cndmask_b32_e32 v0, v2, v0, vcc
; %bb.12392:                            ;   in Loop: Header=BB6_10588 Depth=4
	s_or_b64 exec, exec, s[36:37]
.LBB6_12393:                            ;   in Loop: Header=BB6_10588 Depth=4
	s_or_b64 exec, exec, s[34:35]
.LBB6_12394:                            ;   in Loop: Header=BB6_10588 Depth=4
	s_or_b64 exec, exec, s[28:29]
	v_add_f32_e32 v0, v1, v0
	v_and_b32_e32 v1, 0x7f800000, v0
	v_mov_b32_e32 v2, v33
	v_cmp_ne_u64_e32 vcc, s[76:77], v[1:2]
	v_and_b32_e32 v32, 0x7fffff, v0
                                        ; implicit-def: $vgpr21
	s_and_saveexec_b64 s[28:29], vcc
	s_xor_b64 s[34:35], exec, s[28:29]
	s_cbranch_execz .LBB6_12412
; %bb.12395:                            ;   in Loop: Header=BB6_10588 Depth=4
	v_and_b32_e32 v1, 0x7fffffff, v0
	v_mov_b32_e32 v2, v33
	v_cmp_gt_u64_e32 vcc, s[78:79], v[1:2]
	v_and_b32_sdwa v7, v0, s97 dst_sel:DWORD dst_unused:UNUSED_PAD src0_sel:BYTE_3 src1_sel:DWORD
                                        ; implicit-def: $vgpr21
	s_and_saveexec_b64 s[28:29], vcc
	s_xor_b64 s[36:37], exec, s[28:29]
	s_cbranch_execz .LBB6_12409
; %bb.12396:                            ;   in Loop: Header=BB6_10588 Depth=4
	v_cmp_ne_u32_e32 vcc, 0, v0
	v_mov_b32_e32 v21, 0
	s_and_saveexec_b64 s[38:39], vcc
	s_cbranch_execz .LBB6_12408
; %bb.12397:                            ;   in Loop: Header=BB6_10588 Depth=4
	v_bfe_u32 v16, v0, 23, 8
	v_cmp_gt_u32_e64 s[28:29], s47, v16
	v_sub_u32_e32 v0, 0x71, v16
	v_cmp_eq_u32_e32 vcc, 0, v16
	v_cndmask_b32_e64 v0, 0, v0, s[28:29]
	v_mov_b32_e32 v2, 0x70
	v_cndmask_b32_e32 v20, v0, v2, vcc
	v_add_u32_e32 v2, 21, v20
	v_or_b32_e32 v1, 0x800000, v32
	s_waitcnt vmcnt(0)
	v_lshlrev_b64 v[50:51], v2, -1
	v_cndmask_b32_e32 v0, v1, v32, vcc
	v_mov_b32_e32 v1, v33
	v_add_u32_e32 v2, 20, v20
	v_bfi_b32 v50, v50, 0, v0
	v_lshlrev_b64 v[53:54], v2, 1
	v_lshrrev_b64 v[0:1], v20, v[0:1]
	v_bfi_b32 v51, v51, 0, 0
	v_cmp_eq_u64_e64 s[28:29], v[50:51], v[53:54]
	v_mov_b32_e32 v2, v1
	v_mov_b32_e32 v1, v0
	s_and_saveexec_b64 s[48:49], s[28:29]
; %bb.12398:                            ;   in Loop: Header=BB6_10588 Depth=4
	v_bfe_u32 v1, v0, 21, 1
	v_add_co_u32_e64 v1, s[28:29], v0, v1
	v_add_co_u32_e64 v1, s[28:29], -1, v1
; %bb.12399:                            ;   in Loop: Header=BB6_10588 Depth=4
	s_or_b64 exec, exec, s[48:49]
	v_add_u32_e32 v2, 0xffffff81, v16
	v_mov_b32_e32 v16, 0xffffff82
	v_cndmask_b32_e32 v2, v2, v16, vcc
	v_lshrrev_b32_e32 v16, 23, v0
	v_add3_u32 v20, v20, v2, v16
	v_add_u32_e32 v16, 14, v20
	v_and_b32_e32 v1, 0x1fffff, v1
	v_add_u32_e32 v32, v1, v0
	v_cmp_ne_u32_e32 vcc, 0, v16
                                        ; implicit-def: $vgpr0_vgpr1
                                        ; implicit-def: $vgpr2
	s_and_saveexec_b64 s[28:29], vcc
	s_xor_b64 s[28:29], exec, s[28:29]
; %bb.12400:                            ;   in Loop: Header=BB6_10588 Depth=4
	v_cmp_lt_u64_e32 vcc, s[88:89], v[32:33]
	v_add_u32_e32 v0, 15, v20
	v_cndmask_b32_e32 v2, v16, v0, vcc
	v_cndmask_b32_e64 v0, 0, 1, vcc
	v_lshrrev_b64 v[0:1], v0, v[32:33]
; %bb.12401:                            ;   in Loop: Header=BB6_10588 Depth=4
	s_or_saveexec_b64 s[28:29], s[28:29]
	buffer_load_dword v54, off, s[0:3], s33 offset:268 ; 4-byte Folded Reload
	buffer_load_dword v55, off, s[0:3], s33 offset:272 ; 4-byte Folded Reload
	s_xor_b64 exec, exec, s[28:29]
; %bb.12402:                            ;   in Loop: Header=BB6_10588 Depth=4
	v_mov_b32_e32 v0, v32
	v_mov_b32_e32 v1, v33
	v_bfe_u32 v2, v32, 23, 1
; %bb.12403:                            ;   in Loop: Header=BB6_10588 Depth=4
	s_or_b64 exec, exec, s[28:29]
	v_lshrrev_b64 v[0:1], 21, v[0:1]
	v_cmp_gt_i32_e32 vcc, 32, v2
	v_cndmask_b32_e32 v1, 0, v1, vcc
	v_cndmask_b32_e32 v0, 3, v0, vcc
	v_cmp_ne_u64_e32 vcc, 0, v[0:1]
	v_cmp_ne_u32_e64 s[28:29], 0, v2
	s_or_b64 s[28:29], s[28:29], vcc
                                        ; implicit-def: $vgpr21
	s_and_saveexec_b64 s[62:63], s[28:29]
	s_xor_b64 s[28:29], exec, s[62:63]
; %bb.12404:                            ;   in Loop: Header=BB6_10588 Depth=4
	v_min_i32_e32 v1, 31, v2
	v_lshl_or_b32 v1, v1, 2, v7
	v_and_or_b32 v21, v0, 3, v1
                                        ; implicit-def: $vgpr7
; %bb.12405:                            ;   in Loop: Header=BB6_10588 Depth=4
	s_andn2_saveexec_b64 s[28:29], s[28:29]
; %bb.12406:                            ;   in Loop: Header=BB6_10588 Depth=4
	v_mov_b32_e32 v21, v7
; %bb.12407:                            ;   in Loop: Header=BB6_10588 Depth=4
	s_or_b64 exec, exec, s[28:29]
.LBB6_12408:                            ;   in Loop: Header=BB6_10588 Depth=4
	s_or_b64 exec, exec, s[38:39]
                                        ; implicit-def: $vgpr7
.LBB6_12409:                            ;   in Loop: Header=BB6_10588 Depth=4
	s_andn2_saveexec_b64 s[28:29], s[36:37]
; %bb.12410:                            ;   in Loop: Header=BB6_10588 Depth=4
	v_or_b32_e32 v21, 0x7b, v7
; %bb.12411:                            ;   in Loop: Header=BB6_10588 Depth=4
	s_or_b64 exec, exec, s[28:29]
                                        ; implicit-def: $vgpr0
.LBB6_12412:                            ;   in Loop: Header=BB6_10588 Depth=4
	s_andn2_saveexec_b64 s[28:29], s[34:35]
	s_cbranch_execz .LBB6_12418
; %bb.12413:                            ;   in Loop: Header=BB6_10588 Depth=4
	v_cmp_ne_u64_e32 vcc, 0, v[32:33]
                                        ; implicit-def: $vgpr21
	s_and_saveexec_b64 s[62:63], vcc
	s_xor_b64 vcc, exec, s[62:63]
; %bb.12414:                            ;   in Loop: Header=BB6_10588 Depth=4
	v_or_b32_sdwa v21, v0, s44 dst_sel:DWORD dst_unused:UNUSED_PAD src0_sel:BYTE_3 src1_sel:DWORD
                                        ; implicit-def: $vgpr0
; %bb.12415:                            ;   in Loop: Header=BB6_10588 Depth=4
	s_andn2_saveexec_b64 s[34:35], vcc
; %bb.12416:                            ;   in Loop: Header=BB6_10588 Depth=4
	v_cmp_lt_i32_e32 vcc, -1, v0
	v_mov_b32_e32 v0, 0x7c
	v_cndmask_b32_e32 v21, -4, v0, vcc
; %bb.12417:                            ;   in Loop: Header=BB6_10588 Depth=4
	s_or_b64 exec, exec, s[34:35]
.LBB6_12418:                            ;   in Loop: Header=BB6_10588 Depth=4
	s_or_b64 exec, exec, s[28:29]
	buffer_load_dword v0, off, s[0:3], s33 offset:164 ; 4-byte Folded Reload
	buffer_load_dword v1, off, s[0:3], s33 offset:168 ; 4-byte Folded Reload
	s_waitcnt vmcnt(0)
	v_mov_b32_e32 v1, 0
	v_and_b32_e32 v7, 0xff, v0
	v_cmp_ne_u16_e32 vcc, 0, v7
	v_mov_b32_e32 v0, 0
	s_and_saveexec_b64 s[28:29], vcc
	s_cbranch_execz .LBB6_12426
; %bb.12419:                            ;   in Loop: Header=BB6_10588 Depth=4
	v_cmp_ne_u16_e32 vcc, s97, v7
	v_bfrev_b32_e32 v1, 1
	s_and_saveexec_b64 s[34:35], vcc
	s_cbranch_execz .LBB6_12425
; %bb.12420:                            ;   in Loop: Header=BB6_10588 Depth=4
	buffer_load_dword v1, off, s[0:3], s33 offset:164 ; 4-byte Folded Reload
	buffer_load_dword v2, off, s[0:3], s33 offset:168 ; 4-byte Folded Reload
	s_waitcnt vmcnt(0)
	v_and_b32_e32 v2, 3, v1
	v_and_b32_e32 v1, 0x7c, v1
	v_cmp_ne_u32_e32 vcc, s86, v1
                                        ; implicit-def: $vgpr1
	s_and_saveexec_b64 s[62:63], vcc
	s_xor_b64 s[36:37], exec, s[62:63]
	s_cbranch_execz .LBB6_12422
; %bb.12421:                            ;   in Loop: Header=BB6_10588 Depth=4
	buffer_load_dword v40, off, s[0:3], s33 offset:164 ; 4-byte Folded Reload
	buffer_load_dword v41, off, s[0:3], s33 offset:168 ; 4-byte Folded Reload
	v_bfe_u32 v1, v7, 2, 5
	v_ffbh_u32_e32 v7, v2
	v_min_u32_e32 v7, 32, v7
	s_waitcnt vmcnt(0)
	v_mov_b32_e32 v41, v33
	v_subrev_u32_e32 v16, 29, v7
	v_sub_u32_e32 v7, 30, v7
	v_cmp_eq_u32_e32 vcc, 0, v1
	v_cndmask_b32_e32 v1, v1, v7, vcc
	v_lshlrev_b32_e32 v7, 24, v40
	v_lshlrev_b64 v[50:51], v16, v[40:41]
	v_and_b32_e32 v7, 0x80000000, v7
	v_and_b32_e32 v16, 3, v50
	v_cndmask_b32_e32 v2, v2, v16, vcc
	v_lshl_add_u32 v1, v1, 23, v7
	v_lshl_or_b32 v1, v2, 21, v1
	v_add_u32_e32 v1, 0x38000000, v1
                                        ; implicit-def: $vgpr7
                                        ; implicit-def: $vgpr2
	buffer_store_dword v7, off, s[0:3], s33 offset:164 ; 4-byte Folded Spill
	s_nop 0
	buffer_store_dword v8, off, s[0:3], s33 offset:168 ; 4-byte Folded Spill
.LBB6_12422:                            ;   in Loop: Header=BB6_10588 Depth=4
	s_andn2_saveexec_b64 s[36:37], s[36:37]
	s_cbranch_execz .LBB6_12424
; %bb.12423:                            ;   in Loop: Header=BB6_10588 Depth=4
	buffer_load_dword v50, off, s[0:3], s33 offset:164 ; 4-byte Folded Reload
	buffer_load_dword v51, off, s[0:3], s33 offset:168 ; 4-byte Folded Reload
	v_mov_b32_e32 v1, -1
	v_mov_b32_e32 v7, 0x7f800000
	s_waitcnt vmcnt(1)
	v_cmp_gt_i16_sdwa vcc, sext(v50), v1 src0_sel:BYTE_0 src1_sel:DWORD
	v_mov_b32_e32 v1, 0xff800000
	v_cndmask_b32_e32 v1, v1, v7, vcc
	v_cmp_eq_u32_e32 vcc, 0, v2
	v_mov_b32_e32 v2, 0x7f800001
	v_cndmask_b32_e32 v1, v2, v1, vcc
.LBB6_12424:                            ;   in Loop: Header=BB6_10588 Depth=4
	s_or_b64 exec, exec, s[36:37]
.LBB6_12425:                            ;   in Loop: Header=BB6_10588 Depth=4
	s_or_b64 exec, exec, s[34:35]
.LBB6_12426:                            ;   in Loop: Header=BB6_10588 Depth=4
	s_or_b64 exec, exec, s[28:29]
	v_cmp_ne_u16_e32 vcc, 0, v19
	s_and_saveexec_b64 s[28:29], vcc
	s_cbranch_execz .LBB6_12434
; %bb.12427:                            ;   in Loop: Header=BB6_10588 Depth=4
	v_cmp_ne_u16_e32 vcc, s46, v19
	v_bfrev_b32_e32 v0, 1
	s_and_saveexec_b64 s[34:35], vcc
	s_cbranch_execz .LBB6_12433
; %bb.12428:                            ;   in Loop: Header=BB6_10588 Depth=4
	v_and_b32_e32 v0, 0x7c, v19
	v_and_b32_e32 v2, 3, v19
	v_cmp_ne_u32_e32 vcc, s86, v0
                                        ; implicit-def: $vgpr0
	s_and_saveexec_b64 s[62:63], vcc
	s_xor_b64 s[36:37], exec, s[62:63]
	s_cbranch_execz .LBB6_12430
; %bb.12429:                            ;   in Loop: Header=BB6_10588 Depth=4
	v_ffbh_u32_e32 v7, v2
	v_min_u32_e32 v7, 32, v7
	v_and_b32_e32 v0, 0xff, v19
	v_mov_b32_e32 v20, v33
	v_subrev_u32_e32 v16, 29, v7
	v_bfe_u32 v0, v0, 2, 5
	s_waitcnt vmcnt(0)
	v_lshlrev_b64 v[50:51], v16, v[19:20]
	v_sub_u32_e32 v7, 30, v7
	v_cmp_eq_u32_e32 vcc, 0, v0
	v_and_b32_e32 v16, 3, v50
	v_cndmask_b32_e32 v0, v0, v7, vcc
	v_and_b32_sdwa v7, sext(v19), s87 dst_sel:DWORD dst_unused:UNUSED_PAD src0_sel:WORD_0 src1_sel:DWORD
	v_cndmask_b32_e32 v2, v2, v16, vcc
	v_lshl_add_u32 v0, v0, 23, v7
	v_lshl_or_b32 v0, v2, 21, v0
	v_add_u32_e32 v0, 0x38000000, v0
                                        ; implicit-def: $vgpr2
                                        ; implicit-def: $vgpr19
.LBB6_12430:                            ;   in Loop: Header=BB6_10588 Depth=4
	s_andn2_saveexec_b64 s[36:37], s[36:37]
; %bb.12431:                            ;   in Loop: Header=BB6_10588 Depth=4
	v_cmp_lt_i16_e32 vcc, -1, v19
	v_mov_b32_e32 v0, 0xff800000
	v_mov_b32_e32 v7, 0x7f800000
	v_cndmask_b32_e32 v0, v0, v7, vcc
	v_cmp_eq_u32_e32 vcc, 0, v2
	v_mov_b32_e32 v2, 0x7f800001
	v_cndmask_b32_e32 v0, v2, v0, vcc
; %bb.12432:                            ;   in Loop: Header=BB6_10588 Depth=4
	s_or_b64 exec, exec, s[36:37]
.LBB6_12433:                            ;   in Loop: Header=BB6_10588 Depth=4
	s_or_b64 exec, exec, s[34:35]
.LBB6_12434:                            ;   in Loop: Header=BB6_10588 Depth=4
	s_or_b64 exec, exec, s[28:29]
	v_add_f32_e32 v0, v1, v0
	v_and_b32_e32 v1, 0x7f800000, v0
	v_mov_b32_e32 v2, v33
	v_cmp_ne_u64_e32 vcc, s[76:77], v[1:2]
	v_and_b32_e32 v32, 0x7fffff, v0
                                        ; implicit-def: $vgpr20
	s_and_saveexec_b64 s[28:29], vcc
	s_xor_b64 s[34:35], exec, s[28:29]
	s_cbranch_execz .LBB6_12452
; %bb.12435:                            ;   in Loop: Header=BB6_10588 Depth=4
	v_and_b32_e32 v1, 0x7fffffff, v0
	v_mov_b32_e32 v2, v33
	v_cmp_gt_u64_e32 vcc, s[78:79], v[1:2]
	v_and_b32_sdwa v7, v0, s97 dst_sel:DWORD dst_unused:UNUSED_PAD src0_sel:BYTE_3 src1_sel:DWORD
                                        ; implicit-def: $vgpr20
	s_and_saveexec_b64 s[28:29], vcc
	s_xor_b64 s[36:37], exec, s[28:29]
	s_cbranch_execz .LBB6_12449
; %bb.12436:                            ;   in Loop: Header=BB6_10588 Depth=4
	v_cmp_ne_u32_e32 vcc, 0, v0
	v_mov_b32_e32 v20, 0
	s_and_saveexec_b64 s[38:39], vcc
	s_cbranch_execz .LBB6_12448
; %bb.12437:                            ;   in Loop: Header=BB6_10588 Depth=4
	v_bfe_u32 v16, v0, 23, 8
	v_cmp_gt_u32_e64 s[28:29], s47, v16
	v_sub_u32_e32 v0, 0x71, v16
	v_cmp_eq_u32_e32 vcc, 0, v16
	v_cndmask_b32_e64 v0, 0, v0, s[28:29]
	v_mov_b32_e32 v2, 0x70
	v_cndmask_b32_e32 v19, v0, v2, vcc
	v_add_u32_e32 v2, 21, v19
	v_or_b32_e32 v1, 0x800000, v32
	s_waitcnt vmcnt(0)
	v_lshlrev_b64 v[50:51], v2, -1
	v_cndmask_b32_e32 v0, v1, v32, vcc
	v_mov_b32_e32 v1, v33
	v_add_u32_e32 v2, 20, v19
	v_bfi_b32 v50, v50, 0, v0
	v_lshlrev_b64 v[53:54], v2, 1
	v_lshrrev_b64 v[0:1], v19, v[0:1]
	v_bfi_b32 v51, v51, 0, 0
	v_cmp_eq_u64_e64 s[28:29], v[50:51], v[53:54]
	v_mov_b32_e32 v2, v1
	v_mov_b32_e32 v1, v0
	s_and_saveexec_b64 s[48:49], s[28:29]
; %bb.12438:                            ;   in Loop: Header=BB6_10588 Depth=4
	v_bfe_u32 v1, v0, 21, 1
	v_add_co_u32_e64 v1, s[28:29], v0, v1
	v_add_co_u32_e64 v1, s[28:29], -1, v1
; %bb.12439:                            ;   in Loop: Header=BB6_10588 Depth=4
	s_or_b64 exec, exec, s[48:49]
	v_add_u32_e32 v2, 0xffffff81, v16
	v_mov_b32_e32 v16, 0xffffff82
	v_cndmask_b32_e32 v2, v2, v16, vcc
	v_lshrrev_b32_e32 v16, 23, v0
	v_add3_u32 v19, v19, v2, v16
	v_add_u32_e32 v16, 14, v19
	v_and_b32_e32 v1, 0x1fffff, v1
	v_add_u32_e32 v32, v1, v0
	v_cmp_ne_u32_e32 vcc, 0, v16
                                        ; implicit-def: $vgpr0_vgpr1
                                        ; implicit-def: $vgpr2
	s_and_saveexec_b64 s[28:29], vcc
	s_xor_b64 s[28:29], exec, s[28:29]
; %bb.12440:                            ;   in Loop: Header=BB6_10588 Depth=4
	v_cmp_lt_u64_e32 vcc, s[88:89], v[32:33]
	v_add_u32_e32 v0, 15, v19
	v_cndmask_b32_e32 v2, v16, v0, vcc
	v_cndmask_b32_e64 v0, 0, 1, vcc
	v_lshrrev_b64 v[0:1], v0, v[32:33]
; %bb.12441:                            ;   in Loop: Header=BB6_10588 Depth=4
	s_or_saveexec_b64 s[28:29], s[28:29]
	buffer_load_dword v54, off, s[0:3], s33 offset:268 ; 4-byte Folded Reload
	buffer_load_dword v55, off, s[0:3], s33 offset:272 ; 4-byte Folded Reload
	s_xor_b64 exec, exec, s[28:29]
; %bb.12442:                            ;   in Loop: Header=BB6_10588 Depth=4
	v_mov_b32_e32 v0, v32
	v_mov_b32_e32 v1, v33
	v_bfe_u32 v2, v32, 23, 1
; %bb.12443:                            ;   in Loop: Header=BB6_10588 Depth=4
	s_or_b64 exec, exec, s[28:29]
	v_lshrrev_b64 v[0:1], 21, v[0:1]
	v_cmp_gt_i32_e32 vcc, 32, v2
	v_cndmask_b32_e32 v1, 0, v1, vcc
	v_cndmask_b32_e32 v0, 3, v0, vcc
	v_cmp_ne_u64_e32 vcc, 0, v[0:1]
	v_cmp_ne_u32_e64 s[28:29], 0, v2
	s_or_b64 s[28:29], s[28:29], vcc
                                        ; implicit-def: $vgpr20
	s_and_saveexec_b64 s[62:63], s[28:29]
	s_xor_b64 s[28:29], exec, s[62:63]
; %bb.12444:                            ;   in Loop: Header=BB6_10588 Depth=4
	v_min_i32_e32 v1, 31, v2
	v_lshl_or_b32 v1, v1, 2, v7
	v_and_or_b32 v20, v0, 3, v1
                                        ; implicit-def: $vgpr7
; %bb.12445:                            ;   in Loop: Header=BB6_10588 Depth=4
	s_andn2_saveexec_b64 s[28:29], s[28:29]
; %bb.12446:                            ;   in Loop: Header=BB6_10588 Depth=4
	v_mov_b32_e32 v20, v7
; %bb.12447:                            ;   in Loop: Header=BB6_10588 Depth=4
	s_or_b64 exec, exec, s[28:29]
.LBB6_12448:                            ;   in Loop: Header=BB6_10588 Depth=4
	s_or_b64 exec, exec, s[38:39]
                                        ; implicit-def: $vgpr7
.LBB6_12449:                            ;   in Loop: Header=BB6_10588 Depth=4
	s_andn2_saveexec_b64 s[28:29], s[36:37]
; %bb.12450:                            ;   in Loop: Header=BB6_10588 Depth=4
	v_or_b32_e32 v20, 0x7b, v7
; %bb.12451:                            ;   in Loop: Header=BB6_10588 Depth=4
	s_or_b64 exec, exec, s[28:29]
                                        ; implicit-def: $vgpr0
.LBB6_12452:                            ;   in Loop: Header=BB6_10588 Depth=4
	s_andn2_saveexec_b64 s[28:29], s[34:35]
	s_cbranch_execz .LBB6_12458
; %bb.12453:                            ;   in Loop: Header=BB6_10588 Depth=4
	v_cmp_ne_u64_e32 vcc, 0, v[32:33]
                                        ; implicit-def: $vgpr20
	s_and_saveexec_b64 s[62:63], vcc
	s_xor_b64 vcc, exec, s[62:63]
; %bb.12454:                            ;   in Loop: Header=BB6_10588 Depth=4
	v_or_b32_sdwa v20, v0, s44 dst_sel:DWORD dst_unused:UNUSED_PAD src0_sel:BYTE_3 src1_sel:DWORD
                                        ; implicit-def: $vgpr0
; %bb.12455:                            ;   in Loop: Header=BB6_10588 Depth=4
	s_andn2_saveexec_b64 s[34:35], vcc
; %bb.12456:                            ;   in Loop: Header=BB6_10588 Depth=4
	v_cmp_lt_i32_e32 vcc, -1, v0
	v_mov_b32_e32 v0, 0x7c
	v_cndmask_b32_e32 v20, -4, v0, vcc
; %bb.12457:                            ;   in Loop: Header=BB6_10588 Depth=4
	s_or_b64 exec, exec, s[34:35]
.LBB6_12458:                            ;   in Loop: Header=BB6_10588 Depth=4
	s_or_b64 exec, exec, s[28:29]
	buffer_load_dword v0, off, s[0:3], s33 offset:156 ; 4-byte Folded Reload
	buffer_load_dword v1, off, s[0:3], s33 offset:160 ; 4-byte Folded Reload
	s_waitcnt vmcnt(0)
	v_mov_b32_e32 v1, 0
	v_and_b32_e32 v7, 0xff, v0
	v_cmp_ne_u16_e32 vcc, 0, v7
	v_mov_b32_e32 v0, 0
	s_and_saveexec_b64 s[28:29], vcc
	s_cbranch_execz .LBB6_12466
; %bb.12459:                            ;   in Loop: Header=BB6_10588 Depth=4
	v_cmp_ne_u16_e32 vcc, s97, v7
	v_bfrev_b32_e32 v1, 1
	s_and_saveexec_b64 s[34:35], vcc
	s_cbranch_execz .LBB6_12465
; %bb.12460:                            ;   in Loop: Header=BB6_10588 Depth=4
	buffer_load_dword v1, off, s[0:3], s33 offset:156 ; 4-byte Folded Reload
	buffer_load_dword v2, off, s[0:3], s33 offset:160 ; 4-byte Folded Reload
	s_waitcnt vmcnt(0)
	v_and_b32_e32 v2, 3, v1
	v_and_b32_e32 v1, 0x7c, v1
	v_cmp_ne_u32_e32 vcc, s86, v1
                                        ; implicit-def: $vgpr1
	s_and_saveexec_b64 s[62:63], vcc
	s_xor_b64 s[36:37], exec, s[62:63]
	s_cbranch_execz .LBB6_12462
; %bb.12461:                            ;   in Loop: Header=BB6_10588 Depth=4
	buffer_load_dword v40, off, s[0:3], s33 offset:156 ; 4-byte Folded Reload
	buffer_load_dword v41, off, s[0:3], s33 offset:160 ; 4-byte Folded Reload
	v_bfe_u32 v1, v7, 2, 5
	v_ffbh_u32_e32 v7, v2
	v_min_u32_e32 v7, 32, v7
	s_waitcnt vmcnt(0)
	v_mov_b32_e32 v41, v33
	v_subrev_u32_e32 v16, 29, v7
	v_sub_u32_e32 v7, 30, v7
	v_cmp_eq_u32_e32 vcc, 0, v1
	v_cndmask_b32_e32 v1, v1, v7, vcc
	v_lshlrev_b32_e32 v7, 24, v40
	v_lshlrev_b64 v[50:51], v16, v[40:41]
	v_and_b32_e32 v7, 0x80000000, v7
	v_and_b32_e32 v16, 3, v50
	v_cndmask_b32_e32 v2, v2, v16, vcc
	v_lshl_add_u32 v1, v1, 23, v7
	v_lshl_or_b32 v1, v2, 21, v1
	v_add_u32_e32 v1, 0x38000000, v1
                                        ; implicit-def: $vgpr7
                                        ; implicit-def: $vgpr2
	buffer_store_dword v7, off, s[0:3], s33 offset:156 ; 4-byte Folded Spill
	s_nop 0
	buffer_store_dword v8, off, s[0:3], s33 offset:160 ; 4-byte Folded Spill
.LBB6_12462:                            ;   in Loop: Header=BB6_10588 Depth=4
	s_andn2_saveexec_b64 s[36:37], s[36:37]
	s_cbranch_execz .LBB6_12464
; %bb.12463:                            ;   in Loop: Header=BB6_10588 Depth=4
	buffer_load_dword v50, off, s[0:3], s33 offset:156 ; 4-byte Folded Reload
	buffer_load_dword v51, off, s[0:3], s33 offset:160 ; 4-byte Folded Reload
	v_mov_b32_e32 v1, -1
	v_mov_b32_e32 v7, 0x7f800000
	s_waitcnt vmcnt(1)
	v_cmp_gt_i16_sdwa vcc, sext(v50), v1 src0_sel:BYTE_0 src1_sel:DWORD
	v_mov_b32_e32 v1, 0xff800000
	v_cndmask_b32_e32 v1, v1, v7, vcc
	v_cmp_eq_u32_e32 vcc, 0, v2
	v_mov_b32_e32 v2, 0x7f800001
	v_cndmask_b32_e32 v1, v2, v1, vcc
.LBB6_12464:                            ;   in Loop: Header=BB6_10588 Depth=4
	s_or_b64 exec, exec, s[36:37]
.LBB6_12465:                            ;   in Loop: Header=BB6_10588 Depth=4
	s_or_b64 exec, exec, s[34:35]
.LBB6_12466:                            ;   in Loop: Header=BB6_10588 Depth=4
	s_or_b64 exec, exec, s[28:29]
	v_cmp_ne_u16_e32 vcc, 0, v18
	s_and_saveexec_b64 s[28:29], vcc
	s_cbranch_execz .LBB6_12474
; %bb.12467:                            ;   in Loop: Header=BB6_10588 Depth=4
	v_cmp_ne_u16_e32 vcc, s46, v18
	v_bfrev_b32_e32 v0, 1
	s_and_saveexec_b64 s[34:35], vcc
	s_cbranch_execz .LBB6_12473
; %bb.12468:                            ;   in Loop: Header=BB6_10588 Depth=4
	v_and_b32_e32 v0, 0x7c, v18
	v_and_b32_e32 v2, 3, v18
	v_cmp_ne_u32_e32 vcc, s86, v0
                                        ; implicit-def: $vgpr0
	s_and_saveexec_b64 s[62:63], vcc
	s_xor_b64 s[36:37], exec, s[62:63]
	s_cbranch_execz .LBB6_12470
; %bb.12469:                            ;   in Loop: Header=BB6_10588 Depth=4
	v_ffbh_u32_e32 v7, v2
	v_min_u32_e32 v7, 32, v7
	v_and_b32_e32 v0, 0xff, v18
	v_mov_b32_e32 v19, v33
	v_subrev_u32_e32 v16, 29, v7
	v_bfe_u32 v0, v0, 2, 5
	s_waitcnt vmcnt(0)
	v_lshlrev_b64 v[50:51], v16, v[18:19]
	v_sub_u32_e32 v7, 30, v7
	v_cmp_eq_u32_e32 vcc, 0, v0
	v_and_b32_e32 v16, 3, v50
	v_cndmask_b32_e32 v0, v0, v7, vcc
	v_and_b32_sdwa v7, sext(v18), s87 dst_sel:DWORD dst_unused:UNUSED_PAD src0_sel:WORD_0 src1_sel:DWORD
	v_cndmask_b32_e32 v2, v2, v16, vcc
	v_lshl_add_u32 v0, v0, 23, v7
	v_lshl_or_b32 v0, v2, 21, v0
	v_add_u32_e32 v0, 0x38000000, v0
                                        ; implicit-def: $vgpr2
                                        ; implicit-def: $vgpr18
.LBB6_12470:                            ;   in Loop: Header=BB6_10588 Depth=4
	s_andn2_saveexec_b64 s[36:37], s[36:37]
; %bb.12471:                            ;   in Loop: Header=BB6_10588 Depth=4
	v_cmp_lt_i16_e32 vcc, -1, v18
	v_mov_b32_e32 v0, 0xff800000
	v_mov_b32_e32 v7, 0x7f800000
	v_cndmask_b32_e32 v0, v0, v7, vcc
	v_cmp_eq_u32_e32 vcc, 0, v2
	v_mov_b32_e32 v2, 0x7f800001
	v_cndmask_b32_e32 v0, v2, v0, vcc
; %bb.12472:                            ;   in Loop: Header=BB6_10588 Depth=4
	s_or_b64 exec, exec, s[36:37]
.LBB6_12473:                            ;   in Loop: Header=BB6_10588 Depth=4
	s_or_b64 exec, exec, s[34:35]
.LBB6_12474:                            ;   in Loop: Header=BB6_10588 Depth=4
	s_or_b64 exec, exec, s[28:29]
	v_add_f32_e32 v0, v1, v0
	v_and_b32_e32 v1, 0x7f800000, v0
	v_mov_b32_e32 v2, v33
	v_cmp_ne_u64_e32 vcc, s[76:77], v[1:2]
	v_and_b32_e32 v32, 0x7fffff, v0
                                        ; implicit-def: $vgpr18
	s_and_saveexec_b64 s[28:29], vcc
	s_xor_b64 s[34:35], exec, s[28:29]
	s_cbranch_execz .LBB6_12492
; %bb.12475:                            ;   in Loop: Header=BB6_10588 Depth=4
	v_and_b32_e32 v1, 0x7fffffff, v0
	v_mov_b32_e32 v2, v33
	v_cmp_gt_u64_e32 vcc, s[78:79], v[1:2]
	v_and_b32_sdwa v7, v0, s97 dst_sel:DWORD dst_unused:UNUSED_PAD src0_sel:BYTE_3 src1_sel:DWORD
                                        ; implicit-def: $vgpr18
	s_and_saveexec_b64 s[28:29], vcc
	s_xor_b64 s[36:37], exec, s[28:29]
	s_cbranch_execz .LBB6_12489
; %bb.12476:                            ;   in Loop: Header=BB6_10588 Depth=4
	v_cmp_ne_u32_e32 vcc, 0, v0
	v_mov_b32_e32 v18, 0
	s_and_saveexec_b64 s[38:39], vcc
	s_cbranch_execz .LBB6_12488
; %bb.12477:                            ;   in Loop: Header=BB6_10588 Depth=4
	v_bfe_u32 v16, v0, 23, 8
	v_cmp_gt_u32_e64 s[28:29], s47, v16
	v_sub_u32_e32 v0, 0x71, v16
	v_cmp_eq_u32_e32 vcc, 0, v16
	v_cndmask_b32_e64 v0, 0, v0, s[28:29]
	v_mov_b32_e32 v2, 0x70
	v_cndmask_b32_e32 v18, v0, v2, vcc
	v_add_u32_e32 v2, 21, v18
	v_or_b32_e32 v1, 0x800000, v32
	s_waitcnt vmcnt(0)
	v_lshlrev_b64 v[50:51], v2, -1
	v_cndmask_b32_e32 v0, v1, v32, vcc
	v_mov_b32_e32 v1, v33
	v_add_u32_e32 v2, 20, v18
	v_bfi_b32 v50, v50, 0, v0
	v_lshlrev_b64 v[53:54], v2, 1
	v_lshrrev_b64 v[0:1], v18, v[0:1]
	v_bfi_b32 v51, v51, 0, 0
	v_cmp_eq_u64_e64 s[28:29], v[50:51], v[53:54]
	v_mov_b32_e32 v2, v1
	v_mov_b32_e32 v1, v0
	s_and_saveexec_b64 s[48:49], s[28:29]
; %bb.12478:                            ;   in Loop: Header=BB6_10588 Depth=4
	v_bfe_u32 v1, v0, 21, 1
	v_add_co_u32_e64 v1, s[28:29], v0, v1
	v_add_co_u32_e64 v1, s[28:29], -1, v1
; %bb.12479:                            ;   in Loop: Header=BB6_10588 Depth=4
	s_or_b64 exec, exec, s[48:49]
	v_add_u32_e32 v2, 0xffffff81, v16
	v_mov_b32_e32 v16, 0xffffff82
	v_cndmask_b32_e32 v2, v2, v16, vcc
	v_lshrrev_b32_e32 v16, 23, v0
	v_add3_u32 v18, v18, v2, v16
	v_add_u32_e32 v16, 14, v18
	v_and_b32_e32 v1, 0x1fffff, v1
	v_add_u32_e32 v32, v1, v0
	v_cmp_ne_u32_e32 vcc, 0, v16
                                        ; implicit-def: $vgpr0_vgpr1
                                        ; implicit-def: $vgpr2
	s_and_saveexec_b64 s[28:29], vcc
	s_xor_b64 s[28:29], exec, s[28:29]
; %bb.12480:                            ;   in Loop: Header=BB6_10588 Depth=4
	v_cmp_lt_u64_e32 vcc, s[88:89], v[32:33]
	v_add_u32_e32 v0, 15, v18
	v_cndmask_b32_e32 v2, v16, v0, vcc
	v_cndmask_b32_e64 v0, 0, 1, vcc
	v_lshrrev_b64 v[0:1], v0, v[32:33]
; %bb.12481:                            ;   in Loop: Header=BB6_10588 Depth=4
	s_or_saveexec_b64 s[28:29], s[28:29]
	buffer_load_dword v54, off, s[0:3], s33 offset:268 ; 4-byte Folded Reload
	buffer_load_dword v55, off, s[0:3], s33 offset:272 ; 4-byte Folded Reload
	s_xor_b64 exec, exec, s[28:29]
; %bb.12482:                            ;   in Loop: Header=BB6_10588 Depth=4
	v_mov_b32_e32 v0, v32
	v_mov_b32_e32 v1, v33
	v_bfe_u32 v2, v32, 23, 1
; %bb.12483:                            ;   in Loop: Header=BB6_10588 Depth=4
	s_or_b64 exec, exec, s[28:29]
	v_lshrrev_b64 v[0:1], 21, v[0:1]
	v_cmp_gt_i32_e32 vcc, 32, v2
	v_cndmask_b32_e32 v1, 0, v1, vcc
	v_cndmask_b32_e32 v0, 3, v0, vcc
	v_cmp_ne_u64_e32 vcc, 0, v[0:1]
	v_cmp_ne_u32_e64 s[28:29], 0, v2
	s_or_b64 s[28:29], s[28:29], vcc
                                        ; implicit-def: $vgpr18
	s_and_saveexec_b64 s[62:63], s[28:29]
	s_xor_b64 s[28:29], exec, s[62:63]
; %bb.12484:                            ;   in Loop: Header=BB6_10588 Depth=4
	v_min_i32_e32 v1, 31, v2
	v_lshl_or_b32 v1, v1, 2, v7
	v_and_or_b32 v18, v0, 3, v1
                                        ; implicit-def: $vgpr7
; %bb.12485:                            ;   in Loop: Header=BB6_10588 Depth=4
	s_andn2_saveexec_b64 s[28:29], s[28:29]
; %bb.12486:                            ;   in Loop: Header=BB6_10588 Depth=4
	v_mov_b32_e32 v18, v7
; %bb.12487:                            ;   in Loop: Header=BB6_10588 Depth=4
	s_or_b64 exec, exec, s[28:29]
.LBB6_12488:                            ;   in Loop: Header=BB6_10588 Depth=4
	s_or_b64 exec, exec, s[38:39]
                                        ; implicit-def: $vgpr7
.LBB6_12489:                            ;   in Loop: Header=BB6_10588 Depth=4
	s_andn2_saveexec_b64 s[28:29], s[36:37]
; %bb.12490:                            ;   in Loop: Header=BB6_10588 Depth=4
	v_or_b32_e32 v18, 0x7b, v7
; %bb.12491:                            ;   in Loop: Header=BB6_10588 Depth=4
	s_or_b64 exec, exec, s[28:29]
                                        ; implicit-def: $vgpr0
.LBB6_12492:                            ;   in Loop: Header=BB6_10588 Depth=4
	s_andn2_saveexec_b64 s[28:29], s[34:35]
	s_cbranch_execz .LBB6_12498
; %bb.12493:                            ;   in Loop: Header=BB6_10588 Depth=4
	v_cmp_ne_u64_e32 vcc, 0, v[32:33]
                                        ; implicit-def: $vgpr18
	s_and_saveexec_b64 s[62:63], vcc
	s_xor_b64 vcc, exec, s[62:63]
; %bb.12494:                            ;   in Loop: Header=BB6_10588 Depth=4
	v_or_b32_sdwa v18, v0, s44 dst_sel:DWORD dst_unused:UNUSED_PAD src0_sel:BYTE_3 src1_sel:DWORD
                                        ; implicit-def: $vgpr0
; %bb.12495:                            ;   in Loop: Header=BB6_10588 Depth=4
	s_andn2_saveexec_b64 s[34:35], vcc
; %bb.12496:                            ;   in Loop: Header=BB6_10588 Depth=4
	v_cmp_lt_i32_e32 vcc, -1, v0
	v_mov_b32_e32 v0, 0x7c
	v_cndmask_b32_e32 v18, -4, v0, vcc
; %bb.12497:                            ;   in Loop: Header=BB6_10588 Depth=4
	s_or_b64 exec, exec, s[34:35]
.LBB6_12498:                            ;   in Loop: Header=BB6_10588 Depth=4
	s_or_b64 exec, exec, s[28:29]
	buffer_load_dword v0, off, s[0:3], s33 offset:148 ; 4-byte Folded Reload
	buffer_load_dword v1, off, s[0:3], s33 offset:152 ; 4-byte Folded Reload
	s_waitcnt vmcnt(0)
	v_mov_b32_e32 v1, 0
	v_and_b32_e32 v7, 0xff, v0
	v_cmp_ne_u16_e32 vcc, 0, v7
	v_mov_b32_e32 v0, 0
	s_and_saveexec_b64 s[28:29], vcc
	s_cbranch_execz .LBB6_12506
; %bb.12499:                            ;   in Loop: Header=BB6_10588 Depth=4
	v_cmp_ne_u16_e32 vcc, s97, v7
	v_bfrev_b32_e32 v1, 1
	s_and_saveexec_b64 s[34:35], vcc
	s_cbranch_execz .LBB6_12505
; %bb.12500:                            ;   in Loop: Header=BB6_10588 Depth=4
	buffer_load_dword v1, off, s[0:3], s33 offset:148 ; 4-byte Folded Reload
	buffer_load_dword v2, off, s[0:3], s33 offset:152 ; 4-byte Folded Reload
	s_waitcnt vmcnt(0)
	v_and_b32_e32 v2, 3, v1
	v_and_b32_e32 v1, 0x7c, v1
	v_cmp_ne_u32_e32 vcc, s86, v1
                                        ; implicit-def: $vgpr1
	s_and_saveexec_b64 s[62:63], vcc
	s_xor_b64 s[36:37], exec, s[62:63]
	s_cbranch_execz .LBB6_12502
; %bb.12501:                            ;   in Loop: Header=BB6_10588 Depth=4
	buffer_load_dword v40, off, s[0:3], s33 offset:148 ; 4-byte Folded Reload
	buffer_load_dword v41, off, s[0:3], s33 offset:152 ; 4-byte Folded Reload
	v_bfe_u32 v1, v7, 2, 5
	v_ffbh_u32_e32 v7, v2
	v_min_u32_e32 v7, 32, v7
	s_waitcnt vmcnt(0)
	v_mov_b32_e32 v41, v33
	v_subrev_u32_e32 v16, 29, v7
	v_sub_u32_e32 v7, 30, v7
	v_cmp_eq_u32_e32 vcc, 0, v1
	v_cndmask_b32_e32 v1, v1, v7, vcc
	v_lshlrev_b32_e32 v7, 24, v40
	v_lshlrev_b64 v[50:51], v16, v[40:41]
	v_and_b32_e32 v7, 0x80000000, v7
	v_and_b32_e32 v16, 3, v50
	v_cndmask_b32_e32 v2, v2, v16, vcc
	v_lshl_add_u32 v1, v1, 23, v7
	v_lshl_or_b32 v1, v2, 21, v1
	v_add_u32_e32 v1, 0x38000000, v1
                                        ; implicit-def: $vgpr7
                                        ; implicit-def: $vgpr2
	buffer_store_dword v7, off, s[0:3], s33 offset:148 ; 4-byte Folded Spill
	s_nop 0
	buffer_store_dword v8, off, s[0:3], s33 offset:152 ; 4-byte Folded Spill
.LBB6_12502:                            ;   in Loop: Header=BB6_10588 Depth=4
	s_andn2_saveexec_b64 s[36:37], s[36:37]
	s_cbranch_execz .LBB6_12504
; %bb.12503:                            ;   in Loop: Header=BB6_10588 Depth=4
	buffer_load_dword v50, off, s[0:3], s33 offset:148 ; 4-byte Folded Reload
	buffer_load_dword v51, off, s[0:3], s33 offset:152 ; 4-byte Folded Reload
	v_mov_b32_e32 v1, -1
	v_mov_b32_e32 v7, 0x7f800000
	s_waitcnt vmcnt(1)
	v_cmp_gt_i16_sdwa vcc, sext(v50), v1 src0_sel:BYTE_0 src1_sel:DWORD
	v_mov_b32_e32 v1, 0xff800000
	v_cndmask_b32_e32 v1, v1, v7, vcc
	v_cmp_eq_u32_e32 vcc, 0, v2
	v_mov_b32_e32 v2, 0x7f800001
	v_cndmask_b32_e32 v1, v2, v1, vcc
.LBB6_12504:                            ;   in Loop: Header=BB6_10588 Depth=4
	s_or_b64 exec, exec, s[36:37]
.LBB6_12505:                            ;   in Loop: Header=BB6_10588 Depth=4
	s_or_b64 exec, exec, s[34:35]
.LBB6_12506:                            ;   in Loop: Header=BB6_10588 Depth=4
	s_or_b64 exec, exec, s[28:29]
	v_cmp_ne_u16_e32 vcc, 0, v15
	s_and_saveexec_b64 s[28:29], vcc
	s_cbranch_execz .LBB6_12514
; %bb.12507:                            ;   in Loop: Header=BB6_10588 Depth=4
	v_cmp_ne_u16_e32 vcc, s46, v15
	v_bfrev_b32_e32 v0, 1
	s_and_saveexec_b64 s[34:35], vcc
	s_cbranch_execz .LBB6_12513
; %bb.12508:                            ;   in Loop: Header=BB6_10588 Depth=4
	v_and_b32_e32 v0, 0x7c, v15
	v_and_b32_e32 v2, 3, v15
	v_cmp_ne_u32_e32 vcc, s86, v0
                                        ; implicit-def: $vgpr0
	s_and_saveexec_b64 s[62:63], vcc
	s_xor_b64 s[36:37], exec, s[62:63]
	s_cbranch_execz .LBB6_12510
; %bb.12509:                            ;   in Loop: Header=BB6_10588 Depth=4
	v_ffbh_u32_e32 v7, v2
	v_min_u32_e32 v7, 32, v7
	v_and_b32_e32 v0, 0xff, v15
	v_mov_b32_e32 v16, v33
	v_subrev_u32_e32 v19, 29, v7
	v_bfe_u32 v0, v0, 2, 5
	s_waitcnt vmcnt(0)
	v_lshlrev_b64 v[50:51], v19, v[15:16]
	v_sub_u32_e32 v7, 30, v7
	v_cmp_eq_u32_e32 vcc, 0, v0
	v_and_b32_e32 v16, 3, v50
	v_cndmask_b32_e32 v0, v0, v7, vcc
	v_and_b32_sdwa v7, sext(v15), s87 dst_sel:DWORD dst_unused:UNUSED_PAD src0_sel:WORD_0 src1_sel:DWORD
	v_cndmask_b32_e32 v2, v2, v16, vcc
	v_lshl_add_u32 v0, v0, 23, v7
	v_lshl_or_b32 v0, v2, 21, v0
	v_add_u32_e32 v0, 0x38000000, v0
                                        ; implicit-def: $vgpr2
                                        ; implicit-def: $vgpr15
.LBB6_12510:                            ;   in Loop: Header=BB6_10588 Depth=4
	s_andn2_saveexec_b64 s[36:37], s[36:37]
; %bb.12511:                            ;   in Loop: Header=BB6_10588 Depth=4
	v_cmp_lt_i16_e32 vcc, -1, v15
	v_mov_b32_e32 v0, 0xff800000
	v_mov_b32_e32 v7, 0x7f800000
	v_cndmask_b32_e32 v0, v0, v7, vcc
	v_cmp_eq_u32_e32 vcc, 0, v2
	v_mov_b32_e32 v2, 0x7f800001
	v_cndmask_b32_e32 v0, v2, v0, vcc
; %bb.12512:                            ;   in Loop: Header=BB6_10588 Depth=4
	s_or_b64 exec, exec, s[36:37]
.LBB6_12513:                            ;   in Loop: Header=BB6_10588 Depth=4
	s_or_b64 exec, exec, s[34:35]
.LBB6_12514:                            ;   in Loop: Header=BB6_10588 Depth=4
	s_or_b64 exec, exec, s[28:29]
	v_add_f32_e32 v0, v1, v0
	v_and_b32_e32 v1, 0x7f800000, v0
	v_mov_b32_e32 v2, v33
	v_cmp_ne_u64_e32 vcc, s[76:77], v[1:2]
	v_and_b32_e32 v32, 0x7fffff, v0
                                        ; implicit-def: $vgpr16
	s_and_saveexec_b64 s[28:29], vcc
	s_xor_b64 s[34:35], exec, s[28:29]
	s_cbranch_execz .LBB6_12532
; %bb.12515:                            ;   in Loop: Header=BB6_10588 Depth=4
	v_and_b32_e32 v1, 0x7fffffff, v0
	v_mov_b32_e32 v2, v33
	v_cmp_gt_u64_e32 vcc, s[78:79], v[1:2]
	v_and_b32_sdwa v7, v0, s97 dst_sel:DWORD dst_unused:UNUSED_PAD src0_sel:BYTE_3 src1_sel:DWORD
                                        ; implicit-def: $vgpr16
	s_and_saveexec_b64 s[28:29], vcc
	s_xor_b64 s[36:37], exec, s[28:29]
	s_cbranch_execz .LBB6_12529
; %bb.12516:                            ;   in Loop: Header=BB6_10588 Depth=4
	v_cmp_ne_u32_e32 vcc, 0, v0
	v_mov_b32_e32 v16, 0
	s_and_saveexec_b64 s[38:39], vcc
	s_cbranch_execz .LBB6_12528
; %bb.12517:                            ;   in Loop: Header=BB6_10588 Depth=4
	v_bfe_u32 v15, v0, 23, 8
	v_cmp_gt_u32_e64 s[28:29], s47, v15
	v_sub_u32_e32 v0, 0x71, v15
	v_cmp_eq_u32_e32 vcc, 0, v15
	v_cndmask_b32_e64 v0, 0, v0, s[28:29]
	v_mov_b32_e32 v2, 0x70
	v_cndmask_b32_e32 v16, v0, v2, vcc
	v_add_u32_e32 v2, 21, v16
	v_or_b32_e32 v1, 0x800000, v32
	s_waitcnt vmcnt(0)
	v_lshlrev_b64 v[50:51], v2, -1
	v_cndmask_b32_e32 v0, v1, v32, vcc
	v_mov_b32_e32 v1, v33
	v_add_u32_e32 v2, 20, v16
	v_bfi_b32 v50, v50, 0, v0
	v_lshlrev_b64 v[53:54], v2, 1
	v_lshrrev_b64 v[0:1], v16, v[0:1]
	v_bfi_b32 v51, v51, 0, 0
	v_cmp_eq_u64_e64 s[28:29], v[50:51], v[53:54]
	v_mov_b32_e32 v2, v1
	v_mov_b32_e32 v1, v0
	s_and_saveexec_b64 s[48:49], s[28:29]
; %bb.12518:                            ;   in Loop: Header=BB6_10588 Depth=4
	v_bfe_u32 v1, v0, 21, 1
	v_add_co_u32_e64 v1, s[28:29], v0, v1
	v_add_co_u32_e64 v1, s[28:29], -1, v1
; %bb.12519:                            ;   in Loop: Header=BB6_10588 Depth=4
	s_or_b64 exec, exec, s[48:49]
	v_add_u32_e32 v2, 0xffffff81, v15
	v_mov_b32_e32 v15, 0xffffff82
	v_cndmask_b32_e32 v2, v2, v15, vcc
	v_lshrrev_b32_e32 v15, 23, v0
	v_add3_u32 v16, v16, v2, v15
	v_add_u32_e32 v15, 14, v16
	v_and_b32_e32 v1, 0x1fffff, v1
	v_add_u32_e32 v32, v1, v0
	v_cmp_ne_u32_e32 vcc, 0, v15
                                        ; implicit-def: $vgpr0_vgpr1
                                        ; implicit-def: $vgpr2
	s_and_saveexec_b64 s[28:29], vcc
	s_xor_b64 s[28:29], exec, s[28:29]
; %bb.12520:                            ;   in Loop: Header=BB6_10588 Depth=4
	v_cmp_lt_u64_e32 vcc, s[88:89], v[32:33]
	v_add_u32_e32 v0, 15, v16
	v_cndmask_b32_e32 v2, v15, v0, vcc
	v_cndmask_b32_e64 v0, 0, 1, vcc
	v_lshrrev_b64 v[0:1], v0, v[32:33]
; %bb.12521:                            ;   in Loop: Header=BB6_10588 Depth=4
	s_or_saveexec_b64 s[28:29], s[28:29]
	buffer_load_dword v54, off, s[0:3], s33 offset:268 ; 4-byte Folded Reload
	buffer_load_dword v55, off, s[0:3], s33 offset:272 ; 4-byte Folded Reload
	s_xor_b64 exec, exec, s[28:29]
; %bb.12522:                            ;   in Loop: Header=BB6_10588 Depth=4
	v_mov_b32_e32 v0, v32
	v_mov_b32_e32 v1, v33
	v_bfe_u32 v2, v32, 23, 1
; %bb.12523:                            ;   in Loop: Header=BB6_10588 Depth=4
	s_or_b64 exec, exec, s[28:29]
	v_lshrrev_b64 v[0:1], 21, v[0:1]
	v_cmp_gt_i32_e32 vcc, 32, v2
	v_cndmask_b32_e32 v1, 0, v1, vcc
	v_cndmask_b32_e32 v0, 3, v0, vcc
	v_cmp_ne_u64_e32 vcc, 0, v[0:1]
	v_cmp_ne_u32_e64 s[28:29], 0, v2
	s_or_b64 s[28:29], s[28:29], vcc
                                        ; implicit-def: $vgpr16
	s_and_saveexec_b64 s[62:63], s[28:29]
	s_xor_b64 s[28:29], exec, s[62:63]
; %bb.12524:                            ;   in Loop: Header=BB6_10588 Depth=4
	v_min_i32_e32 v1, 31, v2
	v_lshl_or_b32 v1, v1, 2, v7
	v_and_or_b32 v16, v0, 3, v1
                                        ; implicit-def: $vgpr7
; %bb.12525:                            ;   in Loop: Header=BB6_10588 Depth=4
	s_andn2_saveexec_b64 s[28:29], s[28:29]
; %bb.12526:                            ;   in Loop: Header=BB6_10588 Depth=4
	v_mov_b32_e32 v16, v7
; %bb.12527:                            ;   in Loop: Header=BB6_10588 Depth=4
	s_or_b64 exec, exec, s[28:29]
.LBB6_12528:                            ;   in Loop: Header=BB6_10588 Depth=4
	s_or_b64 exec, exec, s[38:39]
                                        ; implicit-def: $vgpr7
.LBB6_12529:                            ;   in Loop: Header=BB6_10588 Depth=4
	s_andn2_saveexec_b64 s[28:29], s[36:37]
; %bb.12530:                            ;   in Loop: Header=BB6_10588 Depth=4
	v_or_b32_e32 v16, 0x7b, v7
; %bb.12531:                            ;   in Loop: Header=BB6_10588 Depth=4
	s_or_b64 exec, exec, s[28:29]
                                        ; implicit-def: $vgpr0
.LBB6_12532:                            ;   in Loop: Header=BB6_10588 Depth=4
	s_andn2_saveexec_b64 s[28:29], s[34:35]
	s_cbranch_execz .LBB6_12538
; %bb.12533:                            ;   in Loop: Header=BB6_10588 Depth=4
	v_cmp_ne_u64_e32 vcc, 0, v[32:33]
                                        ; implicit-def: $vgpr16
	s_and_saveexec_b64 s[62:63], vcc
	s_xor_b64 vcc, exec, s[62:63]
; %bb.12534:                            ;   in Loop: Header=BB6_10588 Depth=4
	v_or_b32_sdwa v16, v0, s44 dst_sel:DWORD dst_unused:UNUSED_PAD src0_sel:BYTE_3 src1_sel:DWORD
                                        ; implicit-def: $vgpr0
; %bb.12535:                            ;   in Loop: Header=BB6_10588 Depth=4
	s_andn2_saveexec_b64 s[34:35], vcc
; %bb.12536:                            ;   in Loop: Header=BB6_10588 Depth=4
	v_cmp_lt_i32_e32 vcc, -1, v0
	v_mov_b32_e32 v0, 0x7c
	v_cndmask_b32_e32 v16, -4, v0, vcc
; %bb.12537:                            ;   in Loop: Header=BB6_10588 Depth=4
	s_or_b64 exec, exec, s[34:35]
.LBB6_12538:                            ;   in Loop: Header=BB6_10588 Depth=4
	s_or_b64 exec, exec, s[28:29]
	buffer_load_dword v0, off, s[0:3], s33 offset:140 ; 4-byte Folded Reload
	buffer_load_dword v1, off, s[0:3], s33 offset:144 ; 4-byte Folded Reload
	s_waitcnt vmcnt(0)
	v_mov_b32_e32 v1, 0
	v_and_b32_e32 v7, 0xff, v0
	v_cmp_ne_u16_e32 vcc, 0, v7
	v_mov_b32_e32 v0, 0
	s_and_saveexec_b64 s[28:29], vcc
	s_cbranch_execz .LBB6_12546
; %bb.12539:                            ;   in Loop: Header=BB6_10588 Depth=4
	v_cmp_ne_u16_e32 vcc, s97, v7
	v_bfrev_b32_e32 v1, 1
	s_and_saveexec_b64 s[34:35], vcc
	s_cbranch_execz .LBB6_12545
; %bb.12540:                            ;   in Loop: Header=BB6_10588 Depth=4
	buffer_load_dword v1, off, s[0:3], s33 offset:140 ; 4-byte Folded Reload
	buffer_load_dword v2, off, s[0:3], s33 offset:144 ; 4-byte Folded Reload
	s_waitcnt vmcnt(0)
	v_and_b32_e32 v2, 3, v1
	v_and_b32_e32 v1, 0x7c, v1
	v_cmp_ne_u32_e32 vcc, s86, v1
                                        ; implicit-def: $vgpr1
	s_and_saveexec_b64 s[62:63], vcc
	s_xor_b64 s[36:37], exec, s[62:63]
	s_cbranch_execz .LBB6_12542
; %bb.12541:                            ;   in Loop: Header=BB6_10588 Depth=4
	buffer_load_dword v40, off, s[0:3], s33 offset:140 ; 4-byte Folded Reload
	buffer_load_dword v41, off, s[0:3], s33 offset:144 ; 4-byte Folded Reload
	v_bfe_u32 v1, v7, 2, 5
	v_ffbh_u32_e32 v7, v2
	v_min_u32_e32 v7, 32, v7
	s_waitcnt vmcnt(0)
	v_mov_b32_e32 v41, v33
	v_subrev_u32_e32 v15, 29, v7
	v_sub_u32_e32 v7, 30, v7
	v_cmp_eq_u32_e32 vcc, 0, v1
	v_cndmask_b32_e32 v1, v1, v7, vcc
	v_lshlrev_b32_e32 v7, 24, v40
	v_lshlrev_b64 v[50:51], v15, v[40:41]
	v_and_b32_e32 v7, 0x80000000, v7
	v_and_b32_e32 v15, 3, v50
	v_cndmask_b32_e32 v2, v2, v15, vcc
	v_lshl_add_u32 v1, v1, 23, v7
	v_lshl_or_b32 v1, v2, 21, v1
	v_add_u32_e32 v1, 0x38000000, v1
                                        ; implicit-def: $vgpr7
                                        ; implicit-def: $vgpr2
	buffer_store_dword v7, off, s[0:3], s33 offset:140 ; 4-byte Folded Spill
	s_nop 0
	buffer_store_dword v8, off, s[0:3], s33 offset:144 ; 4-byte Folded Spill
.LBB6_12542:                            ;   in Loop: Header=BB6_10588 Depth=4
	s_andn2_saveexec_b64 s[36:37], s[36:37]
	s_cbranch_execz .LBB6_12544
; %bb.12543:                            ;   in Loop: Header=BB6_10588 Depth=4
	buffer_load_dword v50, off, s[0:3], s33 offset:140 ; 4-byte Folded Reload
	buffer_load_dword v51, off, s[0:3], s33 offset:144 ; 4-byte Folded Reload
	v_mov_b32_e32 v1, -1
	v_mov_b32_e32 v7, 0x7f800000
	s_waitcnt vmcnt(1)
	v_cmp_gt_i16_sdwa vcc, sext(v50), v1 src0_sel:BYTE_0 src1_sel:DWORD
	v_mov_b32_e32 v1, 0xff800000
	v_cndmask_b32_e32 v1, v1, v7, vcc
	v_cmp_eq_u32_e32 vcc, 0, v2
	v_mov_b32_e32 v2, 0x7f800001
	v_cndmask_b32_e32 v1, v2, v1, vcc
.LBB6_12544:                            ;   in Loop: Header=BB6_10588 Depth=4
	s_or_b64 exec, exec, s[36:37]
.LBB6_12545:                            ;   in Loop: Header=BB6_10588 Depth=4
	s_or_b64 exec, exec, s[34:35]
.LBB6_12546:                            ;   in Loop: Header=BB6_10588 Depth=4
	s_or_b64 exec, exec, s[28:29]
	v_cmp_ne_u16_e32 vcc, 0, v14
	s_and_saveexec_b64 s[28:29], vcc
	s_cbranch_execz .LBB6_12554
; %bb.12547:                            ;   in Loop: Header=BB6_10588 Depth=4
	v_cmp_ne_u16_e32 vcc, s46, v14
	v_bfrev_b32_e32 v0, 1
	s_and_saveexec_b64 s[34:35], vcc
	s_cbranch_execz .LBB6_12553
; %bb.12548:                            ;   in Loop: Header=BB6_10588 Depth=4
	v_and_b32_e32 v0, 0x7c, v14
	v_and_b32_e32 v2, 3, v14
	v_cmp_ne_u32_e32 vcc, s86, v0
                                        ; implicit-def: $vgpr0
	s_and_saveexec_b64 s[62:63], vcc
	s_xor_b64 s[36:37], exec, s[62:63]
	s_cbranch_execz .LBB6_12550
; %bb.12549:                            ;   in Loop: Header=BB6_10588 Depth=4
	v_ffbh_u32_e32 v7, v2
	v_min_u32_e32 v7, 32, v7
	v_and_b32_e32 v0, 0xff, v14
	v_mov_b32_e32 v15, v33
	v_subrev_u32_e32 v19, 29, v7
	v_bfe_u32 v0, v0, 2, 5
	s_waitcnt vmcnt(0)
	v_lshlrev_b64 v[50:51], v19, v[14:15]
	v_sub_u32_e32 v7, 30, v7
	v_cmp_eq_u32_e32 vcc, 0, v0
	v_and_b32_e32 v15, 3, v50
	v_cndmask_b32_e32 v0, v0, v7, vcc
	v_and_b32_sdwa v7, sext(v14), s87 dst_sel:DWORD dst_unused:UNUSED_PAD src0_sel:WORD_0 src1_sel:DWORD
	v_cndmask_b32_e32 v2, v2, v15, vcc
	v_lshl_add_u32 v0, v0, 23, v7
	v_lshl_or_b32 v0, v2, 21, v0
	v_add_u32_e32 v0, 0x38000000, v0
                                        ; implicit-def: $vgpr2
                                        ; implicit-def: $vgpr14
.LBB6_12550:                            ;   in Loop: Header=BB6_10588 Depth=4
	s_andn2_saveexec_b64 s[36:37], s[36:37]
; %bb.12551:                            ;   in Loop: Header=BB6_10588 Depth=4
	v_cmp_lt_i16_e32 vcc, -1, v14
	v_mov_b32_e32 v0, 0xff800000
	v_mov_b32_e32 v7, 0x7f800000
	v_cndmask_b32_e32 v0, v0, v7, vcc
	v_cmp_eq_u32_e32 vcc, 0, v2
	v_mov_b32_e32 v2, 0x7f800001
	v_cndmask_b32_e32 v0, v2, v0, vcc
; %bb.12552:                            ;   in Loop: Header=BB6_10588 Depth=4
	s_or_b64 exec, exec, s[36:37]
.LBB6_12553:                            ;   in Loop: Header=BB6_10588 Depth=4
	s_or_b64 exec, exec, s[34:35]
.LBB6_12554:                            ;   in Loop: Header=BB6_10588 Depth=4
	s_or_b64 exec, exec, s[28:29]
	v_add_f32_e32 v0, v1, v0
	v_and_b32_e32 v1, 0x7f800000, v0
	v_mov_b32_e32 v2, v33
	v_cmp_ne_u64_e32 vcc, s[76:77], v[1:2]
	v_and_b32_e32 v32, 0x7fffff, v0
                                        ; implicit-def: $vgpr14
	s_and_saveexec_b64 s[28:29], vcc
	s_xor_b64 s[34:35], exec, s[28:29]
	s_cbranch_execz .LBB6_12572
; %bb.12555:                            ;   in Loop: Header=BB6_10588 Depth=4
	v_and_b32_e32 v1, 0x7fffffff, v0
	v_mov_b32_e32 v2, v33
	v_cmp_gt_u64_e32 vcc, s[78:79], v[1:2]
	v_and_b32_sdwa v7, v0, s97 dst_sel:DWORD dst_unused:UNUSED_PAD src0_sel:BYTE_3 src1_sel:DWORD
                                        ; implicit-def: $vgpr14
	s_and_saveexec_b64 s[28:29], vcc
	s_xor_b64 s[36:37], exec, s[28:29]
	s_cbranch_execz .LBB6_12569
; %bb.12556:                            ;   in Loop: Header=BB6_10588 Depth=4
	v_cmp_ne_u32_e32 vcc, 0, v0
	v_mov_b32_e32 v14, 0
	s_and_saveexec_b64 s[38:39], vcc
	s_cbranch_execz .LBB6_12568
; %bb.12557:                            ;   in Loop: Header=BB6_10588 Depth=4
	v_bfe_u32 v14, v0, 23, 8
	v_cmp_gt_u32_e64 s[28:29], s47, v14
	v_sub_u32_e32 v0, 0x71, v14
	v_cmp_eq_u32_e32 vcc, 0, v14
	v_cndmask_b32_e64 v0, 0, v0, s[28:29]
	v_mov_b32_e32 v2, 0x70
	v_cndmask_b32_e32 v15, v0, v2, vcc
	v_add_u32_e32 v2, 21, v15
	v_or_b32_e32 v1, 0x800000, v32
	s_waitcnt vmcnt(0)
	v_lshlrev_b64 v[50:51], v2, -1
	v_cndmask_b32_e32 v0, v1, v32, vcc
	v_mov_b32_e32 v1, v33
	v_add_u32_e32 v2, 20, v15
	v_bfi_b32 v50, v50, 0, v0
	v_lshlrev_b64 v[53:54], v2, 1
	v_lshrrev_b64 v[0:1], v15, v[0:1]
	v_bfi_b32 v51, v51, 0, 0
	v_cmp_eq_u64_e64 s[28:29], v[50:51], v[53:54]
	v_mov_b32_e32 v2, v1
	v_mov_b32_e32 v1, v0
	s_and_saveexec_b64 s[48:49], s[28:29]
; %bb.12558:                            ;   in Loop: Header=BB6_10588 Depth=4
	v_bfe_u32 v1, v0, 21, 1
	v_add_co_u32_e64 v1, s[28:29], v0, v1
	v_add_co_u32_e64 v1, s[28:29], -1, v1
; %bb.12559:                            ;   in Loop: Header=BB6_10588 Depth=4
	s_or_b64 exec, exec, s[48:49]
	v_add_u32_e32 v2, 0xffffff81, v14
	v_mov_b32_e32 v14, 0xffffff82
	v_cndmask_b32_e32 v2, v2, v14, vcc
	v_lshrrev_b32_e32 v14, 23, v0
	v_add3_u32 v15, v15, v2, v14
	v_add_u32_e32 v14, 14, v15
	v_and_b32_e32 v1, 0x1fffff, v1
	v_add_u32_e32 v32, v1, v0
	v_cmp_ne_u32_e32 vcc, 0, v14
                                        ; implicit-def: $vgpr0_vgpr1
                                        ; implicit-def: $vgpr2
	s_and_saveexec_b64 s[28:29], vcc
	s_xor_b64 s[28:29], exec, s[28:29]
; %bb.12560:                            ;   in Loop: Header=BB6_10588 Depth=4
	v_cmp_lt_u64_e32 vcc, s[88:89], v[32:33]
	v_add_u32_e32 v0, 15, v15
	v_cndmask_b32_e32 v2, v14, v0, vcc
	v_cndmask_b32_e64 v0, 0, 1, vcc
	v_lshrrev_b64 v[0:1], v0, v[32:33]
; %bb.12561:                            ;   in Loop: Header=BB6_10588 Depth=4
	s_or_saveexec_b64 s[28:29], s[28:29]
	buffer_load_dword v54, off, s[0:3], s33 offset:268 ; 4-byte Folded Reload
	buffer_load_dword v55, off, s[0:3], s33 offset:272 ; 4-byte Folded Reload
	s_xor_b64 exec, exec, s[28:29]
; %bb.12562:                            ;   in Loop: Header=BB6_10588 Depth=4
	v_mov_b32_e32 v0, v32
	v_mov_b32_e32 v1, v33
	v_bfe_u32 v2, v32, 23, 1
; %bb.12563:                            ;   in Loop: Header=BB6_10588 Depth=4
	s_or_b64 exec, exec, s[28:29]
	v_lshrrev_b64 v[0:1], 21, v[0:1]
	v_cmp_gt_i32_e32 vcc, 32, v2
	v_cndmask_b32_e32 v1, 0, v1, vcc
	v_cndmask_b32_e32 v0, 3, v0, vcc
	v_cmp_ne_u64_e32 vcc, 0, v[0:1]
	v_cmp_ne_u32_e64 s[28:29], 0, v2
	s_or_b64 s[28:29], s[28:29], vcc
                                        ; implicit-def: $vgpr14
	s_and_saveexec_b64 s[62:63], s[28:29]
	s_xor_b64 s[28:29], exec, s[62:63]
; %bb.12564:                            ;   in Loop: Header=BB6_10588 Depth=4
	v_min_i32_e32 v1, 31, v2
	v_lshl_or_b32 v1, v1, 2, v7
	v_and_or_b32 v14, v0, 3, v1
                                        ; implicit-def: $vgpr7
; %bb.12565:                            ;   in Loop: Header=BB6_10588 Depth=4
	s_andn2_saveexec_b64 s[28:29], s[28:29]
; %bb.12566:                            ;   in Loop: Header=BB6_10588 Depth=4
	v_mov_b32_e32 v14, v7
; %bb.12567:                            ;   in Loop: Header=BB6_10588 Depth=4
	s_or_b64 exec, exec, s[28:29]
.LBB6_12568:                            ;   in Loop: Header=BB6_10588 Depth=4
	s_or_b64 exec, exec, s[38:39]
                                        ; implicit-def: $vgpr7
.LBB6_12569:                            ;   in Loop: Header=BB6_10588 Depth=4
	s_andn2_saveexec_b64 s[28:29], s[36:37]
; %bb.12570:                            ;   in Loop: Header=BB6_10588 Depth=4
	v_or_b32_e32 v14, 0x7b, v7
; %bb.12571:                            ;   in Loop: Header=BB6_10588 Depth=4
	s_or_b64 exec, exec, s[28:29]
                                        ; implicit-def: $vgpr0
.LBB6_12572:                            ;   in Loop: Header=BB6_10588 Depth=4
	s_andn2_saveexec_b64 s[28:29], s[34:35]
	s_cbranch_execz .LBB6_12578
; %bb.12573:                            ;   in Loop: Header=BB6_10588 Depth=4
	v_cmp_ne_u64_e32 vcc, 0, v[32:33]
                                        ; implicit-def: $vgpr14
	s_and_saveexec_b64 s[62:63], vcc
	s_xor_b64 vcc, exec, s[62:63]
; %bb.12574:                            ;   in Loop: Header=BB6_10588 Depth=4
	v_or_b32_sdwa v14, v0, s44 dst_sel:DWORD dst_unused:UNUSED_PAD src0_sel:BYTE_3 src1_sel:DWORD
                                        ; implicit-def: $vgpr0
; %bb.12575:                            ;   in Loop: Header=BB6_10588 Depth=4
	s_andn2_saveexec_b64 s[34:35], vcc
; %bb.12576:                            ;   in Loop: Header=BB6_10588 Depth=4
	v_cmp_lt_i32_e32 vcc, -1, v0
	v_mov_b32_e32 v0, 0x7c
	v_cndmask_b32_e32 v14, -4, v0, vcc
; %bb.12577:                            ;   in Loop: Header=BB6_10588 Depth=4
	s_or_b64 exec, exec, s[34:35]
.LBB6_12578:                            ;   in Loop: Header=BB6_10588 Depth=4
	s_or_b64 exec, exec, s[28:29]
	buffer_load_dword v0, off, s[0:3], s33 offset:132 ; 4-byte Folded Reload
	buffer_load_dword v1, off, s[0:3], s33 offset:136 ; 4-byte Folded Reload
	s_waitcnt vmcnt(0)
	v_mov_b32_e32 v1, 0
	v_and_b32_e32 v7, 0xff, v0
	v_cmp_ne_u16_e32 vcc, 0, v7
	v_mov_b32_e32 v0, 0
	s_and_saveexec_b64 s[28:29], vcc
	s_cbranch_execz .LBB6_12586
; %bb.12579:                            ;   in Loop: Header=BB6_10588 Depth=4
	v_cmp_ne_u16_e32 vcc, s97, v7
	v_bfrev_b32_e32 v1, 1
	s_and_saveexec_b64 s[34:35], vcc
	s_cbranch_execz .LBB6_12585
; %bb.12580:                            ;   in Loop: Header=BB6_10588 Depth=4
	buffer_load_dword v1, off, s[0:3], s33 offset:132 ; 4-byte Folded Reload
	buffer_load_dword v2, off, s[0:3], s33 offset:136 ; 4-byte Folded Reload
	s_waitcnt vmcnt(0)
	v_and_b32_e32 v2, 3, v1
	v_and_b32_e32 v1, 0x7c, v1
	v_cmp_ne_u32_e32 vcc, s86, v1
                                        ; implicit-def: $vgpr1
	s_and_saveexec_b64 s[62:63], vcc
	s_xor_b64 s[36:37], exec, s[62:63]
	s_cbranch_execz .LBB6_12582
; %bb.12581:                            ;   in Loop: Header=BB6_10588 Depth=4
	buffer_load_dword v40, off, s[0:3], s33 offset:132 ; 4-byte Folded Reload
	buffer_load_dword v41, off, s[0:3], s33 offset:136 ; 4-byte Folded Reload
	v_bfe_u32 v1, v7, 2, 5
	v_ffbh_u32_e32 v7, v2
	v_min_u32_e32 v7, 32, v7
	s_waitcnt vmcnt(0)
	v_mov_b32_e32 v41, v33
	v_subrev_u32_e32 v15, 29, v7
	v_sub_u32_e32 v7, 30, v7
	v_cmp_eq_u32_e32 vcc, 0, v1
	v_cndmask_b32_e32 v1, v1, v7, vcc
	v_lshlrev_b32_e32 v7, 24, v40
	v_lshlrev_b64 v[50:51], v15, v[40:41]
	v_and_b32_e32 v7, 0x80000000, v7
	v_and_b32_e32 v15, 3, v50
	v_cndmask_b32_e32 v2, v2, v15, vcc
	v_lshl_add_u32 v1, v1, 23, v7
	v_lshl_or_b32 v1, v2, 21, v1
	v_add_u32_e32 v1, 0x38000000, v1
                                        ; implicit-def: $vgpr7
                                        ; implicit-def: $vgpr2
	buffer_store_dword v7, off, s[0:3], s33 offset:132 ; 4-byte Folded Spill
	s_nop 0
	buffer_store_dword v8, off, s[0:3], s33 offset:136 ; 4-byte Folded Spill
.LBB6_12582:                            ;   in Loop: Header=BB6_10588 Depth=4
	s_andn2_saveexec_b64 s[36:37], s[36:37]
	s_cbranch_execz .LBB6_12584
; %bb.12583:                            ;   in Loop: Header=BB6_10588 Depth=4
	buffer_load_dword v50, off, s[0:3], s33 offset:132 ; 4-byte Folded Reload
	buffer_load_dword v51, off, s[0:3], s33 offset:136 ; 4-byte Folded Reload
	v_mov_b32_e32 v1, -1
	v_mov_b32_e32 v7, 0x7f800000
	s_waitcnt vmcnt(1)
	v_cmp_gt_i16_sdwa vcc, sext(v50), v1 src0_sel:BYTE_0 src1_sel:DWORD
	v_mov_b32_e32 v1, 0xff800000
	v_cndmask_b32_e32 v1, v1, v7, vcc
	v_cmp_eq_u32_e32 vcc, 0, v2
	v_mov_b32_e32 v2, 0x7f800001
	v_cndmask_b32_e32 v1, v2, v1, vcc
.LBB6_12584:                            ;   in Loop: Header=BB6_10588 Depth=4
	s_or_b64 exec, exec, s[36:37]
.LBB6_12585:                            ;   in Loop: Header=BB6_10588 Depth=4
	s_or_b64 exec, exec, s[34:35]
.LBB6_12586:                            ;   in Loop: Header=BB6_10588 Depth=4
	s_or_b64 exec, exec, s[28:29]
	v_cmp_ne_u16_e32 vcc, 0, v44
	s_and_saveexec_b64 s[28:29], vcc
	s_cbranch_execz .LBB6_12594
; %bb.12587:                            ;   in Loop: Header=BB6_10588 Depth=4
	v_cmp_ne_u16_e32 vcc, s46, v44
	v_bfrev_b32_e32 v0, 1
	s_and_saveexec_b64 s[34:35], vcc
	s_cbranch_execz .LBB6_12593
; %bb.12588:                            ;   in Loop: Header=BB6_10588 Depth=4
	v_and_b32_e32 v0, 0x7c, v44
	v_and_b32_e32 v2, 3, v44
	v_cmp_ne_u32_e32 vcc, s86, v0
                                        ; implicit-def: $vgpr0
	s_and_saveexec_b64 s[62:63], vcc
	s_xor_b64 s[36:37], exec, s[62:63]
	s_cbranch_execz .LBB6_12590
; %bb.12589:                            ;   in Loop: Header=BB6_10588 Depth=4
	v_ffbh_u32_e32 v7, v2
	v_min_u32_e32 v7, 32, v7
	v_and_b32_e32 v0, 0xff, v44
	v_mov_b32_e32 v19, v45
	v_mov_b32_e32 v45, v33
	v_subrev_u32_e32 v15, 29, v7
	v_bfe_u32 v0, v0, 2, 5
	s_waitcnt vmcnt(0)
	v_lshlrev_b64 v[50:51], v15, v[44:45]
	v_sub_u32_e32 v7, 30, v7
	v_cmp_eq_u32_e32 vcc, 0, v0
	v_and_b32_e32 v15, 3, v50
	v_cndmask_b32_e32 v0, v0, v7, vcc
	v_and_b32_sdwa v7, sext(v44), s87 dst_sel:DWORD dst_unused:UNUSED_PAD src0_sel:WORD_0 src1_sel:DWORD
	v_cndmask_b32_e32 v2, v2, v15, vcc
	v_lshl_add_u32 v0, v0, 23, v7
	v_lshl_or_b32 v0, v2, 21, v0
	v_mov_b32_e32 v45, v19
	v_add_u32_e32 v0, 0x38000000, v0
                                        ; implicit-def: $vgpr2
                                        ; implicit-def: $vgpr44
.LBB6_12590:                            ;   in Loop: Header=BB6_10588 Depth=4
	s_andn2_saveexec_b64 s[36:37], s[36:37]
; %bb.12591:                            ;   in Loop: Header=BB6_10588 Depth=4
	v_cmp_lt_i16_e32 vcc, -1, v44
	v_mov_b32_e32 v0, 0xff800000
	v_mov_b32_e32 v7, 0x7f800000
	v_cndmask_b32_e32 v0, v0, v7, vcc
	v_cmp_eq_u32_e32 vcc, 0, v2
	v_mov_b32_e32 v2, 0x7f800001
	v_cndmask_b32_e32 v0, v2, v0, vcc
; %bb.12592:                            ;   in Loop: Header=BB6_10588 Depth=4
	s_or_b64 exec, exec, s[36:37]
.LBB6_12593:                            ;   in Loop: Header=BB6_10588 Depth=4
	s_or_b64 exec, exec, s[34:35]
.LBB6_12594:                            ;   in Loop: Header=BB6_10588 Depth=4
	s_or_b64 exec, exec, s[28:29]
	v_add_f32_e32 v0, v1, v0
	v_and_b32_e32 v1, 0x7f800000, v0
	v_mov_b32_e32 v2, v33
	v_cmp_ne_u64_e32 vcc, s[76:77], v[1:2]
	v_and_b32_e32 v32, 0x7fffff, v0
                                        ; implicit-def: $vgpr15
	s_and_saveexec_b64 s[28:29], vcc
	s_xor_b64 s[34:35], exec, s[28:29]
	s_cbranch_execz .LBB6_12612
; %bb.12595:                            ;   in Loop: Header=BB6_10588 Depth=4
	v_and_b32_e32 v1, 0x7fffffff, v0
	v_mov_b32_e32 v2, v33
	v_cmp_gt_u64_e32 vcc, s[78:79], v[1:2]
	v_and_b32_sdwa v7, v0, s97 dst_sel:DWORD dst_unused:UNUSED_PAD src0_sel:BYTE_3 src1_sel:DWORD
                                        ; implicit-def: $vgpr15
	s_and_saveexec_b64 s[28:29], vcc
	s_xor_b64 s[36:37], exec, s[28:29]
	s_cbranch_execz .LBB6_12609
; %bb.12596:                            ;   in Loop: Header=BB6_10588 Depth=4
	v_cmp_ne_u32_e32 vcc, 0, v0
	v_mov_b32_e32 v15, 0
	s_and_saveexec_b64 s[38:39], vcc
	s_cbranch_execz .LBB6_12608
; %bb.12597:                            ;   in Loop: Header=BB6_10588 Depth=4
	v_bfe_u32 v15, v0, 23, 8
	v_cmp_gt_u32_e64 s[28:29], s47, v15
	v_sub_u32_e32 v0, 0x71, v15
	v_cmp_eq_u32_e32 vcc, 0, v15
	v_cndmask_b32_e64 v0, 0, v0, s[28:29]
	v_mov_b32_e32 v2, 0x70
	v_cndmask_b32_e32 v19, v0, v2, vcc
	v_add_u32_e32 v2, 21, v19
	v_or_b32_e32 v1, 0x800000, v32
	s_waitcnt vmcnt(0)
	v_lshlrev_b64 v[50:51], v2, -1
	v_cndmask_b32_e32 v0, v1, v32, vcc
	v_mov_b32_e32 v1, v33
	v_add_u32_e32 v2, 20, v19
	v_bfi_b32 v50, v50, 0, v0
	v_lshlrev_b64 v[53:54], v2, 1
	v_lshrrev_b64 v[0:1], v19, v[0:1]
	v_bfi_b32 v51, v51, 0, 0
	v_cmp_eq_u64_e64 s[28:29], v[50:51], v[53:54]
	v_mov_b32_e32 v2, v1
	v_mov_b32_e32 v1, v0
	s_and_saveexec_b64 s[48:49], s[28:29]
; %bb.12598:                            ;   in Loop: Header=BB6_10588 Depth=4
	v_bfe_u32 v1, v0, 21, 1
	v_add_co_u32_e64 v1, s[28:29], v0, v1
	v_add_co_u32_e64 v1, s[28:29], -1, v1
; %bb.12599:                            ;   in Loop: Header=BB6_10588 Depth=4
	s_or_b64 exec, exec, s[48:49]
	v_add_u32_e32 v2, 0xffffff81, v15
	v_mov_b32_e32 v15, 0xffffff82
	v_cndmask_b32_e32 v2, v2, v15, vcc
	v_lshrrev_b32_e32 v15, 23, v0
	v_add3_u32 v19, v19, v2, v15
	v_add_u32_e32 v15, 14, v19
	v_and_b32_e32 v1, 0x1fffff, v1
	v_add_u32_e32 v32, v1, v0
	v_cmp_ne_u32_e32 vcc, 0, v15
                                        ; implicit-def: $vgpr0_vgpr1
                                        ; implicit-def: $vgpr2
	s_and_saveexec_b64 s[28:29], vcc
	s_xor_b64 s[28:29], exec, s[28:29]
; %bb.12600:                            ;   in Loop: Header=BB6_10588 Depth=4
	v_cmp_lt_u64_e32 vcc, s[88:89], v[32:33]
	v_add_u32_e32 v0, 15, v19
	v_cndmask_b32_e32 v2, v15, v0, vcc
	v_cndmask_b32_e64 v0, 0, 1, vcc
	v_lshrrev_b64 v[0:1], v0, v[32:33]
; %bb.12601:                            ;   in Loop: Header=BB6_10588 Depth=4
	s_or_saveexec_b64 s[28:29], s[28:29]
	buffer_load_dword v54, off, s[0:3], s33 offset:268 ; 4-byte Folded Reload
	buffer_load_dword v55, off, s[0:3], s33 offset:272 ; 4-byte Folded Reload
	s_xor_b64 exec, exec, s[28:29]
; %bb.12602:                            ;   in Loop: Header=BB6_10588 Depth=4
	v_mov_b32_e32 v0, v32
	v_mov_b32_e32 v1, v33
	v_bfe_u32 v2, v32, 23, 1
; %bb.12603:                            ;   in Loop: Header=BB6_10588 Depth=4
	s_or_b64 exec, exec, s[28:29]
	v_lshrrev_b64 v[0:1], 21, v[0:1]
	v_cmp_gt_i32_e32 vcc, 32, v2
	v_cndmask_b32_e32 v1, 0, v1, vcc
	v_cndmask_b32_e32 v0, 3, v0, vcc
	v_cmp_ne_u64_e32 vcc, 0, v[0:1]
	v_cmp_ne_u32_e64 s[28:29], 0, v2
	s_or_b64 s[28:29], s[28:29], vcc
                                        ; implicit-def: $vgpr15
	s_and_saveexec_b64 s[62:63], s[28:29]
	s_xor_b64 s[28:29], exec, s[62:63]
; %bb.12604:                            ;   in Loop: Header=BB6_10588 Depth=4
	v_min_i32_e32 v1, 31, v2
	v_lshl_or_b32 v1, v1, 2, v7
	v_and_or_b32 v15, v0, 3, v1
                                        ; implicit-def: $vgpr7
; %bb.12605:                            ;   in Loop: Header=BB6_10588 Depth=4
	s_andn2_saveexec_b64 s[28:29], s[28:29]
; %bb.12606:                            ;   in Loop: Header=BB6_10588 Depth=4
	v_mov_b32_e32 v15, v7
; %bb.12607:                            ;   in Loop: Header=BB6_10588 Depth=4
	s_or_b64 exec, exec, s[28:29]
.LBB6_12608:                            ;   in Loop: Header=BB6_10588 Depth=4
	s_or_b64 exec, exec, s[38:39]
                                        ; implicit-def: $vgpr7
.LBB6_12609:                            ;   in Loop: Header=BB6_10588 Depth=4
	s_andn2_saveexec_b64 s[28:29], s[36:37]
; %bb.12610:                            ;   in Loop: Header=BB6_10588 Depth=4
	v_or_b32_e32 v15, 0x7b, v7
; %bb.12611:                            ;   in Loop: Header=BB6_10588 Depth=4
	s_or_b64 exec, exec, s[28:29]
                                        ; implicit-def: $vgpr0
.LBB6_12612:                            ;   in Loop: Header=BB6_10588 Depth=4
	s_andn2_saveexec_b64 s[28:29], s[34:35]
	s_cbranch_execz .LBB6_12618
; %bb.12613:                            ;   in Loop: Header=BB6_10588 Depth=4
	v_cmp_ne_u64_e32 vcc, 0, v[32:33]
                                        ; implicit-def: $vgpr15
	s_and_saveexec_b64 s[62:63], vcc
	s_xor_b64 vcc, exec, s[62:63]
; %bb.12614:                            ;   in Loop: Header=BB6_10588 Depth=4
	v_or_b32_sdwa v15, v0, s44 dst_sel:DWORD dst_unused:UNUSED_PAD src0_sel:BYTE_3 src1_sel:DWORD
                                        ; implicit-def: $vgpr0
; %bb.12615:                            ;   in Loop: Header=BB6_10588 Depth=4
	s_andn2_saveexec_b64 s[34:35], vcc
; %bb.12616:                            ;   in Loop: Header=BB6_10588 Depth=4
	v_cmp_lt_i32_e32 vcc, -1, v0
	v_mov_b32_e32 v0, 0x7c
	v_cndmask_b32_e32 v15, -4, v0, vcc
; %bb.12617:                            ;   in Loop: Header=BB6_10588 Depth=4
	s_or_b64 exec, exec, s[34:35]
.LBB6_12618:                            ;   in Loop: Header=BB6_10588 Depth=4
	s_or_b64 exec, exec, s[28:29]
	buffer_load_dword v0, off, s[0:3], s33 offset:124 ; 4-byte Folded Reload
	buffer_load_dword v1, off, s[0:3], s33 offset:128 ; 4-byte Folded Reload
	s_waitcnt vmcnt(0)
	v_mov_b32_e32 v1, 0
	v_and_b32_e32 v7, 0xff, v0
	v_cmp_ne_u16_e32 vcc, 0, v7
	v_mov_b32_e32 v0, 0
	s_and_saveexec_b64 s[28:29], vcc
	s_cbranch_execz .LBB6_12626
; %bb.12619:                            ;   in Loop: Header=BB6_10588 Depth=4
	v_cmp_ne_u16_e32 vcc, s97, v7
	v_bfrev_b32_e32 v1, 1
	s_and_saveexec_b64 s[34:35], vcc
	s_cbranch_execz .LBB6_12625
; %bb.12620:                            ;   in Loop: Header=BB6_10588 Depth=4
	buffer_load_dword v1, off, s[0:3], s33 offset:124 ; 4-byte Folded Reload
	buffer_load_dword v2, off, s[0:3], s33 offset:128 ; 4-byte Folded Reload
	s_waitcnt vmcnt(0)
	v_and_b32_e32 v2, 3, v1
	v_and_b32_e32 v1, 0x7c, v1
	v_cmp_ne_u32_e32 vcc, s86, v1
                                        ; implicit-def: $vgpr1
	s_and_saveexec_b64 s[62:63], vcc
	s_xor_b64 s[36:37], exec, s[62:63]
	s_cbranch_execz .LBB6_12622
; %bb.12621:                            ;   in Loop: Header=BB6_10588 Depth=4
	buffer_load_dword v40, off, s[0:3], s33 offset:124 ; 4-byte Folded Reload
	buffer_load_dword v41, off, s[0:3], s33 offset:128 ; 4-byte Folded Reload
	v_bfe_u32 v1, v7, 2, 5
	v_ffbh_u32_e32 v7, v2
	v_min_u32_e32 v7, 32, v7
	s_waitcnt vmcnt(0)
	v_mov_b32_e32 v41, v33
	v_subrev_u32_e32 v19, 29, v7
	v_sub_u32_e32 v7, 30, v7
	v_cmp_eq_u32_e32 vcc, 0, v1
	v_cndmask_b32_e32 v1, v1, v7, vcc
	v_lshlrev_b32_e32 v7, 24, v40
	v_lshlrev_b64 v[50:51], v19, v[40:41]
	v_and_b32_e32 v7, 0x80000000, v7
	v_and_b32_e32 v19, 3, v50
	v_cndmask_b32_e32 v2, v2, v19, vcc
	v_lshl_add_u32 v1, v1, 23, v7
	v_lshl_or_b32 v1, v2, 21, v1
	v_add_u32_e32 v1, 0x38000000, v1
                                        ; implicit-def: $vgpr7
                                        ; implicit-def: $vgpr2
	buffer_store_dword v7, off, s[0:3], s33 offset:124 ; 4-byte Folded Spill
	s_nop 0
	buffer_store_dword v8, off, s[0:3], s33 offset:128 ; 4-byte Folded Spill
.LBB6_12622:                            ;   in Loop: Header=BB6_10588 Depth=4
	s_andn2_saveexec_b64 s[36:37], s[36:37]
	s_cbranch_execz .LBB6_12624
; %bb.12623:                            ;   in Loop: Header=BB6_10588 Depth=4
	buffer_load_dword v50, off, s[0:3], s33 offset:124 ; 4-byte Folded Reload
	buffer_load_dword v51, off, s[0:3], s33 offset:128 ; 4-byte Folded Reload
	v_mov_b32_e32 v1, -1
	v_mov_b32_e32 v7, 0x7f800000
	s_waitcnt vmcnt(1)
	v_cmp_gt_i16_sdwa vcc, sext(v50), v1 src0_sel:BYTE_0 src1_sel:DWORD
	v_mov_b32_e32 v1, 0xff800000
	v_cndmask_b32_e32 v1, v1, v7, vcc
	v_cmp_eq_u32_e32 vcc, 0, v2
	v_mov_b32_e32 v2, 0x7f800001
	v_cndmask_b32_e32 v1, v2, v1, vcc
.LBB6_12624:                            ;   in Loop: Header=BB6_10588 Depth=4
	s_or_b64 exec, exec, s[36:37]
.LBB6_12625:                            ;   in Loop: Header=BB6_10588 Depth=4
	s_or_b64 exec, exec, s[34:35]
.LBB6_12626:                            ;   in Loop: Header=BB6_10588 Depth=4
	s_or_b64 exec, exec, s[28:29]
	v_cmp_ne_u16_e32 vcc, 0, v39
	s_and_saveexec_b64 s[28:29], vcc
	s_cbranch_execz .LBB6_12634
; %bb.12627:                            ;   in Loop: Header=BB6_10588 Depth=4
	v_cmp_ne_u16_e32 vcc, s46, v39
	v_bfrev_b32_e32 v0, 1
	s_and_saveexec_b64 s[34:35], vcc
	s_cbranch_execz .LBB6_12633
; %bb.12628:                            ;   in Loop: Header=BB6_10588 Depth=4
	v_and_b32_e32 v0, 0x7c, v39
	v_and_b32_e32 v2, 3, v39
	v_cmp_ne_u32_e32 vcc, s86, v0
                                        ; implicit-def: $vgpr0
	s_and_saveexec_b64 s[62:63], vcc
	s_xor_b64 s[36:37], exec, s[62:63]
	s_cbranch_execz .LBB6_12630
; %bb.12629:                            ;   in Loop: Header=BB6_10588 Depth=4
	v_ffbh_u32_e32 v7, v2
	v_min_u32_e32 v7, 32, v7
	v_and_b32_e32 v0, 0xff, v39
	v_mov_b32_e32 v40, v33
	v_subrev_u32_e32 v19, 29, v7
	v_bfe_u32 v0, v0, 2, 5
	s_waitcnt vmcnt(0)
	v_lshlrev_b64 v[50:51], v19, v[39:40]
	v_sub_u32_e32 v7, 30, v7
	v_cmp_eq_u32_e32 vcc, 0, v0
	v_and_b32_e32 v19, 3, v50
	v_cndmask_b32_e32 v0, v0, v7, vcc
	v_and_b32_sdwa v7, sext(v39), s87 dst_sel:DWORD dst_unused:UNUSED_PAD src0_sel:WORD_0 src1_sel:DWORD
	v_cndmask_b32_e32 v2, v2, v19, vcc
	v_lshl_add_u32 v0, v0, 23, v7
	v_lshl_or_b32 v0, v2, 21, v0
	v_add_u32_e32 v0, 0x38000000, v0
                                        ; implicit-def: $vgpr2
                                        ; implicit-def: $vgpr39
.LBB6_12630:                            ;   in Loop: Header=BB6_10588 Depth=4
	s_andn2_saveexec_b64 s[36:37], s[36:37]
; %bb.12631:                            ;   in Loop: Header=BB6_10588 Depth=4
	v_cmp_lt_i16_e32 vcc, -1, v39
	v_mov_b32_e32 v0, 0xff800000
	v_mov_b32_e32 v7, 0x7f800000
	v_cndmask_b32_e32 v0, v0, v7, vcc
	v_cmp_eq_u32_e32 vcc, 0, v2
	v_mov_b32_e32 v2, 0x7f800001
	v_cndmask_b32_e32 v0, v2, v0, vcc
; %bb.12632:                            ;   in Loop: Header=BB6_10588 Depth=4
	s_or_b64 exec, exec, s[36:37]
.LBB6_12633:                            ;   in Loop: Header=BB6_10588 Depth=4
	s_or_b64 exec, exec, s[34:35]
.LBB6_12634:                            ;   in Loop: Header=BB6_10588 Depth=4
	s_or_b64 exec, exec, s[28:29]
	v_add_f32_e32 v0, v1, v0
	v_and_b32_e32 v1, 0x7f800000, v0
	v_mov_b32_e32 v2, v33
	v_cmp_ne_u64_e32 vcc, s[76:77], v[1:2]
	v_and_b32_e32 v32, 0x7fffff, v0
                                        ; implicit-def: $vgpr19
	s_and_saveexec_b64 s[28:29], vcc
	s_xor_b64 s[34:35], exec, s[28:29]
	s_cbranch_execz .LBB6_12652
; %bb.12635:                            ;   in Loop: Header=BB6_10588 Depth=4
	v_and_b32_e32 v1, 0x7fffffff, v0
	v_mov_b32_e32 v2, v33
	v_cmp_gt_u64_e32 vcc, s[78:79], v[1:2]
	v_and_b32_sdwa v7, v0, s97 dst_sel:DWORD dst_unused:UNUSED_PAD src0_sel:BYTE_3 src1_sel:DWORD
                                        ; implicit-def: $vgpr19
	s_and_saveexec_b64 s[28:29], vcc
	s_xor_b64 s[36:37], exec, s[28:29]
	s_cbranch_execz .LBB6_12649
; %bb.12636:                            ;   in Loop: Header=BB6_10588 Depth=4
	v_cmp_ne_u32_e32 vcc, 0, v0
	v_mov_b32_e32 v19, 0
	s_and_saveexec_b64 s[38:39], vcc
	s_cbranch_execz .LBB6_12648
; %bb.12637:                            ;   in Loop: Header=BB6_10588 Depth=4
	v_bfe_u32 v19, v0, 23, 8
	v_cmp_gt_u32_e64 s[28:29], s47, v19
	v_sub_u32_e32 v0, 0x71, v19
	v_cmp_eq_u32_e32 vcc, 0, v19
	v_cndmask_b32_e64 v0, 0, v0, s[28:29]
	v_mov_b32_e32 v2, 0x70
	v_cndmask_b32_e32 v27, v0, v2, vcc
	v_add_u32_e32 v2, 21, v27
	v_or_b32_e32 v1, 0x800000, v32
	s_waitcnt vmcnt(0)
	v_lshlrev_b64 v[50:51], v2, -1
	v_cndmask_b32_e32 v0, v1, v32, vcc
	v_mov_b32_e32 v1, v33
	v_add_u32_e32 v2, 20, v27
	v_bfi_b32 v50, v50, 0, v0
	v_lshlrev_b64 v[53:54], v2, 1
	v_lshrrev_b64 v[0:1], v27, v[0:1]
	v_bfi_b32 v51, v51, 0, 0
	v_cmp_eq_u64_e64 s[28:29], v[50:51], v[53:54]
	v_mov_b32_e32 v2, v1
	v_mov_b32_e32 v1, v0
	s_and_saveexec_b64 s[48:49], s[28:29]
; %bb.12638:                            ;   in Loop: Header=BB6_10588 Depth=4
	v_bfe_u32 v1, v0, 21, 1
	v_add_co_u32_e64 v1, s[28:29], v0, v1
	v_add_co_u32_e64 v1, s[28:29], -1, v1
; %bb.12639:                            ;   in Loop: Header=BB6_10588 Depth=4
	s_or_b64 exec, exec, s[48:49]
	v_add_u32_e32 v2, 0xffffff81, v19
	v_mov_b32_e32 v19, 0xffffff82
	v_cndmask_b32_e32 v2, v2, v19, vcc
	v_lshrrev_b32_e32 v19, 23, v0
	v_add3_u32 v27, v27, v2, v19
	v_add_u32_e32 v19, 14, v27
	v_and_b32_e32 v1, 0x1fffff, v1
	v_add_u32_e32 v32, v1, v0
	v_cmp_ne_u32_e32 vcc, 0, v19
                                        ; implicit-def: $vgpr0_vgpr1
                                        ; implicit-def: $vgpr2
	s_and_saveexec_b64 s[28:29], vcc
	s_xor_b64 s[28:29], exec, s[28:29]
; %bb.12640:                            ;   in Loop: Header=BB6_10588 Depth=4
	v_cmp_lt_u64_e32 vcc, s[88:89], v[32:33]
	v_add_u32_e32 v0, 15, v27
	v_cndmask_b32_e32 v2, v19, v0, vcc
	v_cndmask_b32_e64 v0, 0, 1, vcc
	v_lshrrev_b64 v[0:1], v0, v[32:33]
; %bb.12641:                            ;   in Loop: Header=BB6_10588 Depth=4
	s_or_saveexec_b64 s[28:29], s[28:29]
	buffer_load_dword v54, off, s[0:3], s33 offset:268 ; 4-byte Folded Reload
	buffer_load_dword v55, off, s[0:3], s33 offset:272 ; 4-byte Folded Reload
	s_xor_b64 exec, exec, s[28:29]
; %bb.12642:                            ;   in Loop: Header=BB6_10588 Depth=4
	v_mov_b32_e32 v0, v32
	v_mov_b32_e32 v1, v33
	v_bfe_u32 v2, v32, 23, 1
; %bb.12643:                            ;   in Loop: Header=BB6_10588 Depth=4
	s_or_b64 exec, exec, s[28:29]
	v_lshrrev_b64 v[0:1], 21, v[0:1]
	v_cmp_gt_i32_e32 vcc, 32, v2
	v_cndmask_b32_e32 v1, 0, v1, vcc
	v_cndmask_b32_e32 v0, 3, v0, vcc
	v_cmp_ne_u64_e32 vcc, 0, v[0:1]
	v_cmp_ne_u32_e64 s[28:29], 0, v2
	s_or_b64 s[28:29], s[28:29], vcc
                                        ; implicit-def: $vgpr19
	s_and_saveexec_b64 s[62:63], s[28:29]
	s_xor_b64 s[28:29], exec, s[62:63]
; %bb.12644:                            ;   in Loop: Header=BB6_10588 Depth=4
	v_min_i32_e32 v1, 31, v2
	v_lshl_or_b32 v1, v1, 2, v7
	v_and_or_b32 v19, v0, 3, v1
                                        ; implicit-def: $vgpr7
; %bb.12645:                            ;   in Loop: Header=BB6_10588 Depth=4
	s_andn2_saveexec_b64 s[28:29], s[28:29]
; %bb.12646:                            ;   in Loop: Header=BB6_10588 Depth=4
	v_mov_b32_e32 v19, v7
; %bb.12647:                            ;   in Loop: Header=BB6_10588 Depth=4
	s_or_b64 exec, exec, s[28:29]
.LBB6_12648:                            ;   in Loop: Header=BB6_10588 Depth=4
	s_or_b64 exec, exec, s[38:39]
                                        ; implicit-def: $vgpr7
.LBB6_12649:                            ;   in Loop: Header=BB6_10588 Depth=4
	s_andn2_saveexec_b64 s[28:29], s[36:37]
; %bb.12650:                            ;   in Loop: Header=BB6_10588 Depth=4
	v_or_b32_e32 v19, 0x7b, v7
; %bb.12651:                            ;   in Loop: Header=BB6_10588 Depth=4
	s_or_b64 exec, exec, s[28:29]
                                        ; implicit-def: $vgpr0
.LBB6_12652:                            ;   in Loop: Header=BB6_10588 Depth=4
	s_andn2_saveexec_b64 s[28:29], s[34:35]
	s_cbranch_execz .LBB6_12658
; %bb.12653:                            ;   in Loop: Header=BB6_10588 Depth=4
	v_cmp_ne_u64_e32 vcc, 0, v[32:33]
                                        ; implicit-def: $vgpr19
	s_and_saveexec_b64 s[62:63], vcc
	s_xor_b64 vcc, exec, s[62:63]
; %bb.12654:                            ;   in Loop: Header=BB6_10588 Depth=4
	v_or_b32_sdwa v19, v0, s44 dst_sel:DWORD dst_unused:UNUSED_PAD src0_sel:BYTE_3 src1_sel:DWORD
                                        ; implicit-def: $vgpr0
; %bb.12655:                            ;   in Loop: Header=BB6_10588 Depth=4
	s_andn2_saveexec_b64 s[34:35], vcc
; %bb.12656:                            ;   in Loop: Header=BB6_10588 Depth=4
	v_cmp_lt_i32_e32 vcc, -1, v0
	v_mov_b32_e32 v0, 0x7c
	v_cndmask_b32_e32 v19, -4, v0, vcc
; %bb.12657:                            ;   in Loop: Header=BB6_10588 Depth=4
	s_or_b64 exec, exec, s[34:35]
.LBB6_12658:                            ;   in Loop: Header=BB6_10588 Depth=4
	s_or_b64 exec, exec, s[28:29]
	buffer_load_dword v0, off, s[0:3], s33 offset:116 ; 4-byte Folded Reload
	buffer_load_dword v1, off, s[0:3], s33 offset:120 ; 4-byte Folded Reload
	s_waitcnt vmcnt(0)
	v_mov_b32_e32 v1, 0
	v_and_b32_e32 v7, 0xff, v0
	v_cmp_ne_u16_e32 vcc, 0, v7
	v_mov_b32_e32 v0, 0
	s_and_saveexec_b64 s[28:29], vcc
	s_cbranch_execz .LBB6_12666
; %bb.12659:                            ;   in Loop: Header=BB6_10588 Depth=4
	v_cmp_ne_u16_e32 vcc, s97, v7
	v_bfrev_b32_e32 v1, 1
	s_and_saveexec_b64 s[34:35], vcc
	s_cbranch_execz .LBB6_12665
; %bb.12660:                            ;   in Loop: Header=BB6_10588 Depth=4
	buffer_load_dword v1, off, s[0:3], s33 offset:116 ; 4-byte Folded Reload
	buffer_load_dword v2, off, s[0:3], s33 offset:120 ; 4-byte Folded Reload
	s_waitcnt vmcnt(0)
	v_and_b32_e32 v2, 3, v1
	v_and_b32_e32 v1, 0x7c, v1
	v_cmp_ne_u32_e32 vcc, s86, v1
                                        ; implicit-def: $vgpr1
	s_and_saveexec_b64 s[62:63], vcc
	s_xor_b64 s[36:37], exec, s[62:63]
	s_cbranch_execz .LBB6_12662
; %bb.12661:                            ;   in Loop: Header=BB6_10588 Depth=4
	buffer_load_dword v39, off, s[0:3], s33 offset:116 ; 4-byte Folded Reload
	buffer_load_dword v40, off, s[0:3], s33 offset:120 ; 4-byte Folded Reload
	v_bfe_u32 v1, v7, 2, 5
	v_ffbh_u32_e32 v7, v2
	v_min_u32_e32 v7, 32, v7
	s_waitcnt vmcnt(0)
	v_mov_b32_e32 v40, v33
	v_subrev_u32_e32 v27, 29, v7
	v_sub_u32_e32 v7, 30, v7
	v_cmp_eq_u32_e32 vcc, 0, v1
	v_cndmask_b32_e32 v1, v1, v7, vcc
	v_lshlrev_b32_e32 v7, 24, v39
	v_lshlrev_b64 v[50:51], v27, v[39:40]
	v_and_b32_e32 v7, 0x80000000, v7
	v_and_b32_e32 v27, 3, v50
	v_cndmask_b32_e32 v2, v2, v27, vcc
	v_lshl_add_u32 v1, v1, 23, v7
	v_lshl_or_b32 v1, v2, 21, v1
	v_add_u32_e32 v1, 0x38000000, v1
                                        ; implicit-def: $vgpr7
                                        ; implicit-def: $vgpr2
	buffer_store_dword v7, off, s[0:3], s33 offset:116 ; 4-byte Folded Spill
	s_nop 0
	buffer_store_dword v8, off, s[0:3], s33 offset:120 ; 4-byte Folded Spill
.LBB6_12662:                            ;   in Loop: Header=BB6_10588 Depth=4
	s_andn2_saveexec_b64 s[36:37], s[36:37]
	s_cbranch_execz .LBB6_12664
; %bb.12663:                            ;   in Loop: Header=BB6_10588 Depth=4
	buffer_load_dword v50, off, s[0:3], s33 offset:116 ; 4-byte Folded Reload
	buffer_load_dword v51, off, s[0:3], s33 offset:120 ; 4-byte Folded Reload
	v_mov_b32_e32 v1, -1
	v_mov_b32_e32 v7, 0x7f800000
	s_waitcnt vmcnt(1)
	v_cmp_gt_i16_sdwa vcc, sext(v50), v1 src0_sel:BYTE_0 src1_sel:DWORD
	v_mov_b32_e32 v1, 0xff800000
	v_cndmask_b32_e32 v1, v1, v7, vcc
	v_cmp_eq_u32_e32 vcc, 0, v2
	v_mov_b32_e32 v2, 0x7f800001
	v_cndmask_b32_e32 v1, v2, v1, vcc
.LBB6_12664:                            ;   in Loop: Header=BB6_10588 Depth=4
	s_or_b64 exec, exec, s[36:37]
.LBB6_12665:                            ;   in Loop: Header=BB6_10588 Depth=4
	s_or_b64 exec, exec, s[34:35]
.LBB6_12666:                            ;   in Loop: Header=BB6_10588 Depth=4
	s_or_b64 exec, exec, s[28:29]
	v_cmp_ne_u16_e32 vcc, 0, v43
	s_and_saveexec_b64 s[28:29], vcc
	s_cbranch_execz .LBB6_12674
; %bb.12667:                            ;   in Loop: Header=BB6_10588 Depth=4
	v_cmp_ne_u16_e32 vcc, s46, v43
	v_bfrev_b32_e32 v0, 1
	s_and_saveexec_b64 s[34:35], vcc
	s_cbranch_execz .LBB6_12673
; %bb.12668:                            ;   in Loop: Header=BB6_10588 Depth=4
	v_and_b32_e32 v0, 0x7c, v43
	v_and_b32_e32 v2, 3, v43
	v_cmp_ne_u32_e32 vcc, s86, v0
                                        ; implicit-def: $vgpr0
	s_and_saveexec_b64 s[62:63], vcc
	s_xor_b64 s[36:37], exec, s[62:63]
	s_cbranch_execz .LBB6_12670
; %bb.12669:                            ;   in Loop: Header=BB6_10588 Depth=4
	v_ffbh_u32_e32 v7, v2
	v_min_u32_e32 v7, 32, v7
	v_and_b32_e32 v0, 0xff, v43
	v_mov_b32_e32 v44, v33
	v_subrev_u32_e32 v27, 29, v7
	v_bfe_u32 v0, v0, 2, 5
	s_waitcnt vmcnt(0)
	v_lshlrev_b64 v[50:51], v27, v[43:44]
	v_sub_u32_e32 v7, 30, v7
	v_cmp_eq_u32_e32 vcc, 0, v0
	v_and_b32_e32 v27, 3, v50
	v_cndmask_b32_e32 v0, v0, v7, vcc
	v_and_b32_sdwa v7, sext(v43), s87 dst_sel:DWORD dst_unused:UNUSED_PAD src0_sel:WORD_0 src1_sel:DWORD
	v_cndmask_b32_e32 v2, v2, v27, vcc
	v_lshl_add_u32 v0, v0, 23, v7
	v_lshl_or_b32 v0, v2, 21, v0
	v_add_u32_e32 v0, 0x38000000, v0
                                        ; implicit-def: $vgpr2
                                        ; implicit-def: $vgpr43
.LBB6_12670:                            ;   in Loop: Header=BB6_10588 Depth=4
	s_andn2_saveexec_b64 s[36:37], s[36:37]
; %bb.12671:                            ;   in Loop: Header=BB6_10588 Depth=4
	v_cmp_lt_i16_e32 vcc, -1, v43
	v_mov_b32_e32 v0, 0xff800000
	v_mov_b32_e32 v7, 0x7f800000
	v_cndmask_b32_e32 v0, v0, v7, vcc
	v_cmp_eq_u32_e32 vcc, 0, v2
	v_mov_b32_e32 v2, 0x7f800001
	v_cndmask_b32_e32 v0, v2, v0, vcc
; %bb.12672:                            ;   in Loop: Header=BB6_10588 Depth=4
	s_or_b64 exec, exec, s[36:37]
.LBB6_12673:                            ;   in Loop: Header=BB6_10588 Depth=4
	s_or_b64 exec, exec, s[34:35]
.LBB6_12674:                            ;   in Loop: Header=BB6_10588 Depth=4
	s_or_b64 exec, exec, s[28:29]
	v_add_f32_e32 v0, v1, v0
	v_and_b32_e32 v1, 0x7f800000, v0
	v_mov_b32_e32 v2, v33
	v_cmp_ne_u64_e32 vcc, s[76:77], v[1:2]
	v_and_b32_e32 v32, 0x7fffff, v0
                                        ; implicit-def: $vgpr39
	s_and_saveexec_b64 s[28:29], vcc
	s_xor_b64 s[34:35], exec, s[28:29]
	s_cbranch_execz .LBB6_12692
; %bb.12675:                            ;   in Loop: Header=BB6_10588 Depth=4
	v_and_b32_e32 v1, 0x7fffffff, v0
	v_mov_b32_e32 v2, v33
	v_cmp_gt_u64_e32 vcc, s[78:79], v[1:2]
	v_and_b32_sdwa v7, v0, s97 dst_sel:DWORD dst_unused:UNUSED_PAD src0_sel:BYTE_3 src1_sel:DWORD
                                        ; implicit-def: $vgpr39
	s_and_saveexec_b64 s[28:29], vcc
	s_xor_b64 s[36:37], exec, s[28:29]
	s_cbranch_execz .LBB6_12689
; %bb.12676:                            ;   in Loop: Header=BB6_10588 Depth=4
	v_cmp_ne_u32_e32 vcc, 0, v0
	v_mov_b32_e32 v39, 0
	s_and_saveexec_b64 s[38:39], vcc
	s_cbranch_execz .LBB6_12688
; %bb.12677:                            ;   in Loop: Header=BB6_10588 Depth=4
	v_bfe_u32 v27, v0, 23, 8
	v_cmp_gt_u32_e64 s[28:29], s47, v27
	v_sub_u32_e32 v0, 0x71, v27
	v_cmp_eq_u32_e32 vcc, 0, v27
	v_cndmask_b32_e64 v0, 0, v0, s[28:29]
	v_mov_b32_e32 v2, 0x70
	v_cndmask_b32_e32 v39, v0, v2, vcc
	v_add_u32_e32 v2, 21, v39
	v_or_b32_e32 v1, 0x800000, v32
	s_waitcnt vmcnt(0)
	v_lshlrev_b64 v[50:51], v2, -1
	v_cndmask_b32_e32 v0, v1, v32, vcc
	v_mov_b32_e32 v1, v33
	v_add_u32_e32 v2, 20, v39
	v_bfi_b32 v50, v50, 0, v0
	v_lshlrev_b64 v[53:54], v2, 1
	v_lshrrev_b64 v[0:1], v39, v[0:1]
	v_bfi_b32 v51, v51, 0, 0
	v_cmp_eq_u64_e64 s[28:29], v[50:51], v[53:54]
	v_mov_b32_e32 v2, v1
	v_mov_b32_e32 v1, v0
	s_and_saveexec_b64 s[48:49], s[28:29]
; %bb.12678:                            ;   in Loop: Header=BB6_10588 Depth=4
	v_bfe_u32 v1, v0, 21, 1
	v_add_co_u32_e64 v1, s[28:29], v0, v1
	v_add_co_u32_e64 v1, s[28:29], -1, v1
; %bb.12679:                            ;   in Loop: Header=BB6_10588 Depth=4
	s_or_b64 exec, exec, s[48:49]
	v_add_u32_e32 v2, 0xffffff81, v27
	v_mov_b32_e32 v27, 0xffffff82
	v_cndmask_b32_e32 v2, v2, v27, vcc
	v_lshrrev_b32_e32 v27, 23, v0
	v_add3_u32 v39, v39, v2, v27
	v_add_u32_e32 v27, 14, v39
	v_and_b32_e32 v1, 0x1fffff, v1
	v_add_u32_e32 v32, v1, v0
	v_cmp_ne_u32_e32 vcc, 0, v27
                                        ; implicit-def: $vgpr0_vgpr1
                                        ; implicit-def: $vgpr2
	s_and_saveexec_b64 s[28:29], vcc
	s_xor_b64 s[28:29], exec, s[28:29]
; %bb.12680:                            ;   in Loop: Header=BB6_10588 Depth=4
	v_cmp_lt_u64_e32 vcc, s[88:89], v[32:33]
	v_add_u32_e32 v0, 15, v39
	v_cndmask_b32_e32 v2, v27, v0, vcc
	v_cndmask_b32_e64 v0, 0, 1, vcc
	v_lshrrev_b64 v[0:1], v0, v[32:33]
; %bb.12681:                            ;   in Loop: Header=BB6_10588 Depth=4
	s_or_saveexec_b64 s[28:29], s[28:29]
	buffer_load_dword v54, off, s[0:3], s33 offset:268 ; 4-byte Folded Reload
	buffer_load_dword v55, off, s[0:3], s33 offset:272 ; 4-byte Folded Reload
	s_xor_b64 exec, exec, s[28:29]
; %bb.12682:                            ;   in Loop: Header=BB6_10588 Depth=4
	v_mov_b32_e32 v0, v32
	v_mov_b32_e32 v1, v33
	v_bfe_u32 v2, v32, 23, 1
; %bb.12683:                            ;   in Loop: Header=BB6_10588 Depth=4
	s_or_b64 exec, exec, s[28:29]
	v_lshrrev_b64 v[0:1], 21, v[0:1]
	v_cmp_gt_i32_e32 vcc, 32, v2
	v_cndmask_b32_e32 v1, 0, v1, vcc
	v_cndmask_b32_e32 v0, 3, v0, vcc
	v_cmp_ne_u64_e32 vcc, 0, v[0:1]
	v_cmp_ne_u32_e64 s[28:29], 0, v2
	s_or_b64 s[28:29], s[28:29], vcc
                                        ; implicit-def: $vgpr39
	s_and_saveexec_b64 s[62:63], s[28:29]
	s_xor_b64 s[28:29], exec, s[62:63]
; %bb.12684:                            ;   in Loop: Header=BB6_10588 Depth=4
	v_min_i32_e32 v1, 31, v2
	v_lshl_or_b32 v1, v1, 2, v7
	v_and_or_b32 v39, v0, 3, v1
                                        ; implicit-def: $vgpr7
; %bb.12685:                            ;   in Loop: Header=BB6_10588 Depth=4
	s_andn2_saveexec_b64 s[28:29], s[28:29]
; %bb.12686:                            ;   in Loop: Header=BB6_10588 Depth=4
	v_mov_b32_e32 v39, v7
; %bb.12687:                            ;   in Loop: Header=BB6_10588 Depth=4
	s_or_b64 exec, exec, s[28:29]
.LBB6_12688:                            ;   in Loop: Header=BB6_10588 Depth=4
	s_or_b64 exec, exec, s[38:39]
                                        ; implicit-def: $vgpr7
.LBB6_12689:                            ;   in Loop: Header=BB6_10588 Depth=4
	s_andn2_saveexec_b64 s[28:29], s[36:37]
; %bb.12690:                            ;   in Loop: Header=BB6_10588 Depth=4
	v_or_b32_e32 v39, 0x7b, v7
; %bb.12691:                            ;   in Loop: Header=BB6_10588 Depth=4
	s_or_b64 exec, exec, s[28:29]
                                        ; implicit-def: $vgpr0
.LBB6_12692:                            ;   in Loop: Header=BB6_10588 Depth=4
	s_andn2_saveexec_b64 s[28:29], s[34:35]
	s_cbranch_execz .LBB6_12698
; %bb.12693:                            ;   in Loop: Header=BB6_10588 Depth=4
	v_cmp_ne_u64_e32 vcc, 0, v[32:33]
                                        ; implicit-def: $vgpr39
	s_and_saveexec_b64 s[62:63], vcc
	s_xor_b64 vcc, exec, s[62:63]
; %bb.12694:                            ;   in Loop: Header=BB6_10588 Depth=4
	v_or_b32_sdwa v39, v0, s44 dst_sel:DWORD dst_unused:UNUSED_PAD src0_sel:BYTE_3 src1_sel:DWORD
                                        ; implicit-def: $vgpr0
; %bb.12695:                            ;   in Loop: Header=BB6_10588 Depth=4
	s_andn2_saveexec_b64 s[34:35], vcc
; %bb.12696:                            ;   in Loop: Header=BB6_10588 Depth=4
	v_cmp_lt_i32_e32 vcc, -1, v0
	v_mov_b32_e32 v0, 0x7c
	v_cndmask_b32_e32 v39, -4, v0, vcc
; %bb.12697:                            ;   in Loop: Header=BB6_10588 Depth=4
	s_or_b64 exec, exec, s[34:35]
.LBB6_12698:                            ;   in Loop: Header=BB6_10588 Depth=4
	s_or_b64 exec, exec, s[28:29]
	buffer_load_dword v0, off, s[0:3], s33 offset:108 ; 4-byte Folded Reload
	buffer_load_dword v1, off, s[0:3], s33 offset:112 ; 4-byte Folded Reload
	s_waitcnt vmcnt(0)
	v_mov_b32_e32 v1, 0
	v_and_b32_e32 v7, 0xff, v0
	v_cmp_ne_u16_e32 vcc, 0, v7
	v_mov_b32_e32 v0, 0
	s_and_saveexec_b64 s[28:29], vcc
	s_cbranch_execz .LBB6_12706
; %bb.12699:                            ;   in Loop: Header=BB6_10588 Depth=4
	v_cmp_ne_u16_e32 vcc, s97, v7
	v_bfrev_b32_e32 v1, 1
	s_and_saveexec_b64 s[34:35], vcc
	s_cbranch_execz .LBB6_12705
; %bb.12700:                            ;   in Loop: Header=BB6_10588 Depth=4
	buffer_load_dword v1, off, s[0:3], s33 offset:108 ; 4-byte Folded Reload
	buffer_load_dword v2, off, s[0:3], s33 offset:112 ; 4-byte Folded Reload
	s_waitcnt vmcnt(0)
	v_and_b32_e32 v2, 3, v1
	v_and_b32_e32 v1, 0x7c, v1
	v_cmp_ne_u32_e32 vcc, s86, v1
                                        ; implicit-def: $vgpr1
	s_and_saveexec_b64 s[62:63], vcc
	s_xor_b64 s[36:37], exec, s[62:63]
	s_cbranch_execz .LBB6_12702
; %bb.12701:                            ;   in Loop: Header=BB6_10588 Depth=4
	buffer_load_dword v40, off, s[0:3], s33 offset:108 ; 4-byte Folded Reload
	buffer_load_dword v41, off, s[0:3], s33 offset:112 ; 4-byte Folded Reload
	v_bfe_u32 v1, v7, 2, 5
	v_ffbh_u32_e32 v7, v2
	v_min_u32_e32 v7, 32, v7
	s_waitcnt vmcnt(0)
	v_mov_b32_e32 v41, v33
	v_subrev_u32_e32 v27, 29, v7
	v_sub_u32_e32 v7, 30, v7
	v_cmp_eq_u32_e32 vcc, 0, v1
	v_cndmask_b32_e32 v1, v1, v7, vcc
	v_lshlrev_b32_e32 v7, 24, v40
	v_lshlrev_b64 v[50:51], v27, v[40:41]
	v_and_b32_e32 v7, 0x80000000, v7
	v_and_b32_e32 v27, 3, v50
	v_cndmask_b32_e32 v2, v2, v27, vcc
	v_lshl_add_u32 v1, v1, 23, v7
	v_lshl_or_b32 v1, v2, 21, v1
	v_add_u32_e32 v1, 0x38000000, v1
                                        ; implicit-def: $vgpr7
                                        ; implicit-def: $vgpr2
	buffer_store_dword v7, off, s[0:3], s33 offset:108 ; 4-byte Folded Spill
	s_nop 0
	buffer_store_dword v8, off, s[0:3], s33 offset:112 ; 4-byte Folded Spill
.LBB6_12702:                            ;   in Loop: Header=BB6_10588 Depth=4
	s_andn2_saveexec_b64 s[36:37], s[36:37]
	s_cbranch_execz .LBB6_12704
; %bb.12703:                            ;   in Loop: Header=BB6_10588 Depth=4
	buffer_load_dword v50, off, s[0:3], s33 offset:108 ; 4-byte Folded Reload
	buffer_load_dword v51, off, s[0:3], s33 offset:112 ; 4-byte Folded Reload
	v_mov_b32_e32 v1, -1
	v_mov_b32_e32 v7, 0x7f800000
	s_waitcnt vmcnt(1)
	v_cmp_gt_i16_sdwa vcc, sext(v50), v1 src0_sel:BYTE_0 src1_sel:DWORD
	v_mov_b32_e32 v1, 0xff800000
	v_cndmask_b32_e32 v1, v1, v7, vcc
	v_cmp_eq_u32_e32 vcc, 0, v2
	v_mov_b32_e32 v2, 0x7f800001
	v_cndmask_b32_e32 v1, v2, v1, vcc
.LBB6_12704:                            ;   in Loop: Header=BB6_10588 Depth=4
	s_or_b64 exec, exec, s[36:37]
.LBB6_12705:                            ;   in Loop: Header=BB6_10588 Depth=4
	s_or_b64 exec, exec, s[34:35]
.LBB6_12706:                            ;   in Loop: Header=BB6_10588 Depth=4
	s_or_b64 exec, exec, s[28:29]
	v_cmp_ne_u16_e32 vcc, 0, v6
	s_and_saveexec_b64 s[28:29], vcc
	s_cbranch_execz .LBB6_12714
; %bb.12707:                            ;   in Loop: Header=BB6_10588 Depth=4
	v_cmp_ne_u16_e32 vcc, s46, v6
	v_bfrev_b32_e32 v0, 1
	s_and_saveexec_b64 s[34:35], vcc
	s_cbranch_execz .LBB6_12713
; %bb.12708:                            ;   in Loop: Header=BB6_10588 Depth=4
	v_and_b32_e32 v0, 0x7c, v6
	v_and_b32_e32 v2, 3, v6
	v_cmp_ne_u32_e32 vcc, s86, v0
                                        ; implicit-def: $vgpr0
	s_and_saveexec_b64 s[62:63], vcc
	s_xor_b64 s[36:37], exec, s[62:63]
	s_cbranch_execz .LBB6_12710
; %bb.12709:                            ;   in Loop: Header=BB6_10588 Depth=4
	v_ffbh_u32_e32 v27, v2
	v_min_u32_e32 v27, 32, v27
	v_and_b32_e32 v0, 0xff, v6
	v_mov_b32_e32 v7, v33
	v_subrev_u32_e32 v32, 29, v27
	v_bfe_u32 v0, v0, 2, 5
	s_waitcnt vmcnt(0)
	v_lshlrev_b64 v[50:51], v32, v[6:7]
	v_sub_u32_e32 v7, 30, v27
	v_cmp_eq_u32_e32 vcc, 0, v0
	v_and_b32_e32 v27, 3, v50
	v_cndmask_b32_e32 v0, v0, v7, vcc
	v_and_b32_sdwa v6, sext(v6), s87 dst_sel:DWORD dst_unused:UNUSED_PAD src0_sel:WORD_0 src1_sel:DWORD
	v_cndmask_b32_e32 v2, v2, v27, vcc
	v_lshl_add_u32 v0, v0, 23, v6
	v_lshl_or_b32 v0, v2, 21, v0
	v_add_u32_e32 v0, 0x38000000, v0
                                        ; implicit-def: $vgpr2
                                        ; implicit-def: $vgpr6
.LBB6_12710:                            ;   in Loop: Header=BB6_10588 Depth=4
	s_andn2_saveexec_b64 s[36:37], s[36:37]
; %bb.12711:                            ;   in Loop: Header=BB6_10588 Depth=4
	v_cmp_lt_i16_e32 vcc, -1, v6
	v_mov_b32_e32 v0, 0xff800000
	v_mov_b32_e32 v6, 0x7f800000
	v_cndmask_b32_e32 v0, v0, v6, vcc
	v_cmp_eq_u32_e32 vcc, 0, v2
	v_mov_b32_e32 v2, 0x7f800001
	v_cndmask_b32_e32 v0, v2, v0, vcc
; %bb.12712:                            ;   in Loop: Header=BB6_10588 Depth=4
	s_or_b64 exec, exec, s[36:37]
.LBB6_12713:                            ;   in Loop: Header=BB6_10588 Depth=4
	s_or_b64 exec, exec, s[34:35]
.LBB6_12714:                            ;   in Loop: Header=BB6_10588 Depth=4
	s_or_b64 exec, exec, s[28:29]
	v_add_f32_e32 v0, v1, v0
	v_and_b32_e32 v1, 0x7f800000, v0
	v_mov_b32_e32 v2, v33
	v_cmp_ne_u64_e32 vcc, s[76:77], v[1:2]
	v_and_b32_e32 v32, 0x7fffff, v0
                                        ; implicit-def: $vgpr6
	s_and_saveexec_b64 s[28:29], vcc
	s_xor_b64 s[34:35], exec, s[28:29]
	s_cbranch_execz .LBB6_12732
; %bb.12715:                            ;   in Loop: Header=BB6_10588 Depth=4
	v_and_b32_e32 v1, 0x7fffffff, v0
	v_mov_b32_e32 v2, v33
	v_cmp_gt_u64_e32 vcc, s[78:79], v[1:2]
	v_and_b32_sdwa v7, v0, s97 dst_sel:DWORD dst_unused:UNUSED_PAD src0_sel:BYTE_3 src1_sel:DWORD
                                        ; implicit-def: $vgpr6
	s_and_saveexec_b64 s[28:29], vcc
	s_xor_b64 s[36:37], exec, s[28:29]
	s_cbranch_execz .LBB6_12729
; %bb.12716:                            ;   in Loop: Header=BB6_10588 Depth=4
	v_cmp_ne_u32_e32 vcc, 0, v0
	v_mov_b32_e32 v6, 0
	s_and_saveexec_b64 s[38:39], vcc
	s_cbranch_execz .LBB6_12728
; %bb.12717:                            ;   in Loop: Header=BB6_10588 Depth=4
	v_bfe_u32 v6, v0, 23, 8
	v_cmp_gt_u32_e64 s[28:29], s47, v6
	v_sub_u32_e32 v0, 0x71, v6
	v_cmp_eq_u32_e32 vcc, 0, v6
	v_cndmask_b32_e64 v0, 0, v0, s[28:29]
	v_mov_b32_e32 v2, 0x70
	v_cndmask_b32_e32 v27, v0, v2, vcc
	v_add_u32_e32 v2, 21, v27
	v_or_b32_e32 v1, 0x800000, v32
	s_waitcnt vmcnt(0)
	v_lshlrev_b64 v[50:51], v2, -1
	v_cndmask_b32_e32 v0, v1, v32, vcc
	v_mov_b32_e32 v1, v33
	v_add_u32_e32 v2, 20, v27
	v_bfi_b32 v50, v50, 0, v0
	v_lshlrev_b64 v[53:54], v2, 1
	v_lshrrev_b64 v[0:1], v27, v[0:1]
	v_bfi_b32 v51, v51, 0, 0
	v_cmp_eq_u64_e64 s[28:29], v[50:51], v[53:54]
	v_mov_b32_e32 v2, v1
	v_mov_b32_e32 v1, v0
	s_and_saveexec_b64 s[48:49], s[28:29]
; %bb.12718:                            ;   in Loop: Header=BB6_10588 Depth=4
	v_bfe_u32 v1, v0, 21, 1
	v_add_co_u32_e64 v1, s[28:29], v0, v1
	v_add_co_u32_e64 v1, s[28:29], -1, v1
; %bb.12719:                            ;   in Loop: Header=BB6_10588 Depth=4
	s_or_b64 exec, exec, s[48:49]
	v_add_u32_e32 v2, 0xffffff81, v6
	v_mov_b32_e32 v6, 0xffffff82
	v_cndmask_b32_e32 v2, v2, v6, vcc
	v_lshrrev_b32_e32 v6, 23, v0
	v_add3_u32 v27, v27, v2, v6
	v_add_u32_e32 v6, 14, v27
	v_and_b32_e32 v1, 0x1fffff, v1
	v_add_u32_e32 v32, v1, v0
	v_cmp_ne_u32_e32 vcc, 0, v6
                                        ; implicit-def: $vgpr0_vgpr1
                                        ; implicit-def: $vgpr2
	s_and_saveexec_b64 s[28:29], vcc
	s_xor_b64 s[28:29], exec, s[28:29]
; %bb.12720:                            ;   in Loop: Header=BB6_10588 Depth=4
	v_cmp_lt_u64_e32 vcc, s[88:89], v[32:33]
	v_add_u32_e32 v0, 15, v27
	v_cndmask_b32_e32 v2, v6, v0, vcc
	v_cndmask_b32_e64 v0, 0, 1, vcc
	v_lshrrev_b64 v[0:1], v0, v[32:33]
; %bb.12721:                            ;   in Loop: Header=BB6_10588 Depth=4
	s_or_saveexec_b64 s[28:29], s[28:29]
	buffer_load_dword v54, off, s[0:3], s33 offset:268 ; 4-byte Folded Reload
	buffer_load_dword v55, off, s[0:3], s33 offset:272 ; 4-byte Folded Reload
	s_xor_b64 exec, exec, s[28:29]
; %bb.12722:                            ;   in Loop: Header=BB6_10588 Depth=4
	v_mov_b32_e32 v0, v32
	v_mov_b32_e32 v1, v33
	v_bfe_u32 v2, v32, 23, 1
; %bb.12723:                            ;   in Loop: Header=BB6_10588 Depth=4
	s_or_b64 exec, exec, s[28:29]
	v_lshrrev_b64 v[0:1], 21, v[0:1]
	v_cmp_gt_i32_e32 vcc, 32, v2
	v_cndmask_b32_e32 v1, 0, v1, vcc
	v_cndmask_b32_e32 v0, 3, v0, vcc
	v_cmp_ne_u64_e32 vcc, 0, v[0:1]
	v_cmp_ne_u32_e64 s[28:29], 0, v2
	s_or_b64 s[28:29], s[28:29], vcc
                                        ; implicit-def: $vgpr6
	s_and_saveexec_b64 s[62:63], s[28:29]
	s_xor_b64 s[28:29], exec, s[62:63]
; %bb.12724:                            ;   in Loop: Header=BB6_10588 Depth=4
	v_min_i32_e32 v1, 31, v2
	v_lshl_or_b32 v1, v1, 2, v7
	v_and_or_b32 v6, v0, 3, v1
                                        ; implicit-def: $vgpr7
; %bb.12725:                            ;   in Loop: Header=BB6_10588 Depth=4
	s_andn2_saveexec_b64 s[28:29], s[28:29]
; %bb.12726:                            ;   in Loop: Header=BB6_10588 Depth=4
	v_mov_b32_e32 v6, v7
; %bb.12727:                            ;   in Loop: Header=BB6_10588 Depth=4
	s_or_b64 exec, exec, s[28:29]
.LBB6_12728:                            ;   in Loop: Header=BB6_10588 Depth=4
	s_or_b64 exec, exec, s[38:39]
                                        ; implicit-def: $vgpr7
.LBB6_12729:                            ;   in Loop: Header=BB6_10588 Depth=4
	s_andn2_saveexec_b64 s[28:29], s[36:37]
; %bb.12730:                            ;   in Loop: Header=BB6_10588 Depth=4
	v_or_b32_e32 v6, 0x7b, v7
; %bb.12731:                            ;   in Loop: Header=BB6_10588 Depth=4
	s_or_b64 exec, exec, s[28:29]
                                        ; implicit-def: $vgpr0
.LBB6_12732:                            ;   in Loop: Header=BB6_10588 Depth=4
	s_andn2_saveexec_b64 s[28:29], s[34:35]
	s_cbranch_execz .LBB6_12738
; %bb.12733:                            ;   in Loop: Header=BB6_10588 Depth=4
	v_cmp_ne_u64_e32 vcc, 0, v[32:33]
                                        ; implicit-def: $vgpr6
	s_and_saveexec_b64 s[62:63], vcc
	s_xor_b64 vcc, exec, s[62:63]
; %bb.12734:                            ;   in Loop: Header=BB6_10588 Depth=4
	v_or_b32_sdwa v6, v0, s44 dst_sel:DWORD dst_unused:UNUSED_PAD src0_sel:BYTE_3 src1_sel:DWORD
                                        ; implicit-def: $vgpr0
; %bb.12735:                            ;   in Loop: Header=BB6_10588 Depth=4
	s_andn2_saveexec_b64 s[34:35], vcc
; %bb.12736:                            ;   in Loop: Header=BB6_10588 Depth=4
	v_cmp_lt_i32_e32 vcc, -1, v0
	v_mov_b32_e32 v0, 0x7c
	v_cndmask_b32_e32 v6, -4, v0, vcc
; %bb.12737:                            ;   in Loop: Header=BB6_10588 Depth=4
	s_or_b64 exec, exec, s[34:35]
.LBB6_12738:                            ;   in Loop: Header=BB6_10588 Depth=4
	s_or_b64 exec, exec, s[28:29]
	buffer_load_dword v0, off, s[0:3], s33 offset:100 ; 4-byte Folded Reload
	buffer_load_dword v1, off, s[0:3], s33 offset:104 ; 4-byte Folded Reload
	s_waitcnt vmcnt(0)
	v_mov_b32_e32 v1, 0
	v_and_b32_e32 v7, 0xff, v0
	v_cmp_ne_u16_e32 vcc, 0, v7
	v_mov_b32_e32 v0, 0
	s_and_saveexec_b64 s[28:29], vcc
	s_cbranch_execz .LBB6_12746
; %bb.12739:                            ;   in Loop: Header=BB6_10588 Depth=4
	v_cmp_ne_u16_e32 vcc, s97, v7
	v_bfrev_b32_e32 v1, 1
	s_and_saveexec_b64 s[34:35], vcc
	s_cbranch_execz .LBB6_12745
; %bb.12740:                            ;   in Loop: Header=BB6_10588 Depth=4
	buffer_load_dword v1, off, s[0:3], s33 offset:100 ; 4-byte Folded Reload
	buffer_load_dword v2, off, s[0:3], s33 offset:104 ; 4-byte Folded Reload
	s_waitcnt vmcnt(0)
	v_and_b32_e32 v2, 3, v1
	v_and_b32_e32 v1, 0x7c, v1
	v_cmp_ne_u32_e32 vcc, s86, v1
                                        ; implicit-def: $vgpr1
	s_and_saveexec_b64 s[62:63], vcc
	s_xor_b64 s[36:37], exec, s[62:63]
	s_cbranch_execz .LBB6_12742
; %bb.12741:                            ;   in Loop: Header=BB6_10588 Depth=4
	buffer_load_dword v40, off, s[0:3], s33 offset:100 ; 4-byte Folded Reload
	buffer_load_dword v41, off, s[0:3], s33 offset:104 ; 4-byte Folded Reload
	v_bfe_u32 v1, v7, 2, 5
	v_ffbh_u32_e32 v7, v2
	v_min_u32_e32 v7, 32, v7
	s_waitcnt vmcnt(0)
	v_mov_b32_e32 v41, v33
	v_subrev_u32_e32 v27, 29, v7
	v_sub_u32_e32 v7, 30, v7
	v_cmp_eq_u32_e32 vcc, 0, v1
	v_cndmask_b32_e32 v1, v1, v7, vcc
	v_lshlrev_b32_e32 v7, 24, v40
	v_lshlrev_b64 v[50:51], v27, v[40:41]
	v_and_b32_e32 v7, 0x80000000, v7
	v_and_b32_e32 v27, 3, v50
	v_cndmask_b32_e32 v2, v2, v27, vcc
	v_lshl_add_u32 v1, v1, 23, v7
	v_lshl_or_b32 v1, v2, 21, v1
	v_add_u32_e32 v1, 0x38000000, v1
                                        ; implicit-def: $vgpr7
                                        ; implicit-def: $vgpr2
	buffer_store_dword v7, off, s[0:3], s33 offset:100 ; 4-byte Folded Spill
	s_nop 0
	buffer_store_dword v8, off, s[0:3], s33 offset:104 ; 4-byte Folded Spill
.LBB6_12742:                            ;   in Loop: Header=BB6_10588 Depth=4
	s_andn2_saveexec_b64 s[36:37], s[36:37]
	s_cbranch_execz .LBB6_12744
; %bb.12743:                            ;   in Loop: Header=BB6_10588 Depth=4
	buffer_load_dword v50, off, s[0:3], s33 offset:100 ; 4-byte Folded Reload
	buffer_load_dword v51, off, s[0:3], s33 offset:104 ; 4-byte Folded Reload
	v_mov_b32_e32 v1, -1
	v_mov_b32_e32 v7, 0x7f800000
	s_waitcnt vmcnt(1)
	v_cmp_gt_i16_sdwa vcc, sext(v50), v1 src0_sel:BYTE_0 src1_sel:DWORD
	v_mov_b32_e32 v1, 0xff800000
	v_cndmask_b32_e32 v1, v1, v7, vcc
	v_cmp_eq_u32_e32 vcc, 0, v2
	v_mov_b32_e32 v2, 0x7f800001
	v_cndmask_b32_e32 v1, v2, v1, vcc
.LBB6_12744:                            ;   in Loop: Header=BB6_10588 Depth=4
	s_or_b64 exec, exec, s[36:37]
.LBB6_12745:                            ;   in Loop: Header=BB6_10588 Depth=4
	s_or_b64 exec, exec, s[34:35]
.LBB6_12746:                            ;   in Loop: Header=BB6_10588 Depth=4
	s_or_b64 exec, exec, s[28:29]
	v_cmp_ne_u16_e32 vcc, 0, v42
	s_and_saveexec_b64 s[28:29], vcc
	s_cbranch_execz .LBB6_12754
; %bb.12747:                            ;   in Loop: Header=BB6_10588 Depth=4
	v_cmp_ne_u16_e32 vcc, s46, v42
	v_bfrev_b32_e32 v0, 1
	s_and_saveexec_b64 s[34:35], vcc
	s_cbranch_execz .LBB6_12753
; %bb.12748:                            ;   in Loop: Header=BB6_10588 Depth=4
	v_and_b32_e32 v0, 0x7c, v42
	v_and_b32_e32 v2, 3, v42
	v_cmp_ne_u32_e32 vcc, s86, v0
                                        ; implicit-def: $vgpr0
	s_and_saveexec_b64 s[62:63], vcc
	s_xor_b64 s[36:37], exec, s[62:63]
	s_cbranch_execz .LBB6_12750
; %bb.12749:                            ;   in Loop: Header=BB6_10588 Depth=4
	v_ffbh_u32_e32 v7, v2
	v_min_u32_e32 v7, 32, v7
	v_and_b32_e32 v0, 0xff, v42
	v_mov_b32_e32 v43, v33
	v_subrev_u32_e32 v27, 29, v7
	v_bfe_u32 v0, v0, 2, 5
	s_waitcnt vmcnt(0)
	v_lshlrev_b64 v[50:51], v27, v[42:43]
	v_sub_u32_e32 v7, 30, v7
	v_cmp_eq_u32_e32 vcc, 0, v0
	v_and_b32_e32 v27, 3, v50
	v_cndmask_b32_e32 v0, v0, v7, vcc
	v_and_b32_sdwa v7, sext(v42), s87 dst_sel:DWORD dst_unused:UNUSED_PAD src0_sel:WORD_0 src1_sel:DWORD
	v_cndmask_b32_e32 v2, v2, v27, vcc
	v_lshl_add_u32 v0, v0, 23, v7
	v_lshl_or_b32 v0, v2, 21, v0
	v_add_u32_e32 v0, 0x38000000, v0
                                        ; implicit-def: $vgpr2
                                        ; implicit-def: $vgpr42
.LBB6_12750:                            ;   in Loop: Header=BB6_10588 Depth=4
	s_andn2_saveexec_b64 s[36:37], s[36:37]
; %bb.12751:                            ;   in Loop: Header=BB6_10588 Depth=4
	v_cmp_lt_i16_e32 vcc, -1, v42
	v_mov_b32_e32 v0, 0xff800000
	v_mov_b32_e32 v7, 0x7f800000
	v_cndmask_b32_e32 v0, v0, v7, vcc
	v_cmp_eq_u32_e32 vcc, 0, v2
	v_mov_b32_e32 v2, 0x7f800001
	v_cndmask_b32_e32 v0, v2, v0, vcc
; %bb.12752:                            ;   in Loop: Header=BB6_10588 Depth=4
	s_or_b64 exec, exec, s[36:37]
.LBB6_12753:                            ;   in Loop: Header=BB6_10588 Depth=4
	s_or_b64 exec, exec, s[34:35]
.LBB6_12754:                            ;   in Loop: Header=BB6_10588 Depth=4
	s_or_b64 exec, exec, s[28:29]
	v_add_f32_e32 v0, v1, v0
	v_and_b32_e32 v1, 0x7f800000, v0
	v_mov_b32_e32 v2, v33
	v_cmp_ne_u64_e32 vcc, s[76:77], v[1:2]
	v_and_b32_e32 v32, 0x7fffff, v0
                                        ; implicit-def: $vgpr7
	s_and_saveexec_b64 s[28:29], vcc
	s_xor_b64 s[34:35], exec, s[28:29]
	s_cbranch_execz .LBB6_12772
; %bb.12755:                            ;   in Loop: Header=BB6_10588 Depth=4
	v_and_b32_e32 v1, 0x7fffffff, v0
	v_mov_b32_e32 v2, v33
	v_cmp_gt_u64_e32 vcc, s[78:79], v[1:2]
	v_and_b32_sdwa v27, v0, s97 dst_sel:DWORD dst_unused:UNUSED_PAD src0_sel:BYTE_3 src1_sel:DWORD
                                        ; implicit-def: $vgpr7
	s_and_saveexec_b64 s[28:29], vcc
	s_xor_b64 s[36:37], exec, s[28:29]
	s_cbranch_execz .LBB6_12769
; %bb.12756:                            ;   in Loop: Header=BB6_10588 Depth=4
	v_cmp_ne_u32_e32 vcc, 0, v0
	v_mov_b32_e32 v7, 0
	s_and_saveexec_b64 s[38:39], vcc
	s_cbranch_execz .LBB6_12768
; %bb.12757:                            ;   in Loop: Header=BB6_10588 Depth=4
	v_bfe_u32 v7, v0, 23, 8
	v_cmp_gt_u32_e64 s[28:29], s47, v7
	v_sub_u32_e32 v0, 0x71, v7
	v_cmp_eq_u32_e32 vcc, 0, v7
	v_cndmask_b32_e64 v0, 0, v0, s[28:29]
	v_mov_b32_e32 v2, 0x70
	v_cndmask_b32_e32 v50, v0, v2, vcc
	v_add_u32_e32 v2, 21, v50
	v_or_b32_e32 v1, 0x800000, v32
	v_lshlrev_b64 v[53:54], v2, -1
	v_cndmask_b32_e32 v0, v1, v32, vcc
	v_mov_b32_e32 v1, v33
	v_add_u32_e32 v2, 20, v50
	v_bfi_b32 v53, v53, 0, v0
	v_lshlrev_b64 v[40:41], v2, 1
	v_lshrrev_b64 v[0:1], v50, v[0:1]
	v_bfi_b32 v54, v54, 0, 0
	v_cmp_eq_u64_e64 s[28:29], v[53:54], v[40:41]
	v_mov_b32_e32 v2, v1
	v_mov_b32_e32 v1, v0
	s_and_saveexec_b64 s[48:49], s[28:29]
; %bb.12758:                            ;   in Loop: Header=BB6_10588 Depth=4
	v_bfe_u32 v1, v0, 21, 1
	v_add_co_u32_e64 v1, s[28:29], v0, v1
	v_add_co_u32_e64 v1, s[28:29], -1, v1
; %bb.12759:                            ;   in Loop: Header=BB6_10588 Depth=4
	s_or_b64 exec, exec, s[48:49]
	v_add_u32_e32 v2, 0xffffff81, v7
	v_mov_b32_e32 v7, 0xffffff82
	v_cndmask_b32_e32 v2, v2, v7, vcc
	v_lshrrev_b32_e32 v7, 23, v0
	v_add3_u32 v50, v50, v2, v7
	v_add_u32_e32 v7, 14, v50
	v_and_b32_e32 v1, 0x1fffff, v1
	v_add_u32_e32 v32, v1, v0
	v_cmp_ne_u32_e32 vcc, 0, v7
                                        ; implicit-def: $vgpr0_vgpr1
                                        ; implicit-def: $vgpr2
	s_and_saveexec_b64 s[28:29], vcc
	s_xor_b64 s[28:29], exec, s[28:29]
; %bb.12760:                            ;   in Loop: Header=BB6_10588 Depth=4
	v_cmp_lt_u64_e32 vcc, s[88:89], v[32:33]
	v_add_u32_e32 v0, 15, v50
	v_cndmask_b32_e32 v2, v7, v0, vcc
	v_cndmask_b32_e64 v0, 0, 1, vcc
	v_lshrrev_b64 v[0:1], v0, v[32:33]
; %bb.12761:                            ;   in Loop: Header=BB6_10588 Depth=4
	s_or_saveexec_b64 s[28:29], s[28:29]
	buffer_load_dword v54, off, s[0:3], s33 offset:268 ; 4-byte Folded Reload
	buffer_load_dword v55, off, s[0:3], s33 offset:272 ; 4-byte Folded Reload
	s_xor_b64 exec, exec, s[28:29]
; %bb.12762:                            ;   in Loop: Header=BB6_10588 Depth=4
	v_mov_b32_e32 v0, v32
	v_mov_b32_e32 v1, v33
	v_bfe_u32 v2, v32, 23, 1
; %bb.12763:                            ;   in Loop: Header=BB6_10588 Depth=4
	s_or_b64 exec, exec, s[28:29]
	v_lshrrev_b64 v[0:1], 21, v[0:1]
	v_cmp_gt_i32_e32 vcc, 32, v2
	v_cndmask_b32_e32 v1, 0, v1, vcc
	v_cndmask_b32_e32 v0, 3, v0, vcc
	v_cmp_ne_u64_e32 vcc, 0, v[0:1]
	v_cmp_ne_u32_e64 s[28:29], 0, v2
	s_or_b64 s[28:29], s[28:29], vcc
                                        ; implicit-def: $vgpr7
	s_and_saveexec_b64 s[62:63], s[28:29]
	s_xor_b64 s[28:29], exec, s[62:63]
; %bb.12764:                            ;   in Loop: Header=BB6_10588 Depth=4
	v_min_i32_e32 v1, 31, v2
	v_lshl_or_b32 v1, v1, 2, v27
	v_and_or_b32 v7, v0, 3, v1
                                        ; implicit-def: $vgpr27
; %bb.12765:                            ;   in Loop: Header=BB6_10588 Depth=4
	s_andn2_saveexec_b64 s[28:29], s[28:29]
; %bb.12766:                            ;   in Loop: Header=BB6_10588 Depth=4
	v_mov_b32_e32 v7, v27
; %bb.12767:                            ;   in Loop: Header=BB6_10588 Depth=4
	s_or_b64 exec, exec, s[28:29]
.LBB6_12768:                            ;   in Loop: Header=BB6_10588 Depth=4
	s_or_b64 exec, exec, s[38:39]
                                        ; implicit-def: $vgpr27
.LBB6_12769:                            ;   in Loop: Header=BB6_10588 Depth=4
	s_andn2_saveexec_b64 s[28:29], s[36:37]
; %bb.12770:                            ;   in Loop: Header=BB6_10588 Depth=4
	v_or_b32_e32 v7, 0x7b, v27
; %bb.12771:                            ;   in Loop: Header=BB6_10588 Depth=4
	s_or_b64 exec, exec, s[28:29]
                                        ; implicit-def: $vgpr0
.LBB6_12772:                            ;   in Loop: Header=BB6_10588 Depth=4
	s_andn2_saveexec_b64 s[28:29], s[34:35]
	s_cbranch_execz .LBB6_12778
; %bb.12773:                            ;   in Loop: Header=BB6_10588 Depth=4
	v_cmp_ne_u64_e32 vcc, 0, v[32:33]
                                        ; implicit-def: $vgpr7
	s_and_saveexec_b64 s[62:63], vcc
	s_xor_b64 vcc, exec, s[62:63]
; %bb.12774:                            ;   in Loop: Header=BB6_10588 Depth=4
	v_or_b32_sdwa v7, v0, s44 dst_sel:DWORD dst_unused:UNUSED_PAD src0_sel:BYTE_3 src1_sel:DWORD
                                        ; implicit-def: $vgpr0
; %bb.12775:                            ;   in Loop: Header=BB6_10588 Depth=4
	s_andn2_saveexec_b64 s[34:35], vcc
; %bb.12776:                            ;   in Loop: Header=BB6_10588 Depth=4
	v_cmp_lt_i32_e32 vcc, -1, v0
	v_mov_b32_e32 v0, 0x7c
	v_cndmask_b32_e32 v7, -4, v0, vcc
; %bb.12777:                            ;   in Loop: Header=BB6_10588 Depth=4
	s_or_b64 exec, exec, s[34:35]
.LBB6_12778:                            ;   in Loop: Header=BB6_10588 Depth=4
	s_or_b64 exec, exec, s[28:29]
	buffer_load_dword v0, off, s[0:3], s33 offset:92 ; 4-byte Folded Reload
	buffer_load_dword v1, off, s[0:3], s33 offset:96 ; 4-byte Folded Reload
	s_waitcnt vmcnt(0)
	v_mov_b32_e32 v1, 0
	v_and_b32_e32 v27, 0xff, v0
	v_cmp_ne_u16_e32 vcc, 0, v27
	v_mov_b32_e32 v0, 0
	s_and_saveexec_b64 s[28:29], vcc
	s_cbranch_execz .LBB6_12786
; %bb.12779:                            ;   in Loop: Header=BB6_10588 Depth=4
	v_cmp_ne_u16_e32 vcc, s97, v27
	v_bfrev_b32_e32 v1, 1
	s_and_saveexec_b64 s[34:35], vcc
	s_cbranch_execz .LBB6_12785
; %bb.12780:                            ;   in Loop: Header=BB6_10588 Depth=4
	buffer_load_dword v1, off, s[0:3], s33 offset:92 ; 4-byte Folded Reload
	buffer_load_dword v2, off, s[0:3], s33 offset:96 ; 4-byte Folded Reload
	s_waitcnt vmcnt(0)
	v_and_b32_e32 v2, 3, v1
	v_and_b32_e32 v1, 0x7c, v1
	v_cmp_ne_u32_e32 vcc, s86, v1
                                        ; implicit-def: $vgpr1
	s_and_saveexec_b64 s[62:63], vcc
	s_xor_b64 s[36:37], exec, s[62:63]
	s_cbranch_execz .LBB6_12782
; %bb.12781:                            ;   in Loop: Header=BB6_10588 Depth=4
	buffer_load_dword v40, off, s[0:3], s33 offset:92 ; 4-byte Folded Reload
	buffer_load_dword v41, off, s[0:3], s33 offset:96 ; 4-byte Folded Reload
	v_bfe_u32 v1, v27, 2, 5
	v_ffbh_u32_e32 v27, v2
	v_min_u32_e32 v27, 32, v27
	s_waitcnt vmcnt(0)
	v_mov_b32_e32 v41, v33
	v_subrev_u32_e32 v32, 29, v27
	v_sub_u32_e32 v27, 30, v27
	v_cmp_eq_u32_e32 vcc, 0, v1
	v_cndmask_b32_e32 v1, v1, v27, vcc
	v_lshlrev_b32_e32 v27, 24, v40
	v_lshlrev_b64 v[50:51], v32, v[40:41]
	v_and_b32_e32 v27, 0x80000000, v27
	v_and_b32_e32 v32, 3, v50
	v_cndmask_b32_e32 v2, v2, v32, vcc
	v_lshl_add_u32 v1, v1, 23, v27
	v_lshl_or_b32 v1, v2, 21, v1
	v_add_u32_e32 v1, 0x38000000, v1
                                        ; implicit-def: $vgpr27
                                        ; implicit-def: $vgpr2
	buffer_store_dword v27, off, s[0:3], s33 offset:92 ; 4-byte Folded Spill
	s_nop 0
	buffer_store_dword v28, off, s[0:3], s33 offset:96 ; 4-byte Folded Spill
.LBB6_12782:                            ;   in Loop: Header=BB6_10588 Depth=4
	s_andn2_saveexec_b64 s[36:37], s[36:37]
	s_cbranch_execz .LBB6_12784
; %bb.12783:                            ;   in Loop: Header=BB6_10588 Depth=4
	buffer_load_dword v50, off, s[0:3], s33 offset:92 ; 4-byte Folded Reload
	buffer_load_dword v51, off, s[0:3], s33 offset:96 ; 4-byte Folded Reload
	v_mov_b32_e32 v1, -1
	v_mov_b32_e32 v27, 0x7f800000
	s_waitcnt vmcnt(1)
	v_cmp_gt_i16_sdwa vcc, sext(v50), v1 src0_sel:BYTE_0 src1_sel:DWORD
	v_mov_b32_e32 v1, 0xff800000
	v_cndmask_b32_e32 v1, v1, v27, vcc
	v_cmp_eq_u32_e32 vcc, 0, v2
	v_mov_b32_e32 v2, 0x7f800001
	v_cndmask_b32_e32 v1, v2, v1, vcc
.LBB6_12784:                            ;   in Loop: Header=BB6_10588 Depth=4
	s_or_b64 exec, exec, s[36:37]
.LBB6_12785:                            ;   in Loop: Header=BB6_10588 Depth=4
	s_or_b64 exec, exec, s[34:35]
.LBB6_12786:                            ;   in Loop: Header=BB6_10588 Depth=4
	s_or_b64 exec, exec, s[28:29]
	v_cmp_ne_u16_e32 vcc, 0, v58
	s_and_saveexec_b64 s[28:29], vcc
	s_cbranch_execz .LBB6_12794
; %bb.12787:                            ;   in Loop: Header=BB6_10588 Depth=4
	v_cmp_ne_u16_e32 vcc, s46, v58
	v_bfrev_b32_e32 v0, 1
	s_and_saveexec_b64 s[34:35], vcc
	s_cbranch_execz .LBB6_12793
; %bb.12788:                            ;   in Loop: Header=BB6_10588 Depth=4
	v_and_b32_e32 v0, 0x7c, v58
	v_and_b32_e32 v2, 3, v58
	v_cmp_ne_u32_e32 vcc, s86, v0
                                        ; implicit-def: $vgpr0
	s_and_saveexec_b64 s[62:63], vcc
	s_xor_b64 s[36:37], exec, s[62:63]
	s_cbranch_execz .LBB6_12790
; %bb.12789:                            ;   in Loop: Header=BB6_10588 Depth=4
	v_ffbh_u32_e32 v27, v2
	v_min_u32_e32 v27, 32, v27
	v_and_b32_e32 v0, 0xff, v58
	v_mov_b32_e32 v59, v33
	v_subrev_u32_e32 v32, 29, v27
	v_bfe_u32 v0, v0, 2, 5
	s_waitcnt vmcnt(0)
	v_lshlrev_b64 v[50:51], v32, v[58:59]
	v_sub_u32_e32 v27, 30, v27
	v_cmp_eq_u32_e32 vcc, 0, v0
	v_and_b32_e32 v32, 3, v50
	v_cndmask_b32_e32 v0, v0, v27, vcc
	v_and_b32_sdwa v27, sext(v58), s87 dst_sel:DWORD dst_unused:UNUSED_PAD src0_sel:WORD_0 src1_sel:DWORD
	v_cndmask_b32_e32 v2, v2, v32, vcc
	v_lshl_add_u32 v0, v0, 23, v27
	v_lshl_or_b32 v0, v2, 21, v0
	v_add_u32_e32 v0, 0x38000000, v0
                                        ; implicit-def: $vgpr2
                                        ; implicit-def: $vgpr58
.LBB6_12790:                            ;   in Loop: Header=BB6_10588 Depth=4
	s_andn2_saveexec_b64 s[36:37], s[36:37]
; %bb.12791:                            ;   in Loop: Header=BB6_10588 Depth=4
	v_cmp_lt_i16_e32 vcc, -1, v58
	v_mov_b32_e32 v0, 0xff800000
	v_mov_b32_e32 v27, 0x7f800000
	v_cndmask_b32_e32 v0, v0, v27, vcc
	v_cmp_eq_u32_e32 vcc, 0, v2
	v_mov_b32_e32 v2, 0x7f800001
	v_cndmask_b32_e32 v0, v2, v0, vcc
; %bb.12792:                            ;   in Loop: Header=BB6_10588 Depth=4
	s_or_b64 exec, exec, s[36:37]
.LBB6_12793:                            ;   in Loop: Header=BB6_10588 Depth=4
	s_or_b64 exec, exec, s[34:35]
.LBB6_12794:                            ;   in Loop: Header=BB6_10588 Depth=4
	s_or_b64 exec, exec, s[28:29]
	v_add_f32_e32 v0, v1, v0
	v_and_b32_e32 v1, 0x7f800000, v0
	v_mov_b32_e32 v2, v33
	v_cmp_ne_u64_e32 vcc, s[76:77], v[1:2]
	v_and_b32_e32 v32, 0x7fffff, v0
                                        ; implicit-def: $vgpr50
	s_and_saveexec_b64 s[28:29], vcc
	s_xor_b64 s[34:35], exec, s[28:29]
	s_cbranch_execz .LBB6_12812
; %bb.12795:                            ;   in Loop: Header=BB6_10588 Depth=4
	v_and_b32_e32 v1, 0x7fffffff, v0
	v_mov_b32_e32 v2, v33
	v_cmp_gt_u64_e32 vcc, s[78:79], v[1:2]
	v_and_b32_sdwa v27, v0, s97 dst_sel:DWORD dst_unused:UNUSED_PAD src0_sel:BYTE_3 src1_sel:DWORD
                                        ; implicit-def: $vgpr50
	s_and_saveexec_b64 s[28:29], vcc
	s_xor_b64 s[36:37], exec, s[28:29]
	s_cbranch_execz .LBB6_12809
; %bb.12796:                            ;   in Loop: Header=BB6_10588 Depth=4
	v_cmp_ne_u32_e32 vcc, 0, v0
	v_mov_b32_e32 v50, 0
	s_and_saveexec_b64 s[38:39], vcc
	s_cbranch_execz .LBB6_12808
; %bb.12797:                            ;   in Loop: Header=BB6_10588 Depth=4
	v_bfe_u32 v50, v0, 23, 8
	v_cmp_gt_u32_e64 s[28:29], s47, v50
	v_sub_u32_e32 v0, 0x71, v50
	v_cmp_eq_u32_e32 vcc, 0, v50
	v_cndmask_b32_e64 v0, 0, v0, s[28:29]
	v_mov_b32_e32 v2, 0x70
	s_waitcnt vmcnt(0)
	v_cndmask_b32_e32 v51, v0, v2, vcc
	v_add_u32_e32 v2, 21, v51
	v_or_b32_e32 v1, 0x800000, v32
	v_lshlrev_b64 v[53:54], v2, -1
	v_cndmask_b32_e32 v0, v1, v32, vcc
	v_mov_b32_e32 v1, v33
	v_add_u32_e32 v2, 20, v51
	v_bfi_b32 v53, v53, 0, v0
	v_lshlrev_b64 v[40:41], v2, 1
	v_lshrrev_b64 v[0:1], v51, v[0:1]
	v_bfi_b32 v54, v54, 0, 0
	v_cmp_eq_u64_e64 s[28:29], v[53:54], v[40:41]
	v_mov_b32_e32 v2, v1
	v_mov_b32_e32 v1, v0
	s_and_saveexec_b64 s[48:49], s[28:29]
; %bb.12798:                            ;   in Loop: Header=BB6_10588 Depth=4
	v_bfe_u32 v1, v0, 21, 1
	v_add_co_u32_e64 v1, s[28:29], v0, v1
	v_add_co_u32_e64 v1, s[28:29], -1, v1
; %bb.12799:                            ;   in Loop: Header=BB6_10588 Depth=4
	s_or_b64 exec, exec, s[48:49]
	v_add_u32_e32 v2, 0xffffff81, v50
	v_mov_b32_e32 v32, 0xffffff82
	v_cndmask_b32_e32 v2, v2, v32, vcc
	v_lshrrev_b32_e32 v32, 23, v0
	v_add3_u32 v51, v51, v2, v32
	v_add_u32_e32 v50, 14, v51
	v_and_b32_e32 v1, 0x1fffff, v1
	v_add_u32_e32 v32, v1, v0
	v_cmp_ne_u32_e32 vcc, 0, v50
                                        ; implicit-def: $vgpr0_vgpr1
                                        ; implicit-def: $vgpr2
	s_and_saveexec_b64 s[28:29], vcc
	s_xor_b64 s[28:29], exec, s[28:29]
; %bb.12800:                            ;   in Loop: Header=BB6_10588 Depth=4
	v_cmp_lt_u64_e32 vcc, s[88:89], v[32:33]
	v_add_u32_e32 v0, 15, v51
	v_cndmask_b32_e32 v2, v50, v0, vcc
	v_cndmask_b32_e64 v0, 0, 1, vcc
	v_lshrrev_b64 v[0:1], v0, v[32:33]
; %bb.12801:                            ;   in Loop: Header=BB6_10588 Depth=4
	s_or_saveexec_b64 s[28:29], s[28:29]
	buffer_load_dword v54, off, s[0:3], s33 offset:268 ; 4-byte Folded Reload
	buffer_load_dword v55, off, s[0:3], s33 offset:272 ; 4-byte Folded Reload
	s_xor_b64 exec, exec, s[28:29]
; %bb.12802:                            ;   in Loop: Header=BB6_10588 Depth=4
	v_mov_b32_e32 v0, v32
	v_mov_b32_e32 v1, v33
	v_bfe_u32 v2, v32, 23, 1
; %bb.12803:                            ;   in Loop: Header=BB6_10588 Depth=4
	s_or_b64 exec, exec, s[28:29]
	v_lshrrev_b64 v[0:1], 21, v[0:1]
	v_cmp_gt_i32_e32 vcc, 32, v2
	v_cndmask_b32_e32 v1, 0, v1, vcc
	v_cndmask_b32_e32 v0, 3, v0, vcc
	v_cmp_ne_u64_e32 vcc, 0, v[0:1]
	v_cmp_ne_u32_e64 s[28:29], 0, v2
	s_or_b64 s[28:29], s[28:29], vcc
                                        ; implicit-def: $vgpr50
	s_and_saveexec_b64 s[62:63], s[28:29]
	s_xor_b64 s[28:29], exec, s[62:63]
; %bb.12804:                            ;   in Loop: Header=BB6_10588 Depth=4
	v_min_i32_e32 v1, 31, v2
	v_lshl_or_b32 v1, v1, 2, v27
	v_and_or_b32 v50, v0, 3, v1
                                        ; implicit-def: $vgpr27
; %bb.12805:                            ;   in Loop: Header=BB6_10588 Depth=4
	s_andn2_saveexec_b64 s[28:29], s[28:29]
; %bb.12806:                            ;   in Loop: Header=BB6_10588 Depth=4
	v_mov_b32_e32 v50, v27
; %bb.12807:                            ;   in Loop: Header=BB6_10588 Depth=4
	s_or_b64 exec, exec, s[28:29]
.LBB6_12808:                            ;   in Loop: Header=BB6_10588 Depth=4
	s_or_b64 exec, exec, s[38:39]
                                        ; implicit-def: $vgpr27
.LBB6_12809:                            ;   in Loop: Header=BB6_10588 Depth=4
	s_andn2_saveexec_b64 s[28:29], s[36:37]
; %bb.12810:                            ;   in Loop: Header=BB6_10588 Depth=4
	v_or_b32_e32 v50, 0x7b, v27
; %bb.12811:                            ;   in Loop: Header=BB6_10588 Depth=4
	s_or_b64 exec, exec, s[28:29]
                                        ; implicit-def: $vgpr0
.LBB6_12812:                            ;   in Loop: Header=BB6_10588 Depth=4
	s_andn2_saveexec_b64 s[28:29], s[34:35]
	s_cbranch_execz .LBB6_12818
; %bb.12813:                            ;   in Loop: Header=BB6_10588 Depth=4
	v_cmp_ne_u64_e32 vcc, 0, v[32:33]
                                        ; implicit-def: $vgpr50
	s_and_saveexec_b64 s[62:63], vcc
	s_xor_b64 vcc, exec, s[62:63]
; %bb.12814:                            ;   in Loop: Header=BB6_10588 Depth=4
	v_or_b32_sdwa v50, v0, s44 dst_sel:DWORD dst_unused:UNUSED_PAD src0_sel:BYTE_3 src1_sel:DWORD
                                        ; implicit-def: $vgpr0
; %bb.12815:                            ;   in Loop: Header=BB6_10588 Depth=4
	s_andn2_saveexec_b64 s[34:35], vcc
; %bb.12816:                            ;   in Loop: Header=BB6_10588 Depth=4
	v_cmp_lt_i32_e32 vcc, -1, v0
	v_mov_b32_e32 v0, 0x7c
	v_cndmask_b32_e32 v50, -4, v0, vcc
; %bb.12817:                            ;   in Loop: Header=BB6_10588 Depth=4
	s_or_b64 exec, exec, s[34:35]
.LBB6_12818:                            ;   in Loop: Header=BB6_10588 Depth=4
	s_or_b64 exec, exec, s[28:29]
	buffer_load_dword v0, off, s[0:3], s33 offset:84 ; 4-byte Folded Reload
	buffer_load_dword v1, off, s[0:3], s33 offset:88 ; 4-byte Folded Reload
	s_waitcnt vmcnt(0)
	v_mov_b32_e32 v1, 0
	v_and_b32_e32 v27, 0xff, v0
	v_cmp_ne_u16_e32 vcc, 0, v27
	v_mov_b32_e32 v0, 0
	s_and_saveexec_b64 s[28:29], vcc
	s_cbranch_execz .LBB6_12826
; %bb.12819:                            ;   in Loop: Header=BB6_10588 Depth=4
	v_cmp_ne_u16_e32 vcc, s97, v27
	v_bfrev_b32_e32 v1, 1
	s_and_saveexec_b64 s[34:35], vcc
	s_cbranch_execz .LBB6_12825
; %bb.12820:                            ;   in Loop: Header=BB6_10588 Depth=4
	buffer_load_dword v1, off, s[0:3], s33 offset:84 ; 4-byte Folded Reload
	buffer_load_dword v2, off, s[0:3], s33 offset:88 ; 4-byte Folded Reload
	s_waitcnt vmcnt(0)
	v_and_b32_e32 v2, 3, v1
	v_and_b32_e32 v1, 0x7c, v1
	v_cmp_ne_u32_e32 vcc, s86, v1
                                        ; implicit-def: $vgpr1
	s_and_saveexec_b64 s[62:63], vcc
	s_xor_b64 s[36:37], exec, s[62:63]
	s_cbranch_execz .LBB6_12822
; %bb.12821:                            ;   in Loop: Header=BB6_10588 Depth=4
	buffer_load_dword v40, off, s[0:3], s33 offset:84 ; 4-byte Folded Reload
	buffer_load_dword v41, off, s[0:3], s33 offset:88 ; 4-byte Folded Reload
	v_bfe_u32 v1, v27, 2, 5
	v_ffbh_u32_e32 v27, v2
	v_min_u32_e32 v27, 32, v27
	s_waitcnt vmcnt(0)
	v_mov_b32_e32 v41, v33
	v_subrev_u32_e32 v32, 29, v27
	v_sub_u32_e32 v27, 30, v27
	v_cmp_eq_u32_e32 vcc, 0, v1
	v_cndmask_b32_e32 v1, v1, v27, vcc
	v_lshlrev_b32_e32 v27, 24, v40
	v_lshlrev_b64 v[53:54], v32, v[40:41]
	buffer_load_dword v54, off, s[0:3], s33 offset:268 ; 4-byte Folded Reload
	buffer_load_dword v55, off, s[0:3], s33 offset:272 ; 4-byte Folded Reload
	v_and_b32_e32 v32, 3, v53
	v_and_b32_e32 v27, 0x80000000, v27
	v_cndmask_b32_e32 v2, v2, v32, vcc
	v_lshl_add_u32 v1, v1, 23, v27
	v_lshl_or_b32 v1, v2, 21, v1
	v_add_u32_e32 v1, 0x38000000, v1
                                        ; implicit-def: $vgpr27
                                        ; implicit-def: $vgpr2
	buffer_store_dword v27, off, s[0:3], s33 offset:84 ; 4-byte Folded Spill
	s_nop 0
	buffer_store_dword v28, off, s[0:3], s33 offset:88 ; 4-byte Folded Spill
.LBB6_12822:                            ;   in Loop: Header=BB6_10588 Depth=4
	s_andn2_saveexec_b64 s[36:37], s[36:37]
	s_cbranch_execz .LBB6_12824
; %bb.12823:                            ;   in Loop: Header=BB6_10588 Depth=4
	buffer_load_dword v53, off, s[0:3], s33 offset:84 ; 4-byte Folded Reload
	buffer_load_dword v54, off, s[0:3], s33 offset:88 ; 4-byte Folded Reload
	;; [unrolled: 1-line block ×4, first 2 shown]
	v_mov_b32_e32 v1, -1
	v_mov_b32_e32 v27, 0x7f800000
	s_waitcnt vmcnt(3)
	v_cmp_gt_i16_sdwa vcc, sext(v53), v1 src0_sel:BYTE_0 src1_sel:DWORD
	v_mov_b32_e32 v1, 0xff800000
	v_cndmask_b32_e32 v1, v1, v27, vcc
	v_cmp_eq_u32_e32 vcc, 0, v2
	v_mov_b32_e32 v2, 0x7f800001
	v_cndmask_b32_e32 v1, v2, v1, vcc
.LBB6_12824:                            ;   in Loop: Header=BB6_10588 Depth=4
	s_or_b64 exec, exec, s[36:37]
.LBB6_12825:                            ;   in Loop: Header=BB6_10588 Depth=4
	s_or_b64 exec, exec, s[34:35]
.LBB6_12826:                            ;   in Loop: Header=BB6_10588 Depth=4
	s_or_b64 exec, exec, s[28:29]
	v_cmp_ne_u16_e32 vcc, 0, v26
	s_and_saveexec_b64 s[28:29], vcc
	s_cbranch_execz .LBB6_12834
; %bb.12827:                            ;   in Loop: Header=BB6_10588 Depth=4
	v_cmp_ne_u16_e32 vcc, s46, v26
	v_bfrev_b32_e32 v0, 1
	s_and_saveexec_b64 s[34:35], vcc
	s_cbranch_execz .LBB6_12833
; %bb.12828:                            ;   in Loop: Header=BB6_10588 Depth=4
	v_and_b32_e32 v0, 0x7c, v26
	v_and_b32_e32 v2, 3, v26
	v_cmp_ne_u32_e32 vcc, s86, v0
                                        ; implicit-def: $vgpr0
	s_and_saveexec_b64 s[62:63], vcc
	s_xor_b64 s[36:37], exec, s[62:63]
	s_cbranch_execz .LBB6_12830
; %bb.12829:                            ;   in Loop: Header=BB6_10588 Depth=4
	v_ffbh_u32_e32 v32, v2
	v_min_u32_e32 v32, 32, v32
	v_mov_b32_e32 v27, v33
	v_subrev_u32_e32 v51, 29, v32
	s_waitcnt vmcnt(1)
	v_lshlrev_b64 v[53:54], v51, v[26:27]
	buffer_load_dword v54, off, s[0:3], s33 offset:268 ; 4-byte Folded Reload
	buffer_load_dword v55, off, s[0:3], s33 offset:272 ; 4-byte Folded Reload
	v_and_b32_e32 v0, 0xff, v26
	v_bfe_u32 v0, v0, 2, 5
	v_sub_u32_e32 v27, 30, v32
	v_cmp_eq_u32_e32 vcc, 0, v0
	v_and_b32_e32 v32, 3, v53
	v_cndmask_b32_e32 v0, v0, v27, vcc
	v_and_b32_sdwa v26, sext(v26), s87 dst_sel:DWORD dst_unused:UNUSED_PAD src0_sel:WORD_0 src1_sel:DWORD
	v_cndmask_b32_e32 v2, v2, v32, vcc
	v_lshl_add_u32 v0, v0, 23, v26
	v_lshl_or_b32 v0, v2, 21, v0
	v_add_u32_e32 v0, 0x38000000, v0
                                        ; implicit-def: $vgpr2
                                        ; implicit-def: $vgpr26
.LBB6_12830:                            ;   in Loop: Header=BB6_10588 Depth=4
	s_andn2_saveexec_b64 s[36:37], s[36:37]
; %bb.12831:                            ;   in Loop: Header=BB6_10588 Depth=4
	v_cmp_lt_i16_e32 vcc, -1, v26
	v_mov_b32_e32 v0, 0xff800000
	v_mov_b32_e32 v26, 0x7f800000
	v_cndmask_b32_e32 v0, v0, v26, vcc
	v_cmp_eq_u32_e32 vcc, 0, v2
	v_mov_b32_e32 v2, 0x7f800001
	v_cndmask_b32_e32 v0, v2, v0, vcc
; %bb.12832:                            ;   in Loop: Header=BB6_10588 Depth=4
	s_or_b64 exec, exec, s[36:37]
.LBB6_12833:                            ;   in Loop: Header=BB6_10588 Depth=4
	s_or_b64 exec, exec, s[34:35]
.LBB6_12834:                            ;   in Loop: Header=BB6_10588 Depth=4
	s_or_b64 exec, exec, s[28:29]
	v_add_f32_e32 v0, v1, v0
	v_and_b32_e32 v1, 0x7f800000, v0
	v_mov_b32_e32 v2, v33
	v_cmp_ne_u64_e32 vcc, s[76:77], v[1:2]
	v_and_b32_e32 v32, 0x7fffff, v0
                                        ; implicit-def: $vgpr26
	s_and_saveexec_b64 s[28:29], vcc
	s_xor_b64 s[34:35], exec, s[28:29]
	s_cbranch_execz .LBB6_12852
; %bb.12835:                            ;   in Loop: Header=BB6_10588 Depth=4
	v_and_b32_e32 v1, 0x7fffffff, v0
	v_mov_b32_e32 v2, v33
	v_cmp_gt_u64_e32 vcc, s[78:79], v[1:2]
	v_and_b32_sdwa v27, v0, s97 dst_sel:DWORD dst_unused:UNUSED_PAD src0_sel:BYTE_3 src1_sel:DWORD
                                        ; implicit-def: $vgpr26
	s_and_saveexec_b64 s[28:29], vcc
	s_xor_b64 s[36:37], exec, s[28:29]
	s_cbranch_execz .LBB6_12849
; %bb.12836:                            ;   in Loop: Header=BB6_10588 Depth=4
	v_cmp_ne_u32_e32 vcc, 0, v0
	v_mov_b32_e32 v26, 0
	s_and_saveexec_b64 s[38:39], vcc
	s_cbranch_execz .LBB6_12848
; %bb.12837:                            ;   in Loop: Header=BB6_10588 Depth=4
	v_bfe_u32 v26, v0, 23, 8
	v_cmp_gt_u32_e64 s[28:29], s47, v26
	v_sub_u32_e32 v0, 0x71, v26
	v_cmp_eq_u32_e32 vcc, 0, v26
	v_cndmask_b32_e64 v0, 0, v0, s[28:29]
	v_mov_b32_e32 v2, 0x70
	v_cndmask_b32_e32 v51, v0, v2, vcc
	v_add_u32_e32 v2, 21, v51
	v_or_b32_e32 v1, 0x800000, v32
	s_waitcnt vmcnt(1)
	v_lshlrev_b64 v[53:54], v2, -1
	v_cndmask_b32_e32 v0, v1, v32, vcc
	v_mov_b32_e32 v1, v33
	v_add_u32_e32 v2, 20, v51
	v_bfi_b32 v53, v53, 0, v0
	v_lshlrev_b64 v[40:41], v2, 1
	v_lshrrev_b64 v[0:1], v51, v[0:1]
	v_bfi_b32 v54, v54, 0, 0
	v_cmp_eq_u64_e64 s[28:29], v[53:54], v[40:41]
	v_mov_b32_e32 v2, v1
	v_mov_b32_e32 v1, v0
	s_and_saveexec_b64 s[48:49], s[28:29]
; %bb.12838:                            ;   in Loop: Header=BB6_10588 Depth=4
	v_bfe_u32 v1, v0, 21, 1
	v_add_co_u32_e64 v1, s[28:29], v0, v1
	v_add_co_u32_e64 v1, s[28:29], -1, v1
; %bb.12839:                            ;   in Loop: Header=BB6_10588 Depth=4
	s_or_b64 exec, exec, s[48:49]
	v_add_u32_e32 v2, 0xffffff81, v26
	v_mov_b32_e32 v26, 0xffffff82
	v_cndmask_b32_e32 v2, v2, v26, vcc
	v_lshrrev_b32_e32 v26, 23, v0
	v_add3_u32 v51, v51, v2, v26
	v_add_u32_e32 v26, 14, v51
	v_and_b32_e32 v1, 0x1fffff, v1
	v_add_u32_e32 v32, v1, v0
	v_cmp_ne_u32_e32 vcc, 0, v26
                                        ; implicit-def: $vgpr0_vgpr1
                                        ; implicit-def: $vgpr2
	s_and_saveexec_b64 s[28:29], vcc
	s_xor_b64 s[28:29], exec, s[28:29]
; %bb.12840:                            ;   in Loop: Header=BB6_10588 Depth=4
	v_cmp_lt_u64_e32 vcc, s[88:89], v[32:33]
	v_add_u32_e32 v0, 15, v51
	v_cndmask_b32_e32 v2, v26, v0, vcc
	v_cndmask_b32_e64 v0, 0, 1, vcc
	v_lshrrev_b64 v[0:1], v0, v[32:33]
; %bb.12841:                            ;   in Loop: Header=BB6_10588 Depth=4
	s_or_saveexec_b64 s[28:29], s[28:29]
	buffer_load_dword v54, off, s[0:3], s33 offset:268 ; 4-byte Folded Reload
	buffer_load_dword v55, off, s[0:3], s33 offset:272 ; 4-byte Folded Reload
	s_xor_b64 exec, exec, s[28:29]
; %bb.12842:                            ;   in Loop: Header=BB6_10588 Depth=4
	v_mov_b32_e32 v0, v32
	v_mov_b32_e32 v1, v33
	v_bfe_u32 v2, v32, 23, 1
; %bb.12843:                            ;   in Loop: Header=BB6_10588 Depth=4
	s_or_b64 exec, exec, s[28:29]
	v_lshrrev_b64 v[0:1], 21, v[0:1]
	v_cmp_gt_i32_e32 vcc, 32, v2
	v_cndmask_b32_e32 v1, 0, v1, vcc
	v_cndmask_b32_e32 v0, 3, v0, vcc
	v_cmp_ne_u64_e32 vcc, 0, v[0:1]
	v_cmp_ne_u32_e64 s[28:29], 0, v2
	s_or_b64 s[28:29], s[28:29], vcc
                                        ; implicit-def: $vgpr26
	s_and_saveexec_b64 s[62:63], s[28:29]
	s_xor_b64 s[28:29], exec, s[62:63]
; %bb.12844:                            ;   in Loop: Header=BB6_10588 Depth=4
	v_min_i32_e32 v1, 31, v2
	v_lshl_or_b32 v1, v1, 2, v27
	v_and_or_b32 v26, v0, 3, v1
                                        ; implicit-def: $vgpr27
; %bb.12845:                            ;   in Loop: Header=BB6_10588 Depth=4
	s_andn2_saveexec_b64 s[28:29], s[28:29]
; %bb.12846:                            ;   in Loop: Header=BB6_10588 Depth=4
	v_mov_b32_e32 v26, v27
; %bb.12847:                            ;   in Loop: Header=BB6_10588 Depth=4
	s_or_b64 exec, exec, s[28:29]
.LBB6_12848:                            ;   in Loop: Header=BB6_10588 Depth=4
	s_or_b64 exec, exec, s[38:39]
                                        ; implicit-def: $vgpr27
.LBB6_12849:                            ;   in Loop: Header=BB6_10588 Depth=4
	s_andn2_saveexec_b64 s[28:29], s[36:37]
; %bb.12850:                            ;   in Loop: Header=BB6_10588 Depth=4
	v_or_b32_e32 v26, 0x7b, v27
; %bb.12851:                            ;   in Loop: Header=BB6_10588 Depth=4
	s_or_b64 exec, exec, s[28:29]
                                        ; implicit-def: $vgpr0
.LBB6_12852:                            ;   in Loop: Header=BB6_10588 Depth=4
	s_andn2_saveexec_b64 s[28:29], s[34:35]
	s_cbranch_execz .LBB6_12858
; %bb.12853:                            ;   in Loop: Header=BB6_10588 Depth=4
	v_cmp_ne_u64_e32 vcc, 0, v[32:33]
                                        ; implicit-def: $vgpr26
	s_and_saveexec_b64 s[62:63], vcc
	s_xor_b64 vcc, exec, s[62:63]
; %bb.12854:                            ;   in Loop: Header=BB6_10588 Depth=4
	v_or_b32_sdwa v26, v0, s44 dst_sel:DWORD dst_unused:UNUSED_PAD src0_sel:BYTE_3 src1_sel:DWORD
                                        ; implicit-def: $vgpr0
; %bb.12855:                            ;   in Loop: Header=BB6_10588 Depth=4
	s_andn2_saveexec_b64 s[34:35], vcc
; %bb.12856:                            ;   in Loop: Header=BB6_10588 Depth=4
	v_cmp_lt_i32_e32 vcc, -1, v0
	v_mov_b32_e32 v0, 0x7c
	v_cndmask_b32_e32 v26, -4, v0, vcc
; %bb.12857:                            ;   in Loop: Header=BB6_10588 Depth=4
	s_or_b64 exec, exec, s[34:35]
.LBB6_12858:                            ;   in Loop: Header=BB6_10588 Depth=4
	s_or_b64 exec, exec, s[28:29]
	v_and_b32_e32 v27, 0xff, v45
	v_cmp_ne_u16_e32 vcc, 0, v27
	v_mov_b32_e32 v0, 0
	v_mov_b32_e32 v1, 0
	s_and_saveexec_b64 s[28:29], vcc
	s_cbranch_execz .LBB6_12866
; %bb.12859:                            ;   in Loop: Header=BB6_10588 Depth=4
	v_cmp_ne_u16_e32 vcc, s97, v27
	v_bfrev_b32_e32 v1, 1
	s_and_saveexec_b64 s[34:35], vcc
	s_cbranch_execz .LBB6_12865
; %bb.12860:                            ;   in Loop: Header=BB6_10588 Depth=4
	v_and_b32_e32 v1, 0x7c, v45
	v_and_b32_e32 v2, 3, v45
	v_cmp_ne_u32_e32 vcc, s86, v1
                                        ; implicit-def: $vgpr1
	s_and_saveexec_b64 s[62:63], vcc
	s_xor_b64 s[36:37], exec, s[62:63]
	s_cbranch_execz .LBB6_12862
; %bb.12861:                            ;   in Loop: Header=BB6_10588 Depth=4
	v_bfe_u32 v1, v27, 2, 5
	v_ffbh_u32_e32 v27, v2
	v_min_u32_e32 v27, 32, v27
	v_mov_b32_e32 v46, v33
	v_subrev_u32_e32 v32, 29, v27
	s_waitcnt vmcnt(1)
	v_lshlrev_b64 v[53:54], v32, v[45:46]
	buffer_load_dword v54, off, s[0:3], s33 offset:268 ; 4-byte Folded Reload
	buffer_load_dword v55, off, s[0:3], s33 offset:272 ; 4-byte Folded Reload
	v_sub_u32_e32 v27, 30, v27
	v_cmp_eq_u32_e32 vcc, 0, v1
	v_cndmask_b32_e32 v1, v1, v27, vcc
	v_lshlrev_b32_e32 v27, 24, v45
	v_and_b32_e32 v32, 3, v53
	v_and_b32_e32 v27, 0x80000000, v27
	v_cndmask_b32_e32 v2, v2, v32, vcc
	v_lshl_add_u32 v1, v1, 23, v27
	v_lshl_or_b32 v1, v2, 21, v1
	v_add_u32_e32 v1, 0x38000000, v1
                                        ; implicit-def: $vgpr2
                                        ; implicit-def: $vgpr45
.LBB6_12862:                            ;   in Loop: Header=BB6_10588 Depth=4
	s_andn2_saveexec_b64 s[36:37], s[36:37]
; %bb.12863:                            ;   in Loop: Header=BB6_10588 Depth=4
	v_mov_b32_e32 v1, -1
	v_cmp_gt_i16_sdwa vcc, sext(v45), v1 src0_sel:BYTE_0 src1_sel:DWORD
	v_mov_b32_e32 v1, 0xff800000
	v_mov_b32_e32 v27, 0x7f800000
	v_cndmask_b32_e32 v1, v1, v27, vcc
	v_cmp_eq_u32_e32 vcc, 0, v2
	v_mov_b32_e32 v2, 0x7f800001
	v_cndmask_b32_e32 v1, v2, v1, vcc
; %bb.12864:                            ;   in Loop: Header=BB6_10588 Depth=4
	s_or_b64 exec, exec, s[36:37]
.LBB6_12865:                            ;   in Loop: Header=BB6_10588 Depth=4
	s_or_b64 exec, exec, s[34:35]
.LBB6_12866:                            ;   in Loop: Header=BB6_10588 Depth=4
	s_or_b64 exec, exec, s[28:29]
	s_waitcnt vmcnt(1)
	v_cmp_ne_u16_e32 vcc, 0, v54
	s_and_saveexec_b64 s[28:29], vcc
	s_cbranch_execz .LBB6_12874
; %bb.12867:                            ;   in Loop: Header=BB6_10588 Depth=4
	v_cmp_ne_u16_e32 vcc, s46, v54
	v_bfrev_b32_e32 v0, 1
	s_and_saveexec_b64 s[34:35], vcc
	s_cbranch_execz .LBB6_12873
; %bb.12868:                            ;   in Loop: Header=BB6_10588 Depth=4
	v_and_b32_e32 v0, 0x7c, v54
	v_and_b32_e32 v2, 3, v54
	v_cmp_ne_u32_e32 vcc, s86, v0
                                        ; implicit-def: $vgpr0
	s_and_saveexec_b64 s[62:63], vcc
	s_xor_b64 s[36:37], exec, s[62:63]
	s_cbranch_execz .LBB6_12870
; %bb.12869:                            ;   in Loop: Header=BB6_10588 Depth=4
	v_ffbh_u32_e32 v27, v2
	s_waitcnt vmcnt(0)
	v_mov_b32_e32 v55, v33
	v_min_u32_e32 v27, 32, v27
	v_mov_b32_e32 v40, v54
	v_and_b32_e32 v0, 0xff, v54
	v_subrev_u32_e32 v32, 29, v27
	v_mov_b32_e32 v41, v55
	v_bfe_u32 v0, v0, 2, 5
	v_lshlrev_b64 v[53:54], v32, v[40:41]
	v_sub_u32_e32 v27, 30, v27
	v_cmp_eq_u32_e32 vcc, 0, v0
	v_and_b32_e32 v32, 3, v53
	v_cndmask_b32_e32 v0, v0, v27, vcc
	v_and_b32_sdwa v27, sext(v40), s87 dst_sel:DWORD dst_unused:UNUSED_PAD src0_sel:WORD_0 src1_sel:DWORD
	v_cndmask_b32_e32 v2, v2, v32, vcc
	v_lshl_add_u32 v0, v0, 23, v27
	v_lshl_or_b32 v0, v2, 21, v0
	v_add_u32_e32 v0, 0x38000000, v0
                                        ; implicit-def: $vgpr2
                                        ; implicit-def: $vgpr54
.LBB6_12870:                            ;   in Loop: Header=BB6_10588 Depth=4
	s_andn2_saveexec_b64 s[36:37], s[36:37]
; %bb.12871:                            ;   in Loop: Header=BB6_10588 Depth=4
	v_cmp_lt_i16_e32 vcc, -1, v54
	v_mov_b32_e32 v0, 0xff800000
	v_mov_b32_e32 v27, 0x7f800000
	v_cndmask_b32_e32 v0, v0, v27, vcc
	v_cmp_eq_u32_e32 vcc, 0, v2
	v_mov_b32_e32 v2, 0x7f800001
	v_cndmask_b32_e32 v0, v2, v0, vcc
; %bb.12872:                            ;   in Loop: Header=BB6_10588 Depth=4
	s_or_b64 exec, exec, s[36:37]
.LBB6_12873:                            ;   in Loop: Header=BB6_10588 Depth=4
	s_or_b64 exec, exec, s[34:35]
.LBB6_12874:                            ;   in Loop: Header=BB6_10588 Depth=4
	s_or_b64 exec, exec, s[28:29]
	v_add_f32_e32 v0, v1, v0
	v_and_b32_e32 v1, 0x7f800000, v0
	v_mov_b32_e32 v2, v33
	v_cmp_ne_u64_e32 vcc, s[76:77], v[1:2]
	v_and_b32_e32 v32, 0x7fffff, v0
                                        ; implicit-def: $vgpr1
	s_and_saveexec_b64 s[28:29], vcc
	s_xor_b64 s[34:35], exec, s[28:29]
	s_cbranch_execz .LBB6_12892
; %bb.12875:                            ;   in Loop: Header=BB6_10588 Depth=4
	v_and_b32_e32 v1, 0x7fffffff, v0
	v_mov_b32_e32 v2, v33
	v_cmp_gt_u64_e32 vcc, s[78:79], v[1:2]
	v_and_b32_sdwa v27, v0, s97 dst_sel:DWORD dst_unused:UNUSED_PAD src0_sel:BYTE_3 src1_sel:DWORD
                                        ; implicit-def: $vgpr1
	s_and_saveexec_b64 s[28:29], vcc
	s_xor_b64 s[36:37], exec, s[28:29]
	s_cbranch_execz .LBB6_12889
; %bb.12876:                            ;   in Loop: Header=BB6_10588 Depth=4
	v_cmp_ne_u32_e32 vcc, 0, v0
	v_mov_b32_e32 v1, 0
	s_and_saveexec_b64 s[38:39], vcc
	s_cbranch_execz .LBB6_12888
; %bb.12877:                            ;   in Loop: Header=BB6_10588 Depth=4
	v_bfe_u32 v51, v0, 23, 8
	v_cmp_gt_u32_e64 s[28:29], s47, v51
	v_sub_u32_e32 v0, 0x71, v51
	v_cmp_eq_u32_e32 vcc, 0, v51
	v_cndmask_b32_e64 v0, 0, v0, s[28:29]
	v_mov_b32_e32 v2, 0x70
	v_cndmask_b32_e32 v53, v0, v2, vcc
	v_add_u32_e32 v2, 21, v53
	v_or_b32_e32 v1, 0x800000, v32
	s_waitcnt vmcnt(0)
	v_lshlrev_b64 v[54:55], v2, -1
	v_cndmask_b32_e32 v0, v1, v32, vcc
	v_mov_b32_e32 v1, v33
	v_add_u32_e32 v2, 20, v53
	v_bfi_b32 v54, v54, 0, v0
	v_lshlrev_b64 v[40:41], v2, 1
	v_lshrrev_b64 v[0:1], v53, v[0:1]
	v_bfi_b32 v55, v55, 0, 0
	v_cmp_eq_u64_e64 s[28:29], v[54:55], v[40:41]
	v_mov_b32_e32 v2, v1
	v_mov_b32_e32 v1, v0
	s_and_saveexec_b64 s[48:49], s[28:29]
; %bb.12878:                            ;   in Loop: Header=BB6_10588 Depth=4
	v_bfe_u32 v1, v0, 21, 1
	v_add_co_u32_e64 v1, s[28:29], v0, v1
	v_add_co_u32_e64 v1, s[28:29], -1, v1
; %bb.12879:                            ;   in Loop: Header=BB6_10588 Depth=4
	s_or_b64 exec, exec, s[48:49]
	v_add_u32_e32 v2, 0xffffff81, v51
	v_mov_b32_e32 v32, 0xffffff82
	v_cndmask_b32_e32 v2, v2, v32, vcc
	v_lshrrev_b32_e32 v32, 23, v0
	v_add3_u32 v53, v53, v2, v32
	v_add_u32_e32 v51, 14, v53
	v_and_b32_e32 v1, 0x1fffff, v1
	v_add_u32_e32 v32, v1, v0
	v_cmp_ne_u32_e32 vcc, 0, v51
                                        ; implicit-def: $vgpr0_vgpr1
                                        ; implicit-def: $vgpr2
	s_and_saveexec_b64 s[28:29], vcc
	s_xor_b64 s[28:29], exec, s[28:29]
; %bb.12880:                            ;   in Loop: Header=BB6_10588 Depth=4
	v_cmp_lt_u64_e32 vcc, s[88:89], v[32:33]
	v_add_u32_e32 v0, 15, v53
	v_cndmask_b32_e32 v2, v51, v0, vcc
	v_cndmask_b32_e64 v0, 0, 1, vcc
	v_lshrrev_b64 v[0:1], v0, v[32:33]
; %bb.12881:                            ;   in Loop: Header=BB6_10588 Depth=4
	s_andn2_saveexec_b64 s[28:29], s[28:29]
; %bb.12882:                            ;   in Loop: Header=BB6_10588 Depth=4
	v_mov_b32_e32 v0, v32
	v_mov_b32_e32 v1, v33
	v_bfe_u32 v2, v32, 23, 1
; %bb.12883:                            ;   in Loop: Header=BB6_10588 Depth=4
	s_or_b64 exec, exec, s[28:29]
	v_lshrrev_b64 v[0:1], 21, v[0:1]
	v_cmp_gt_i32_e32 vcc, 32, v2
	v_cndmask_b32_e32 v1, 0, v1, vcc
	v_cndmask_b32_e32 v0, 3, v0, vcc
	v_cmp_ne_u64_e32 vcc, 0, v[0:1]
	v_cmp_ne_u32_e64 s[28:29], 0, v2
	s_or_b64 s[28:29], s[28:29], vcc
                                        ; implicit-def: $vgpr1
	s_and_saveexec_b64 s[62:63], s[28:29]
	s_xor_b64 s[28:29], exec, s[62:63]
; %bb.12884:                            ;   in Loop: Header=BB6_10588 Depth=4
	v_min_i32_e32 v1, 31, v2
	v_lshl_or_b32 v1, v1, 2, v27
	v_and_or_b32 v1, v0, 3, v1
                                        ; implicit-def: $vgpr27
; %bb.12885:                            ;   in Loop: Header=BB6_10588 Depth=4
	s_andn2_saveexec_b64 s[28:29], s[28:29]
; %bb.12886:                            ;   in Loop: Header=BB6_10588 Depth=4
	v_mov_b32_e32 v1, v27
; %bb.12887:                            ;   in Loop: Header=BB6_10588 Depth=4
	s_or_b64 exec, exec, s[28:29]
.LBB6_12888:                            ;   in Loop: Header=BB6_10588 Depth=4
	s_or_b64 exec, exec, s[38:39]
                                        ; implicit-def: $vgpr27
.LBB6_12889:                            ;   in Loop: Header=BB6_10588 Depth=4
	s_andn2_saveexec_b64 s[28:29], s[36:37]
; %bb.12890:                            ;   in Loop: Header=BB6_10588 Depth=4
	v_or_b32_e32 v1, 0x7b, v27
; %bb.12891:                            ;   in Loop: Header=BB6_10588 Depth=4
	s_or_b64 exec, exec, s[28:29]
                                        ; implicit-def: $vgpr0
.LBB6_12892:                            ;   in Loop: Header=BB6_10588 Depth=4
	s_andn2_saveexec_b64 s[28:29], s[34:35]
	s_cbranch_execz .LBB6_10587
; %bb.12893:                            ;   in Loop: Header=BB6_10588 Depth=4
	v_cmp_ne_u64_e32 vcc, 0, v[32:33]
                                        ; implicit-def: $vgpr1
	s_and_saveexec_b64 s[62:63], vcc
	s_xor_b64 vcc, exec, s[62:63]
; %bb.12894:                            ;   in Loop: Header=BB6_10588 Depth=4
	v_or_b32_sdwa v1, v0, s44 dst_sel:DWORD dst_unused:UNUSED_PAD src0_sel:BYTE_3 src1_sel:DWORD
                                        ; implicit-def: $vgpr0
; %bb.12895:                            ;   in Loop: Header=BB6_10588 Depth=4
	s_andn2_saveexec_b64 s[34:35], vcc
	s_cbranch_execz .LBB6_10586
; %bb.12896:                            ;   in Loop: Header=BB6_10588 Depth=4
	v_cmp_lt_i32_e32 vcc, -1, v0
	v_mov_b32_e32 v0, 0x7c
	v_cndmask_b32_e32 v1, -4, v0, vcc
	s_branch .LBB6_10586
.LBB6_12897:                            ;   in Loop: Header=BB6_5390 Depth=3
	s_or_b64 exec, exec, s[30:31]
	buffer_load_dword v4, off, s[0:3], s33 offset:288 ; 4-byte Folded Reload
	buffer_load_dword v5, off, s[0:3], s33 offset:296 ; 4-byte Folded Reload
	;; [unrolled: 1-line block ×5, first 2 shown]
.LBB6_12898:                            ;   in Loop: Header=BB6_5390 Depth=3
	s_or_b64 exec, exec, s[42:43]
	s_waitcnt vmcnt(0)
	v_lshlrev_b32_e32 v0, 11, v1
	v_cmp_ne_u32_e32 vcc, v5, v0
	s_and_b64 exec, exec, vcc
	s_cbranch_execz .LBB6_12980
; %bb.12899:                            ;   in Loop: Header=BB6_5390 Depth=3
	v_lshlrev_b32_e32 v1, 6, v3
	v_sub_u32_e32 v1, v2, v1
	v_lshlrev_b32_e32 v2, 6, v34
	v_sub_u32_e32 v1, v1, v2
	v_add_u32_e32 v0, v0, v1
	v_sub_u32_e32 v10, v5, v0
	v_cmp_lt_i32_e32 vcc, 0, v10
	s_and_b64 exec, exec, vcc
	s_cbranch_execz .LBB6_12980
; %bb.12900:                            ;   in Loop: Header=BB6_5390 Depth=3
	v_add_u32_e32 v6, v0, v4
	s_trap 2
	ds_read_b128 v[0:3], v0
	v_ashrrev_i32_e32 v7, 31, v6
	s_mov_b64 s[42:43], 0
	s_waitcnt lgkmcnt(0)
	v_add_co_u32_e32 v0, vcc, v0, v6
	ds_read_b64 v[4:5], v0
	v_addc_co_u32_e32 v1, vcc, v1, v7, vcc
	v_add_co_u32_e32 v2, vcc, v2, v6
	v_addc_co_u32_e32 v3, vcc, v3, v7, vcc
	s_waitcnt lgkmcnt(0)
	v_add_co_u32_e32 v4, vcc, v4, v6
	v_addc_co_u32_e32 v5, vcc, v5, v7, vcc
	s_branch .LBB6_12903
.LBB6_12901:                            ;   in Loop: Header=BB6_12903 Depth=4
	s_or_b64 exec, exec, s[30:31]
.LBB6_12902:                            ;   in Loop: Header=BB6_12903 Depth=4
	s_or_b64 exec, exec, s[28:29]
	buffer_load_dword v6, off, s[0:3], s33 offset:404 ; 4-byte Folded Reload
	s_waitcnt vmcnt(0)
	v_add_co_u32_e32 v0, vcc, v0, v6
	v_addc_co_u32_e32 v1, vcc, 0, v1, vcc
	v_add_co_u32_e32 v2, vcc, v2, v6
	v_addc_co_u32_e32 v3, vcc, 0, v3, vcc
	v_sub_u32_e32 v10, v10, v6
	v_cmp_gt_i32_e32 vcc, 1, v10
	flat_store_byte v[4:5], v7 glc slc
	s_or_b64 s[42:43], vcc, s[42:43]
	v_add_co_u32_e32 v4, vcc, v4, v6
	v_addc_co_u32_e32 v5, vcc, 0, v5, vcc
	s_andn2_b64 exec, exec, s[42:43]
	s_cbranch_execz .LBB6_12980
.LBB6_12903:                            ;   Parent Loop BB6_47 Depth=1
                                        ;     Parent Loop BB6_5387 Depth=2
                                        ;       Parent Loop BB6_5390 Depth=3
                                        ; =>      This Inner Loop Header: Depth=4
	s_trap 2
	ds_read_b64 v[6:7], v0
	v_mov_b32_e32 v8, 0
	s_waitcnt lgkmcnt(0)
	v_cmp_eq_u32_sdwa s[62:63], v6, v33 src0_sel:BYTE_0 src1_sel:DWORD
	v_readfirstlane_b32 s28, v6
	v_readfirstlane_b32 s29, v7
	v_mov_b32_e32 v7, 0
	s_and_b64 vcc, exec, s[62:63]
	s_cbranch_vccnz .LBB6_12909
; %bb.12904:                            ;   in Loop: Header=BB6_12903 Depth=4
	s_bfe_i32 s63, s28, 0x80000
	s_and_b32 s62, 0xffff, s63
	s_cmpk_eq_u32 s62, 0xff80
	v_bfrev_b32_e32 v8, 1
	s_cbranch_scc1 .LBB6_12909
; %bb.12905:                            ;   in Loop: Header=BB6_12903 Depth=4
	s_and_b32 s62, s28, 3
	s_and_b32 s30, s28, 0x7c
	s_mov_b64 vcc, -1
	s_cmpk_lg_i32 s30, 0x7c
	s_sext_i32_i16 s63, s63
                                        ; implicit-def: $sgpr30
	s_cbranch_scc0 .LBB6_12907
; %bb.12906:                            ;   in Loop: Header=BB6_12903 Depth=4
	s_flbit_i32_b32 vcc_hi, s62
	s_min_u32 vcc_hi, vcc_hi, 32
	s_sub_i32 s30, vcc_hi, 29
	s_bfe_u32 vcc_lo, s28, 0x50002
	s_lshl_b64 s[28:29], s[28:29], s30
	s_sub_i32 s29, 30, vcc_hi
	s_and_b32 s28, s28, 3
	s_cmp_eq_u32 vcc_lo, 0
	s_cselect_b32 s29, s29, vcc_lo
	s_cselect_b32 s28, s28, s62
	s_and_b32 vcc_lo, s63, 0x80000000
	s_lshl_b32 s29, s29, 23
	s_add_i32 s29, s29, vcc_lo
	s_lshl_b32 s28, s28, 21
	s_or_b32 s28, s29, s28
	s_add_i32 s30, s28, 0x38000000
	s_mov_b64 vcc, 0
.LBB6_12907:                            ;   in Loop: Header=BB6_12903 Depth=4
	s_andn2_b64 vcc, exec, vcc
	v_mov_b32_e32 v8, s30
	s_cbranch_vccnz .LBB6_12909
; %bb.12908:                            ;   in Loop: Header=BB6_12903 Depth=4
	s_cmp_eq_u32 s62, 0
	s_cselect_b64 vcc, -1, 0
	s_cmp_gt_i32 s63, -1
	s_cselect_b64 s[28:29], -1, 0
	v_mov_b32_e32 v6, 0xff800000
	v_mov_b32_e32 v8, 0x7f800000
	v_cndmask_b32_e64 v6, v6, v8, s[28:29]
	v_mov_b32_e32 v8, 0x7f800001
	v_cndmask_b32_e32 v8, v8, v6, vcc
.LBB6_12909:                            ;   in Loop: Header=BB6_12903 Depth=4
	flat_load_sbyte v6, v[0:1] glc slc
	s_waitcnt vmcnt(0) lgkmcnt(0)
	v_cmp_ne_u16_e32 vcc, 0, v6
	s_and_saveexec_b64 s[28:29], vcc
	s_cbranch_execz .LBB6_12917
; %bb.12910:                            ;   in Loop: Header=BB6_12903 Depth=4
	v_cmp_ne_u16_e32 vcc, s46, v6
	v_bfrev_b32_e32 v7, 1
	s_and_saveexec_b64 s[30:31], vcc
	s_cbranch_execz .LBB6_12916
; %bb.12911:                            ;   in Loop: Header=BB6_12903 Depth=4
	v_and_b32_e32 v7, 0x7c, v6
	v_and_b32_e32 v9, 3, v6
	v_cmp_ne_u32_e32 vcc, s86, v7
                                        ; implicit-def: $vgpr7
	s_and_saveexec_b64 s[62:63], vcc
	s_xor_b64 s[34:35], exec, s[62:63]
	s_cbranch_execz .LBB6_12913
; %bb.12912:                            ;   in Loop: Header=BB6_12903 Depth=4
	v_and_b32_e32 v11, 0xff, v6
	v_bfe_u32 v13, v11, 2, 5
	v_ffbh_u32_e32 v11, v9
	v_min_u32_e32 v14, 32, v11
	v_mov_b32_e32 v7, v33
	v_subrev_u32_e32 v11, 29, v14
	v_lshlrev_b64 v[11:12], v11, v[6:7]
	v_sub_u32_e32 v7, 30, v14
	v_cmp_eq_u32_e32 vcc, 0, v13
	v_and_b32_e32 v11, 3, v11
	v_cndmask_b32_e32 v7, v13, v7, vcc
	v_and_b32_sdwa v6, sext(v6), s87 dst_sel:DWORD dst_unused:UNUSED_PAD src0_sel:WORD_0 src1_sel:DWORD
	v_cndmask_b32_e32 v9, v9, v11, vcc
	v_lshl_add_u32 v6, v7, 23, v6
	v_lshl_or_b32 v6, v9, 21, v6
	v_add_u32_e32 v7, 0x38000000, v6
                                        ; implicit-def: $vgpr9
                                        ; implicit-def: $vgpr6
.LBB6_12913:                            ;   in Loop: Header=BB6_12903 Depth=4
	s_andn2_saveexec_b64 s[34:35], s[34:35]
; %bb.12914:                            ;   in Loop: Header=BB6_12903 Depth=4
	v_cmp_lt_i16_e32 vcc, -1, v6
	v_mov_b32_e32 v6, 0xff800000
	v_mov_b32_e32 v7, 0x7f800000
	v_cndmask_b32_e32 v6, v6, v7, vcc
	v_cmp_eq_u32_e32 vcc, 0, v9
	v_mov_b32_e32 v7, 0x7f800001
	v_cndmask_b32_e32 v7, v7, v6, vcc
; %bb.12915:                            ;   in Loop: Header=BB6_12903 Depth=4
	s_or_b64 exec, exec, s[34:35]
.LBB6_12916:                            ;   in Loop: Header=BB6_12903 Depth=4
	s_or_b64 exec, exec, s[30:31]
.LBB6_12917:                            ;   in Loop: Header=BB6_12903 Depth=4
	s_or_b64 exec, exec, s[28:29]
	v_mul_f32_e32 v7, v8, v7
	v_and_b32_e32 v8, 0x7f800000, v7
	v_mov_b32_e32 v9, v33
	v_cmp_ne_u64_e32 vcc, s[76:77], v[8:9]
	v_and_b32_e32 v32, 0x7fffff, v7
                                        ; implicit-def: $vgpr6
	s_and_saveexec_b64 s[28:29], vcc
	s_xor_b64 s[30:31], exec, s[28:29]
	s_cbranch_execz .LBB6_12935
; %bb.12918:                            ;   in Loop: Header=BB6_12903 Depth=4
	v_and_b32_e32 v8, 0x7fffffff, v7
	v_mov_b32_e32 v9, v33
	v_cmp_gt_u64_e32 vcc, s[78:79], v[8:9]
	v_and_b32_sdwa v9, v7, s97 dst_sel:DWORD dst_unused:UNUSED_PAD src0_sel:BYTE_3 src1_sel:DWORD
                                        ; implicit-def: $vgpr6
	s_and_saveexec_b64 s[28:29], vcc
	s_xor_b64 s[34:35], exec, s[28:29]
	s_cbranch_execz .LBB6_12932
; %bb.12919:                            ;   in Loop: Header=BB6_12903 Depth=4
	v_cmp_ne_u32_e32 vcc, 0, v7
	v_mov_b32_e32 v6, 0
	s_and_saveexec_b64 s[36:37], vcc
	s_cbranch_execz .LBB6_12931
; %bb.12920:                            ;   in Loop: Header=BB6_12903 Depth=4
	v_bfe_u32 v11, v7, 23, 8
	v_cmp_gt_u32_e64 s[28:29], s47, v11
	v_sub_u32_e32 v6, 0x71, v11
	v_cmp_eq_u32_e32 vcc, 0, v11
	v_cndmask_b32_e64 v6, 0, v6, s[28:29]
	v_mov_b32_e32 v8, 0x70
	v_cndmask_b32_e32 v12, v6, v8, vcc
	v_add_u32_e32 v8, 21, v12
	v_or_b32_e32 v7, 0x800000, v32
	v_lshlrev_b64 v[13:14], v8, -1
	v_cndmask_b32_e32 v6, v7, v32, vcc
	v_mov_b32_e32 v7, v33
	v_add_u32_e32 v8, 20, v12
	v_bfi_b32 v13, v13, 0, v6
	v_lshlrev_b64 v[15:16], v8, 1
	v_lshrrev_b64 v[6:7], v12, v[6:7]
	v_bfi_b32 v14, v14, 0, 0
	v_cmp_eq_u64_e64 s[28:29], v[13:14], v[15:16]
	v_mov_b32_e32 v8, v7
	v_mov_b32_e32 v7, v6
	s_and_saveexec_b64 s[38:39], s[28:29]
; %bb.12921:                            ;   in Loop: Header=BB6_12903 Depth=4
	v_bfe_u32 v7, v6, 21, 1
	v_add_co_u32_e64 v7, s[28:29], v6, v7
	v_add_co_u32_e64 v7, s[28:29], -1, v7
; %bb.12922:                            ;   in Loop: Header=BB6_12903 Depth=4
	s_or_b64 exec, exec, s[38:39]
	v_add_u32_e32 v8, 0xffffff81, v11
	v_mov_b32_e32 v11, 0xffffff82
	v_cndmask_b32_e32 v8, v8, v11, vcc
	v_lshrrev_b32_e32 v11, 23, v6
	v_add3_u32 v12, v12, v8, v11
	v_add_u32_e32 v8, 14, v12
	v_and_b32_e32 v7, 0x1fffff, v7
	v_add_u32_e32 v32, v7, v6
	v_cmp_ne_u32_e32 vcc, 0, v8
                                        ; implicit-def: $vgpr6_vgpr7
                                        ; implicit-def: $vgpr11
	s_and_saveexec_b64 s[28:29], vcc
	s_xor_b64 s[28:29], exec, s[28:29]
; %bb.12923:                            ;   in Loop: Header=BB6_12903 Depth=4
	v_cmp_lt_u64_e32 vcc, s[88:89], v[32:33]
	v_add_u32_e32 v6, 15, v12
	v_cndmask_b32_e32 v11, v8, v6, vcc
	v_cndmask_b32_e64 v6, 0, 1, vcc
	v_lshrrev_b64 v[6:7], v6, v[32:33]
; %bb.12924:                            ;   in Loop: Header=BB6_12903 Depth=4
	s_andn2_saveexec_b64 s[28:29], s[28:29]
; %bb.12925:                            ;   in Loop: Header=BB6_12903 Depth=4
	v_mov_b32_e32 v6, v32
	v_mov_b32_e32 v7, v33
	v_bfe_u32 v11, v32, 23, 1
; %bb.12926:                            ;   in Loop: Header=BB6_12903 Depth=4
	s_or_b64 exec, exec, s[28:29]
	v_lshrrev_b64 v[6:7], 21, v[6:7]
	v_cmp_gt_i32_e32 vcc, 32, v11
	v_cndmask_b32_e32 v8, 0, v7, vcc
	v_cndmask_b32_e32 v7, 3, v6, vcc
	v_cmp_ne_u64_e32 vcc, 0, v[7:8]
	v_cmp_ne_u32_e64 s[28:29], 0, v11
	s_or_b64 s[28:29], s[28:29], vcc
                                        ; implicit-def: $vgpr6
	s_and_saveexec_b64 s[62:63], s[28:29]
	s_xor_b64 s[28:29], exec, s[62:63]
; %bb.12927:                            ;   in Loop: Header=BB6_12903 Depth=4
	v_min_i32_e32 v6, 31, v11
	v_lshl_or_b32 v6, v6, 2, v9
	v_and_or_b32 v6, v7, 3, v6
                                        ; implicit-def: $vgpr9
; %bb.12928:                            ;   in Loop: Header=BB6_12903 Depth=4
	s_andn2_saveexec_b64 s[28:29], s[28:29]
; %bb.12929:                            ;   in Loop: Header=BB6_12903 Depth=4
	v_mov_b32_e32 v6, v9
; %bb.12930:                            ;   in Loop: Header=BB6_12903 Depth=4
	s_or_b64 exec, exec, s[28:29]
.LBB6_12931:                            ;   in Loop: Header=BB6_12903 Depth=4
	s_or_b64 exec, exec, s[36:37]
                                        ; implicit-def: $vgpr9
.LBB6_12932:                            ;   in Loop: Header=BB6_12903 Depth=4
	s_andn2_saveexec_b64 s[28:29], s[34:35]
; %bb.12933:                            ;   in Loop: Header=BB6_12903 Depth=4
	v_or_b32_e32 v6, 0x7b, v9
; %bb.12934:                            ;   in Loop: Header=BB6_12903 Depth=4
	s_or_b64 exec, exec, s[28:29]
                                        ; implicit-def: $vgpr7
.LBB6_12935:                            ;   in Loop: Header=BB6_12903 Depth=4
	s_andn2_saveexec_b64 s[28:29], s[30:31]
	s_cbranch_execz .LBB6_12941
; %bb.12936:                            ;   in Loop: Header=BB6_12903 Depth=4
	v_cmp_ne_u64_e32 vcc, 0, v[32:33]
                                        ; implicit-def: $vgpr6
	s_and_saveexec_b64 s[62:63], vcc
	s_xor_b64 vcc, exec, s[62:63]
; %bb.12937:                            ;   in Loop: Header=BB6_12903 Depth=4
	v_or_b32_sdwa v6, v7, s44 dst_sel:DWORD dst_unused:UNUSED_PAD src0_sel:BYTE_3 src1_sel:DWORD
                                        ; implicit-def: $vgpr7
; %bb.12938:                            ;   in Loop: Header=BB6_12903 Depth=4
	s_andn2_saveexec_b64 s[30:31], vcc
; %bb.12939:                            ;   in Loop: Header=BB6_12903 Depth=4
	v_cmp_lt_i32_e32 vcc, -1, v7
	v_mov_b32_e32 v6, 0x7c
	v_cndmask_b32_e32 v6, -4, v6, vcc
; %bb.12940:                            ;   in Loop: Header=BB6_12903 Depth=4
	s_or_b64 exec, exec, s[30:31]
.LBB6_12941:                            ;   in Loop: Header=BB6_12903 Depth=4
	s_or_b64 exec, exec, s[28:29]
	flat_load_sbyte v8, v[2:3] glc slc
	v_and_b32_e32 v12, 0xff, v6
	v_cmp_ne_u16_e32 vcc, 0, v12
	v_mov_b32_e32 v9, 0
	v_mov_b32_e32 v7, 0
	s_and_saveexec_b64 s[28:29], vcc
	s_cbranch_execz .LBB6_12949
; %bb.12942:                            ;   in Loop: Header=BB6_12903 Depth=4
	v_cmp_ne_u16_e32 vcc, s97, v12
	v_bfrev_b32_e32 v7, 1
	s_and_saveexec_b64 s[30:31], vcc
	s_cbranch_execz .LBB6_12948
; %bb.12943:                            ;   in Loop: Header=BB6_12903 Depth=4
	v_and_b32_e32 v7, 0x7c, v6
	v_and_b32_e32 v11, 3, v6
	v_cmp_ne_u32_e32 vcc, s86, v7
                                        ; implicit-def: $vgpr7
	s_and_saveexec_b64 s[62:63], vcc
	s_xor_b64 s[34:35], exec, s[62:63]
	s_cbranch_execz .LBB6_12945
; %bb.12944:                            ;   in Loop: Header=BB6_12903 Depth=4
	v_bfe_u32 v14, v12, 2, 5
	v_ffbh_u32_e32 v12, v11
	v_min_u32_e32 v15, 32, v12
	v_mov_b32_e32 v7, v33
	v_subrev_u32_e32 v12, 29, v15
	v_lshlrev_b64 v[12:13], v12, v[6:7]
	v_sub_u32_e32 v7, 30, v15
	v_cmp_eq_u32_e32 vcc, 0, v14
	v_lshlrev_b32_e32 v6, 24, v6
	v_and_b32_e32 v12, 3, v12
	v_cndmask_b32_e32 v7, v14, v7, vcc
	v_and_b32_e32 v6, 0x80000000, v6
	v_cndmask_b32_e32 v11, v11, v12, vcc
	v_lshl_add_u32 v6, v7, 23, v6
	v_lshl_or_b32 v6, v11, 21, v6
	v_add_u32_e32 v7, 0x38000000, v6
                                        ; implicit-def: $vgpr11
                                        ; implicit-def: $vgpr6
.LBB6_12945:                            ;   in Loop: Header=BB6_12903 Depth=4
	s_andn2_saveexec_b64 s[34:35], s[34:35]
; %bb.12946:                            ;   in Loop: Header=BB6_12903 Depth=4
	v_mov_b32_e32 v7, -1
	v_cmp_gt_i16_sdwa vcc, sext(v6), v7 src0_sel:BYTE_0 src1_sel:DWORD
	v_mov_b32_e32 v6, 0xff800000
	v_mov_b32_e32 v7, 0x7f800000
	v_cndmask_b32_e32 v6, v6, v7, vcc
	v_cmp_eq_u32_e32 vcc, 0, v11
	v_mov_b32_e32 v7, 0x7f800001
	v_cndmask_b32_e32 v7, v7, v6, vcc
; %bb.12947:                            ;   in Loop: Header=BB6_12903 Depth=4
	s_or_b64 exec, exec, s[34:35]
.LBB6_12948:                            ;   in Loop: Header=BB6_12903 Depth=4
	s_or_b64 exec, exec, s[30:31]
.LBB6_12949:                            ;   in Loop: Header=BB6_12903 Depth=4
	s_or_b64 exec, exec, s[28:29]
	s_waitcnt vmcnt(0) lgkmcnt(0)
	v_cmp_ne_u16_e32 vcc, 0, v8
	s_and_saveexec_b64 s[28:29], vcc
	s_cbranch_execz .LBB6_12957
; %bb.12950:                            ;   in Loop: Header=BB6_12903 Depth=4
	v_cmp_ne_u16_e32 vcc, s46, v8
	v_bfrev_b32_e32 v9, 1
	s_and_saveexec_b64 s[30:31], vcc
	s_cbranch_execz .LBB6_12956
; %bb.12951:                            ;   in Loop: Header=BB6_12903 Depth=4
	v_and_b32_e32 v9, 0x7c, v8
	v_and_b32_e32 v6, 3, v8
	v_cmp_ne_u32_e32 vcc, s86, v9
                                        ; implicit-def: $vgpr9
	s_and_saveexec_b64 s[62:63], vcc
	s_xor_b64 s[34:35], exec, s[62:63]
	s_cbranch_execz .LBB6_12953
; %bb.12952:                            ;   in Loop: Header=BB6_12903 Depth=4
	v_ffbh_u32_e32 v13, v6
	v_and_b32_e32 v9, 0xff, v8
	v_min_u32_e32 v13, 32, v13
	v_bfe_u32 v11, v9, 2, 5
	v_mov_b32_e32 v9, v33
	v_subrev_u32_e32 v14, 29, v13
	v_and_b32_sdwa v12, sext(v8), s87 dst_sel:DWORD dst_unused:UNUSED_PAD src0_sel:WORD_0 src1_sel:DWORD
	v_lshlrev_b64 v[8:9], v14, v[8:9]
	v_sub_u32_e32 v9, 30, v13
	v_cmp_eq_u32_e32 vcc, 0, v11
	v_and_b32_e32 v8, 3, v8
	v_cndmask_b32_e32 v9, v11, v9, vcc
	v_cndmask_b32_e32 v6, v6, v8, vcc
	v_lshl_add_u32 v8, v9, 23, v12
	v_lshl_or_b32 v6, v6, 21, v8
	v_add_u32_e32 v9, 0x38000000, v6
                                        ; implicit-def: $vgpr8
                                        ; implicit-def: $vgpr6
.LBB6_12953:                            ;   in Loop: Header=BB6_12903 Depth=4
	s_andn2_saveexec_b64 s[34:35], s[34:35]
; %bb.12954:                            ;   in Loop: Header=BB6_12903 Depth=4
	v_cmp_lt_i16_e32 vcc, -1, v8
	v_mov_b32_e32 v8, 0xff800000
	v_mov_b32_e32 v9, 0x7f800000
	v_cndmask_b32_e32 v8, v8, v9, vcc
	v_cmp_eq_u32_e32 vcc, 0, v6
	v_mov_b32_e32 v6, 0x7f800001
	v_cndmask_b32_e32 v9, v6, v8, vcc
; %bb.12955:                            ;   in Loop: Header=BB6_12903 Depth=4
	s_or_b64 exec, exec, s[34:35]
.LBB6_12956:                            ;   in Loop: Header=BB6_12903 Depth=4
	s_or_b64 exec, exec, s[30:31]
.LBB6_12957:                            ;   in Loop: Header=BB6_12903 Depth=4
	s_or_b64 exec, exec, s[28:29]
	v_add_f32_e32 v6, v7, v9
	v_and_b32_e32 v7, 0x7f800000, v6
	v_mov_b32_e32 v8, v33
	v_cmp_ne_u64_e32 vcc, s[76:77], v[7:8]
	v_and_b32_e32 v32, 0x7fffff, v6
                                        ; implicit-def: $vgpr7
	s_and_saveexec_b64 s[28:29], vcc
	s_xor_b64 s[30:31], exec, s[28:29]
	s_cbranch_execz .LBB6_12975
; %bb.12958:                            ;   in Loop: Header=BB6_12903 Depth=4
	v_and_b32_e32 v7, 0x7fffffff, v6
	v_mov_b32_e32 v8, v33
	v_cmp_gt_u64_e32 vcc, s[78:79], v[7:8]
	v_and_b32_sdwa v9, v6, s97 dst_sel:DWORD dst_unused:UNUSED_PAD src0_sel:BYTE_3 src1_sel:DWORD
                                        ; implicit-def: $vgpr7
	s_and_saveexec_b64 s[28:29], vcc
	s_xor_b64 s[34:35], exec, s[28:29]
	s_cbranch_execz .LBB6_12972
; %bb.12959:                            ;   in Loop: Header=BB6_12903 Depth=4
	v_cmp_ne_u32_e32 vcc, 0, v6
	v_mov_b32_e32 v7, 0
	s_and_saveexec_b64 s[36:37], vcc
	s_cbranch_execz .LBB6_12971
; %bb.12960:                            ;   in Loop: Header=BB6_12903 Depth=4
	v_bfe_u32 v11, v6, 23, 8
	v_cmp_gt_u32_e64 s[28:29], s47, v11
	v_sub_u32_e32 v6, 0x71, v11
	v_cmp_eq_u32_e32 vcc, 0, v11
	v_cndmask_b32_e64 v6, 0, v6, s[28:29]
	v_mov_b32_e32 v8, 0x70
	v_cndmask_b32_e32 v12, v6, v8, vcc
	v_add_u32_e32 v8, 21, v12
	v_or_b32_e32 v7, 0x800000, v32
	v_lshlrev_b64 v[13:14], v8, -1
	v_cndmask_b32_e32 v6, v7, v32, vcc
	v_mov_b32_e32 v7, v33
	v_add_u32_e32 v8, 20, v12
	v_bfi_b32 v13, v13, 0, v6
	v_lshlrev_b64 v[15:16], v8, 1
	v_lshrrev_b64 v[6:7], v12, v[6:7]
	v_bfi_b32 v14, v14, 0, 0
	v_cmp_eq_u64_e64 s[28:29], v[13:14], v[15:16]
	v_mov_b32_e32 v8, v7
	v_mov_b32_e32 v7, v6
	s_and_saveexec_b64 s[38:39], s[28:29]
; %bb.12961:                            ;   in Loop: Header=BB6_12903 Depth=4
	v_bfe_u32 v7, v6, 21, 1
	v_add_co_u32_e64 v7, s[28:29], v6, v7
	v_add_co_u32_e64 v7, s[28:29], -1, v7
; %bb.12962:                            ;   in Loop: Header=BB6_12903 Depth=4
	s_or_b64 exec, exec, s[38:39]
	v_add_u32_e32 v8, 0xffffff81, v11
	v_mov_b32_e32 v11, 0xffffff82
	v_cndmask_b32_e32 v8, v8, v11, vcc
	v_lshrrev_b32_e32 v11, 23, v6
	v_add3_u32 v12, v12, v8, v11
	v_add_u32_e32 v11, 14, v12
	v_and_b32_e32 v7, 0x1fffff, v7
	v_add_u32_e32 v32, v7, v6
	v_cmp_ne_u32_e32 vcc, 0, v11
                                        ; implicit-def: $vgpr6_vgpr7
                                        ; implicit-def: $vgpr8
	s_and_saveexec_b64 s[28:29], vcc
	s_xor_b64 s[28:29], exec, s[28:29]
; %bb.12963:                            ;   in Loop: Header=BB6_12903 Depth=4
	v_cmp_lt_u64_e32 vcc, s[88:89], v[32:33]
	v_add_u32_e32 v6, 15, v12
	v_cndmask_b32_e32 v8, v11, v6, vcc
	v_cndmask_b32_e64 v6, 0, 1, vcc
	v_lshrrev_b64 v[6:7], v6, v[32:33]
; %bb.12964:                            ;   in Loop: Header=BB6_12903 Depth=4
	s_andn2_saveexec_b64 s[28:29], s[28:29]
; %bb.12965:                            ;   in Loop: Header=BB6_12903 Depth=4
	v_mov_b32_e32 v6, v32
	v_mov_b32_e32 v7, v33
	v_bfe_u32 v8, v32, 23, 1
; %bb.12966:                            ;   in Loop: Header=BB6_12903 Depth=4
	s_or_b64 exec, exec, s[28:29]
	v_lshrrev_b64 v[6:7], 21, v[6:7]
	v_cmp_gt_i32_e32 vcc, 32, v8
	v_cndmask_b32_e32 v7, 0, v7, vcc
	v_cndmask_b32_e32 v6, 3, v6, vcc
	v_cmp_ne_u64_e32 vcc, 0, v[6:7]
	v_cmp_ne_u32_e64 s[28:29], 0, v8
	s_or_b64 s[28:29], s[28:29], vcc
                                        ; implicit-def: $vgpr7
	s_and_saveexec_b64 s[62:63], s[28:29]
	s_xor_b64 s[28:29], exec, s[62:63]
; %bb.12967:                            ;   in Loop: Header=BB6_12903 Depth=4
	v_min_i32_e32 v7, 31, v8
	v_lshl_or_b32 v7, v7, 2, v9
	v_and_or_b32 v7, v6, 3, v7
                                        ; implicit-def: $vgpr9
; %bb.12968:                            ;   in Loop: Header=BB6_12903 Depth=4
	s_andn2_saveexec_b64 s[28:29], s[28:29]
; %bb.12969:                            ;   in Loop: Header=BB6_12903 Depth=4
	v_mov_b32_e32 v7, v9
; %bb.12970:                            ;   in Loop: Header=BB6_12903 Depth=4
	s_or_b64 exec, exec, s[28:29]
.LBB6_12971:                            ;   in Loop: Header=BB6_12903 Depth=4
	s_or_b64 exec, exec, s[36:37]
                                        ; implicit-def: $vgpr9
.LBB6_12972:                            ;   in Loop: Header=BB6_12903 Depth=4
	s_andn2_saveexec_b64 s[28:29], s[34:35]
; %bb.12973:                            ;   in Loop: Header=BB6_12903 Depth=4
	v_or_b32_e32 v7, 0x7b, v9
; %bb.12974:                            ;   in Loop: Header=BB6_12903 Depth=4
	s_or_b64 exec, exec, s[28:29]
                                        ; implicit-def: $vgpr6
.LBB6_12975:                            ;   in Loop: Header=BB6_12903 Depth=4
	s_andn2_saveexec_b64 s[28:29], s[30:31]
	s_cbranch_execz .LBB6_12902
; %bb.12976:                            ;   in Loop: Header=BB6_12903 Depth=4
	v_cmp_ne_u64_e32 vcc, 0, v[32:33]
                                        ; implicit-def: $vgpr7
	s_and_saveexec_b64 s[62:63], vcc
	s_xor_b64 vcc, exec, s[62:63]
; %bb.12977:                            ;   in Loop: Header=BB6_12903 Depth=4
	v_or_b32_sdwa v7, v6, s44 dst_sel:DWORD dst_unused:UNUSED_PAD src0_sel:BYTE_3 src1_sel:DWORD
                                        ; implicit-def: $vgpr6
; %bb.12978:                            ;   in Loop: Header=BB6_12903 Depth=4
	s_andn2_saveexec_b64 s[30:31], vcc
	s_cbranch_execz .LBB6_12901
; %bb.12979:                            ;   in Loop: Header=BB6_12903 Depth=4
	v_cmp_lt_i32_e32 vcc, -1, v6
	v_mov_b32_e32 v6, 0x7c
	v_cndmask_b32_e32 v7, -4, v6, vcc
	s_branch .LBB6_12901
.LBB6_12980:                            ;   in Loop: Header=BB6_5390 Depth=3
	s_or_b64 exec, exec, s[40:41]
	buffer_load_dword v0, off, s[0:3], s33 offset:452 ; 4-byte Folded Reload
	s_waitcnt vmcnt(0)
	v_cmp_lt_i32_e64 s[28:29], 0, v0
	s_and_saveexec_b64 s[40:41], s[12:13]
	s_cbranch_execnz .LBB6_12981
; %bb.28905:                            ;   in Loop: Header=BB6_5390 Depth=3
	s_getpc_b64 s[98:99]
.Lpost_getpc61:
	s_add_u32 s98, s98, (.LBB6_5465-.Lpost_getpc61)&4294967295
	s_addc_u32 s99, s99, (.LBB6_5465-.Lpost_getpc61)>>32
	s_setpc_b64 s[98:99]
.LBB6_12981:                            ;   in Loop: Header=BB6_5390 Depth=3
	s_and_saveexec_b64 s[42:43], s[58:59]
	s_xor_b64 s[42:43], exec, s[42:43]
	s_cbranch_execz .LBB6_12996
; %bb.12982:                            ;   in Loop: Header=BB6_5390 Depth=3
	s_and_saveexec_b64 s[30:31], s[6:7]
	s_cbranch_execz .LBB6_12995
; %bb.12983:                            ;   in Loop: Header=BB6_5390 Depth=3
	s_mov_b64 s[36:37], exec
	v_mbcnt_lo_u32_b32 v0, s36, 0
	v_mbcnt_hi_u32_b32 v0, s37, v0
	v_cmp_eq_u32_e32 vcc, 0, v0
	s_waitcnt vmcnt(0) lgkmcnt(0)
	buffer_wbinvl1_vol
	s_and_saveexec_b64 s[34:35], vcc
	s_cbranch_execz .LBB6_12985
; %bb.12984:                            ;   in Loop: Header=BB6_5390 Depth=3
	s_bcnt1_i32_b64 s62, s[36:37]
	v_mov_b32_e32 v0, s62
	v_mov_b32_e32 v1, v33
	ds_add_u64 v0, v[0:1]
	s_trap 2
.LBB6_12985:                            ;   in Loop: Header=BB6_5390 Depth=3
	s_or_b64 exec, exec, s[34:35]
	s_trap 2
	ds_read_b64 v[0:1], v0
	s_waitcnt lgkmcnt(0)
	buffer_load_dword v2, off, s[0:3], s33 offset:76 ; 4-byte Folded Reload
	buffer_load_dword v3, off, s[0:3], s33 offset:80 ; 4-byte Folded Reload
	;; [unrolled: 1-line block ×3, first 2 shown]
	s_waitcnt vmcnt(0)
	v_add_co_u32_e32 v2, vcc, v2, v4
	v_addc_co_u32_e32 v3, vcc, 0, v3, vcc
	buffer_store_dword v2, off, s[0:3], s33 offset:76 ; 4-byte Folded Spill
	s_nop 0
	buffer_store_dword v3, off, s[0:3], s33 offset:80 ; 4-byte Folded Spill
	v_cmp_lt_u64_e32 vcc, v[0:1], v[2:3]
	s_and_saveexec_b64 s[34:35], vcc
	s_cbranch_execz .LBB6_12994
; %bb.12986:                            ;   in Loop: Header=BB6_5390 Depth=3
	s_mov_b32 s62, 0
	s_mov_b64 s[36:37], 0
                                        ; implicit-def: $sgpr38_sgpr39
                                        ; implicit-def: $sgpr48_sgpr49
	s_branch .LBB6_12988
.LBB6_12987:                            ;   in Loop: Header=BB6_12988 Depth=4
	s_or_b64 exec, exec, s[52:53]
	s_and_b64 vcc, exec, vcc
	s_or_b64 s[36:37], vcc, s[36:37]
	s_andn2_b64 vcc, s[38:39], exec
	s_and_b64 s[38:39], s[48:49], exec
	s_or_b64 s[38:39], vcc, s[38:39]
	s_andn2_b64 exec, exec, s[36:37]
	s_cbranch_execz .LBB6_12992
.LBB6_12988:                            ;   Parent Loop BB6_47 Depth=1
                                        ;     Parent Loop BB6_5387 Depth=2
                                        ;       Parent Loop BB6_5390 Depth=3
                                        ; =>      This Inner Loop Header: Depth=4
	s_add_i32 s62, s62, 1
	s_cmpk_lg_i32 s62, 0x2710
	s_cselect_b64 s[50:51], -1, 0
	s_and_b64 vcc, exec, s[50:51]
	s_cbranch_vccz .LBB6_12990
; %bb.12989:                            ;   in Loop: Header=BB6_12988 Depth=4
	s_mov_b64 vcc, -1
	s_or_b64 s[48:49], s[48:49], exec
	s_and_saveexec_b64 s[52:53], s[50:51]
	s_cbranch_execz .LBB6_12987
	s_branch .LBB6_12991
.LBB6_12990:                            ;   in Loop: Header=BB6_12988 Depth=4
	s_trap 2
	ds_read_b64 v[0:1], v0
	s_andn2_b64 s[50:51], s[50:51], exec
	s_mov_b32 s62, 0
	s_waitcnt vmcnt(0) lgkmcnt(0)
	flat_load_dword v0, v[0:1] glc
	s_waitcnt vmcnt(0) lgkmcnt(0)
	buffer_wbinvl1_vol
	v_cmp_eq_u32_e32 vcc, 0, v0
	s_and_b64 vcc, vcc, exec
	s_or_b64 s[50:51], s[50:51], vcc
	s_mov_b64 vcc, -1
	s_or_b64 s[48:49], s[48:49], exec
	s_and_saveexec_b64 s[52:53], s[50:51]
	s_cbranch_execz .LBB6_12987
.LBB6_12991:                            ;   in Loop: Header=BB6_12988 Depth=4
	s_sleep 1
	s_trap 2
	ds_read_b64 v[0:1], v0
	s_waitcnt lgkmcnt(0)
	buffer_load_dword v2, off, s[0:3], s33 offset:76 ; 4-byte Folded Reload
	buffer_load_dword v3, off, s[0:3], s33 offset:80 ; 4-byte Folded Reload
	s_andn2_b64 s[48:49], s[48:49], exec
	s_waitcnt vmcnt(0)
	v_cmp_ge_u64_e32 vcc, v[0:1], v[2:3]
	s_orn2_b64 vcc, vcc, exec
	s_branch .LBB6_12987
.LBB6_12992:                            ;   in Loop: Header=BB6_5390 Depth=3
	s_or_b64 exec, exec, s[36:37]
	s_and_saveexec_b64 s[62:63], s[38:39]
	s_xor_b64 s[62:63], exec, s[62:63]
	s_cbranch_execz .LBB6_12994
; %bb.12993:                            ;   in Loop: Header=BB6_5390 Depth=3
	v_mov_b32_e32 v0, 1
	ds_write_b32 v0, v0
	s_trap 2
.LBB6_12994:                            ;   in Loop: Header=BB6_5390 Depth=3
	s_or_b64 exec, exec, s[34:35]
	;;#ASMSTART
	s_wakeup
	;;#ASMEND
.LBB6_12995:                            ;   in Loop: Header=BB6_5390 Depth=3
	s_or_b64 exec, exec, s[30:31]
.LBB6_12996:                            ;   in Loop: Header=BB6_5390 Depth=3
	s_andn2_saveexec_b64 s[42:43], s[42:43]
	s_cbranch_execz .LBB6_12998
; %bb.12997:                            ;   in Loop: Header=BB6_5390 Depth=3
	s_waitcnt vmcnt(0) lgkmcnt(0)
	buffer_wbinvl1_vol
	s_barrier
.LBB6_12998:                            ;   in Loop: Header=BB6_5390 Depth=3
	s_or_b64 exec, exec, s[42:43]
	s_or_b64 exec, exec, s[40:41]
                                        ; implicit-def: $vgpr0
	s_and_saveexec_b64 s[40:41], s[18:19]
	s_xor_b64 s[40:41], exec, s[40:41]
	s_cbranch_execz .LBB6_12999
; %bb.28907:                            ;   in Loop: Header=BB6_5390 Depth=3
	s_getpc_b64 s[98:99]
.Lpost_getpc62:
	s_add_u32 s98, s98, (.LBB6_5466-.Lpost_getpc62)&4294967295
	s_addc_u32 s99, s99, (.LBB6_5466-.Lpost_getpc62)>>32
	s_setpc_b64 s[98:99]
.LBB6_12999:                            ;   in Loop: Header=BB6_5390 Depth=3
	s_andn2_saveexec_b64 s[28:29], s[40:41]
	s_cbranch_execz .LBB6_13018
.LBB6_13000:                            ;   in Loop: Header=BB6_5390 Depth=3
	s_and_saveexec_b64 s[40:41], s[58:59]
	s_xor_b64 s[40:41], exec, s[40:41]
	s_cbranch_execz .LBB6_13015
; %bb.13001:                            ;   in Loop: Header=BB6_5390 Depth=3
	s_and_saveexec_b64 s[42:43], s[6:7]
	s_cbranch_execz .LBB6_13014
; %bb.13002:                            ;   in Loop: Header=BB6_5390 Depth=3
	s_mov_b64 s[34:35], exec
	v_mbcnt_lo_u32_b32 v0, s34, 0
	v_mbcnt_hi_u32_b32 v0, s35, v0
	v_cmp_eq_u32_e32 vcc, 0, v0
	;;#ASMSTART
	s_waitcnt lgkmcnt(0) vmcnt(0)
	;;#ASMEND
	s_and_saveexec_b64 s[30:31], vcc
	s_cbranch_execz .LBB6_13004
; %bb.13003:                            ;   in Loop: Header=BB6_5390 Depth=3
	s_bcnt1_i32_b64 s62, s[34:35]
	v_mov_b32_e32 v0, s62
	v_mov_b32_e32 v1, v33
	s_waitcnt lgkmcnt(0)
	ds_add_u64 v0, v[0:1]
	s_trap 2
.LBB6_13004:                            ;   in Loop: Header=BB6_5390 Depth=3
	s_or_b64 exec, exec, s[30:31]
	s_trap 2
	ds_read_b64 v[0:1], v0
	s_waitcnt lgkmcnt(0)
	buffer_load_dword v2, off, s[0:3], s33 offset:76 ; 4-byte Folded Reload
	buffer_load_dword v3, off, s[0:3], s33 offset:80 ; 4-byte Folded Reload
	;; [unrolled: 1-line block ×3, first 2 shown]
	s_waitcnt vmcnt(0)
	v_add_co_u32_e32 v2, vcc, v2, v4
	v_addc_co_u32_e32 v3, vcc, 0, v3, vcc
	buffer_store_dword v2, off, s[0:3], s33 offset:76 ; 4-byte Folded Spill
	s_nop 0
	buffer_store_dword v3, off, s[0:3], s33 offset:80 ; 4-byte Folded Spill
	v_cmp_lt_u64_e32 vcc, v[0:1], v[2:3]
	s_and_saveexec_b64 s[30:31], vcc
	s_cbranch_execz .LBB6_13013
; %bb.13005:                            ;   in Loop: Header=BB6_5390 Depth=3
	s_mov_b32 s62, 0
	s_mov_b64 s[34:35], 0
                                        ; implicit-def: $sgpr36_sgpr37
                                        ; implicit-def: $sgpr38_sgpr39
	s_branch .LBB6_13007
.LBB6_13006:                            ;   in Loop: Header=BB6_13007 Depth=4
	s_or_b64 exec, exec, s[50:51]
	s_and_b64 vcc, exec, vcc
	s_or_b64 s[34:35], vcc, s[34:35]
	s_andn2_b64 vcc, s[36:37], exec
	s_and_b64 s[36:37], s[38:39], exec
	s_or_b64 s[36:37], vcc, s[36:37]
	s_andn2_b64 exec, exec, s[34:35]
	s_cbranch_execz .LBB6_13011
.LBB6_13007:                            ;   Parent Loop BB6_47 Depth=1
                                        ;     Parent Loop BB6_5387 Depth=2
                                        ;       Parent Loop BB6_5390 Depth=3
                                        ; =>      This Inner Loop Header: Depth=4
	s_add_i32 s62, s62, 1
	s_cmpk_lg_i32 s62, 0x2710
	s_cselect_b64 s[48:49], -1, 0
	s_and_b64 vcc, exec, s[48:49]
	s_cbranch_vccz .LBB6_13009
; %bb.13008:                            ;   in Loop: Header=BB6_13007 Depth=4
	s_mov_b64 vcc, -1
	s_or_b64 s[38:39], s[38:39], exec
	s_and_saveexec_b64 s[50:51], s[48:49]
	s_cbranch_execz .LBB6_13006
	s_branch .LBB6_13010
.LBB6_13009:                            ;   in Loop: Header=BB6_13007 Depth=4
	s_trap 2
	ds_read_b64 v[0:1], v0
	s_andn2_b64 s[48:49], s[48:49], exec
	s_mov_b32 s62, 0
	s_waitcnt vmcnt(0) lgkmcnt(0)
	flat_load_dword v0, v[0:1] glc
	s_waitcnt vmcnt(0) lgkmcnt(0)
	buffer_wbinvl1_vol
	v_cmp_eq_u32_e32 vcc, 0, v0
	s_and_b64 vcc, vcc, exec
	s_or_b64 s[48:49], s[48:49], vcc
	s_mov_b64 vcc, -1
	s_or_b64 s[38:39], s[38:39], exec
	s_and_saveexec_b64 s[50:51], s[48:49]
	s_cbranch_execz .LBB6_13006
.LBB6_13010:                            ;   in Loop: Header=BB6_13007 Depth=4
	s_sleep 1
	s_trap 2
	ds_read_b64 v[0:1], v0
	s_waitcnt lgkmcnt(0)
	buffer_load_dword v2, off, s[0:3], s33 offset:76 ; 4-byte Folded Reload
	buffer_load_dword v3, off, s[0:3], s33 offset:80 ; 4-byte Folded Reload
	s_andn2_b64 s[38:39], s[38:39], exec
	s_waitcnt vmcnt(0)
	v_cmp_ge_u64_e32 vcc, v[0:1], v[2:3]
	s_orn2_b64 vcc, vcc, exec
	s_branch .LBB6_13006
.LBB6_13011:                            ;   in Loop: Header=BB6_5390 Depth=3
	s_or_b64 exec, exec, s[34:35]
	s_and_saveexec_b64 s[62:63], s[36:37]
	s_xor_b64 s[62:63], exec, s[62:63]
	s_cbranch_execz .LBB6_13013
; %bb.13012:                            ;   in Loop: Header=BB6_5390 Depth=3
	v_mov_b32_e32 v0, 1
	ds_write_b32 v0, v0
	s_trap 2
.LBB6_13013:                            ;   in Loop: Header=BB6_5390 Depth=3
	s_or_b64 exec, exec, s[30:31]
	;;#ASMSTART
	s_wakeup
	;;#ASMEND
.LBB6_13014:                            ;   in Loop: Header=BB6_5390 Depth=3
	s_or_b64 exec, exec, s[42:43]
.LBB6_13015:                            ;   in Loop: Header=BB6_5390 Depth=3
	s_andn2_saveexec_b64 s[40:41], s[40:41]
	s_cbranch_execz .LBB6_13017
; %bb.13016:                            ;   in Loop: Header=BB6_5390 Depth=3
	;;#ASMSTART
	s_waitcnt lgkmcnt(0) vmcnt(0)
	;;#ASMEND
	s_waitcnt vmcnt(0) lgkmcnt(0)
	s_barrier
.LBB6_13017:                            ;   in Loop: Header=BB6_5390 Depth=3
	s_or_b64 exec, exec, s[40:41]
	buffer_load_dword v0, off, s[0:3], s33 offset:72 ; 4-byte Folded Reload
	s_waitcnt vmcnt(0)
	v_and_b32_e32 v0, 16, v0
.LBB6_13018:                            ;   in Loop: Header=BB6_5390 Depth=3
	s_or_b64 exec, exec, s[28:29]
	v_cmp_ne_u32_e32 vcc, 0, v0
	s_xor_b64 s[28:29], s[20:21], -1
	s_and_b64 s[40:41], vcc, s[28:29]
	s_and_saveexec_b64 s[28:29], s[40:41]
	s_cbranch_execz .LBB6_13020
; %bb.13019:                            ;   in Loop: Header=BB6_5390 Depth=3
	buffer_load_dword v0, off, s[0:3], s33 offset:436 ; 4-byte Folded Reload
	buffer_load_dword v1, off, s[0:3], s33 offset:440 ; 4-byte Folded Reload
	v_mov_b32_e32 v2, 1
	s_waitcnt vmcnt(0)
	flat_store_dword v[0:1], v2
.LBB6_13020:                            ;   in Loop: Header=BB6_5390 Depth=3
	s_or_b64 exec, exec, s[28:29]
	buffer_load_dword v0, off, s[0:3], s33 offset:72 ; 4-byte Folded Reload
	s_waitcnt vmcnt(0)
	v_and_b32_e32 v0, 48, v0
	v_cmp_ne_u32_e32 vcc, 0, v0
	s_and_saveexec_b64 s[28:29], vcc
	s_cbranch_execnz .LBB6_13021
; %bb.28909:                            ;   in Loop: Header=BB6_5390 Depth=3
	s_getpc_b64 s[98:99]
.Lpost_getpc63:
	s_add_u32 s98, s98, (.LBB6_5389-.Lpost_getpc63)&4294967295
	s_addc_u32 s99, s99, (.LBB6_5389-.Lpost_getpc63)>>32
	s_setpc_b64 s[98:99]
.LBB6_13021:                            ;   in Loop: Header=BB6_5390 Depth=3
	buffer_load_dword v2, off, s[0:3], s33 offset:276 ; 4-byte Folded Reload
	buffer_load_dword v3, off, s[0:3], s33 offset:280 ; 4-byte Folded Reload
	;; [unrolled: 1-line block ×4, first 2 shown]
	s_waitcnt vmcnt(0)
	v_add_co_u32_e32 v2, vcc, 2, v2
	v_addc_co_u32_e32 v3, vcc, 0, v3, vcc
	buffer_store_dword v2, off, s[0:3], s33 offset:276 ; 4-byte Folded Spill
	s_nop 0
	buffer_store_dword v3, off, s[0:3], s33 offset:280 ; 4-byte Folded Spill
	flat_store_dwordx2 v[0:1], v[2:3]
; %bb.28849:                            ;   in Loop: Header=BB6_5390 Depth=3
	s_getpc_b64 s[98:99]
.Lpost_getpc33:
	s_add_u32 s98, s98, (.LBB6_5389-.Lpost_getpc33)&4294967295
	s_addc_u32 s99, s99, (.LBB6_5389-.Lpost_getpc33)>>32
	s_setpc_b64 s[98:99]
.LBB6_13022:                            ;   in Loop: Header=BB6_5387 Depth=2
	s_or_b64 exec, exec, s[92:93]
.LBB6_13023:                            ;   in Loop: Header=BB6_5387 Depth=2
	s_or_b64 exec, exec, s[90:91]
	v_cmp_gt_i32_e32 vcc, 2, v0
	s_and_saveexec_b64 s[40:41], vcc
	s_cbranch_execnz .LBB6_13024
; %bb.28911:                            ;   in Loop: Header=BB6_5387 Depth=2
	s_getpc_b64 s[98:99]
.Lpost_getpc64:
	s_add_u32 s98, s98, (.LBB6_5386-.Lpost_getpc64)&4294967295
	s_addc_u32 s99, s99, (.LBB6_5386-.Lpost_getpc64)>>32
	s_setpc_b64 s[98:99]
.LBB6_13024:                            ;   in Loop: Header=BB6_5387 Depth=2
	v_cmp_eq_u32_e64 s[90:91], 0, v0
	buffer_load_dword v9, off, s[0:3], s33 offset:388 ; 4-byte Folded Reload
	buffer_load_dword v10, off, s[0:3], s33 offset:392 ; 4-byte Folded Reload
	;; [unrolled: 1-line block ×3, first 2 shown]
	s_mov_b64 s[42:43], 0
	s_branch .LBB6_13026
.LBB6_13025:                            ;   in Loop: Header=BB6_13026 Depth=3
	s_or_b64 exec, exec, s[28:29]
	v_mov_b32_e32 v0, v10
	v_add_u32_e32 v0, v9, v0
	s_mov_b64 s[90:91], 0
	s_andn2_b64 exec, exec, s[42:43]
	s_cbranch_execnz .LBB6_13026
; %bb.28913:                            ;   in Loop: Header=BB6_5387 Depth=2
	s_getpc_b64 s[98:99]
.Lpost_getpc65:
	s_add_u32 s98, s98, (.LBB6_5385-.Lpost_getpc65)&4294967295
	s_addc_u32 s99, s99, (.LBB6_5385-.Lpost_getpc65)>>32
	s_setpc_b64 s[98:99]
.LBB6_13026:                            ;   Parent Loop BB6_47 Depth=1
                                        ;     Parent Loop BB6_5387 Depth=2
                                        ; =>    This Loop Header: Depth=3
                                        ;         Child Loop BB6_13032 Depth 4
                                        ;         Child Loop BB6_13060 Depth 4
	;; [unrolled: 1-line block ×3, first 2 shown]
	s_waitcnt vmcnt(0)
	v_mov_b32_e32 v10, v0
	v_sub_u32_e32 v0, v61, v0
	v_min_i32_e32 v9, v9, v0
	buffer_load_dword v0, off, s[0:3], s33 offset:72 ; 4-byte Folded Reload
	s_waitcnt vmcnt(0)
	v_and_b32_e32 v0, 12, v0
	v_cmp_ne_u32_e32 vcc, 0, v0
	s_and_saveexec_b64 s[92:93], vcc
	s_cbranch_execz .LBB6_13052
; %bb.13027:                            ;   in Loop: Header=BB6_13026 Depth=3
	buffer_load_dword v0, off, s[0:3], s33 offset:72 ; 4-byte Folded Reload
	s_waitcnt vmcnt(0)
	v_and_b32_e32 v8, 8, v0
	buffer_load_dword v0, off, s[0:3], s33 offset:56 ; 4-byte Folded Reload
	buffer_load_dword v1, off, s[0:3], s33 offset:60 ; 4-byte Folded Reload
	s_waitcnt vmcnt(0)
	v_add_co_u32_e32 v2, vcc, v0, v8
	v_addc_co_u32_e32 v3, vcc, 0, v1, vcc
	buffer_load_dword v0, off, s[0:3], s33 offset:276 ; 4-byte Folded Reload
	buffer_load_dword v1, off, s[0:3], s33 offset:280 ; 4-byte Folded Reload
	s_waitcnt vmcnt(0)
	v_add_co_u32_e32 v0, vcc, 2, v0
	v_addc_co_u32_e32 v1, vcc, 0, v1, vcc
	v_cmp_lt_u64_e32 vcc, v[2:3], v[0:1]
	s_and_saveexec_b64 s[94:95], vcc
	s_cbranch_execz .LBB6_13039
; %bb.13028:                            ;   in Loop: Header=BB6_13026 Depth=3
	buffer_load_dword v2, off, s[0:3], s33 offset:72 ; 4-byte Folded Reload
	s_mov_b32 s62, 0
	s_mov_b64 s[30:31], 0
                                        ; implicit-def: $sgpr34_sgpr35
                                        ; implicit-def: $sgpr36_sgpr37
                                        ; implicit-def: $sgpr38_sgpr39
	s_waitcnt vmcnt(0)
	v_and_b32_e32 v2, 64, v2
	v_cmp_eq_u32_e32 vcc, 0, v2
	s_branch .LBB6_13032
.LBB6_13029:                            ;   in Loop: Header=BB6_13032 Depth=4
	buffer_load_dword v3, off, s[0:3], s33 offset:56 ; 4-byte Folded Reload
	buffer_load_dword v4, off, s[0:3], s33 offset:60 ; 4-byte Folded Reload
	s_or_b64 s[52:53], s[52:53], exec
	s_waitcnt vmcnt(1)
	v_add_co_u32_e64 v3, s[28:29], v3, v8
	s_waitcnt vmcnt(0)
	v_addc_co_u32_e64 v4, s[28:29], 0, v4, s[28:29]
	v_cmp_ge_u64_e64 s[28:29], v[3:4], v[0:1]
	s_orn2_b64 s[50:51], s[28:29], exec
.LBB6_13030:                            ;   in Loop: Header=BB6_13032 Depth=4
	s_or_b64 exec, exec, s[64:65]
	s_andn2_b64 s[28:29], s[38:39], exec
	s_and_b64 s[38:39], s[52:53], exec
	s_or_b64 s[38:39], s[28:29], s[38:39]
	s_andn2_b64 s[28:29], s[36:37], exec
	s_and_b64 s[36:37], s[50:51], exec
	s_or_b64 s[36:37], s[28:29], s[36:37]
.LBB6_13031:                            ;   in Loop: Header=BB6_13032 Depth=4
	s_or_b64 exec, exec, s[48:49]
	s_and_b64 s[28:29], exec, s[36:37]
	s_or_b64 s[30:31], s[28:29], s[30:31]
	s_andn2_b64 s[28:29], s[34:35], exec
	s_and_b64 s[34:35], s[38:39], exec
	s_or_b64 s[34:35], s[28:29], s[34:35]
	s_andn2_b64 exec, exec, s[30:31]
	s_cbranch_execz .LBB6_13036
.LBB6_13032:                            ;   Parent Loop BB6_47 Depth=1
                                        ;     Parent Loop BB6_5387 Depth=2
                                        ;       Parent Loop BB6_13026 Depth=3
                                        ; =>      This Inner Loop Header: Depth=4
	s_sleep 1
	buffer_load_dword v2, off, s[0:3], s33 offset:64 ; 4-byte Folded Reload
	buffer_load_dword v3, off, s[0:3], s33 offset:68 ; 4-byte Folded Reload
	s_or_b64 s[38:39], s[38:39], exec
	s_or_b64 s[36:37], s[36:37], exec
	s_waitcnt vmcnt(0)
	flat_load_dwordx2 v[2:3], v[2:3] glc
	s_waitcnt vmcnt(0) lgkmcnt(0)
	buffer_store_dword v2, off, s[0:3], s33 offset:56 ; 4-byte Folded Spill
	s_nop 0
	buffer_store_dword v3, off, s[0:3], s33 offset:60 ; 4-byte Folded Spill
                                        ; implicit-def: $vgpr2
	s_and_saveexec_b64 s[48:49], vcc
	s_cbranch_execz .LBB6_13031
; %bb.13033:                            ;   in Loop: Header=BB6_13032 Depth=4
	s_cmpk_lt_i32 s62, 0x270f
	s_cselect_b64 s[54:55], -1, 0
	s_cmpk_gt_i32 s62, 0x270e
	s_mov_b64 s[50:51], -1
	s_cbranch_scc0 .LBB6_13035
; %bb.13034:                            ;   in Loop: Header=BB6_13032 Depth=4
	s_trap 2
	ds_read_b64 v[2:3], v0
	s_andn2_b64 s[54:55], s[54:55], exec
	s_mov_b32 s62, 0
	s_mov_b64 s[52:53], 0
	s_waitcnt vmcnt(0) lgkmcnt(0)
	flat_load_dword v2, v[2:3] glc
	s_waitcnt vmcnt(0) lgkmcnt(0)
	buffer_wbinvl1_vol
	v_cmp_eq_u32_e64 s[28:29], 0, v2
	s_and_b64 s[28:29], s[28:29], exec
	s_or_b64 s[54:55], s[54:55], s[28:29]
	s_and_saveexec_b64 s[64:65], s[54:55]
	s_cbranch_execz .LBB6_13030
	s_branch .LBB6_13029
.LBB6_13035:                            ;   in Loop: Header=BB6_13032 Depth=4
	s_add_i32 s62, s62, 1
	s_mov_b64 s[52:53], -1
                                        ; implicit-def: $vgpr2
	s_and_saveexec_b64 s[64:65], s[54:55]
	s_cbranch_execz .LBB6_13030
	s_branch .LBB6_13029
.LBB6_13036:                            ;   in Loop: Header=BB6_13026 Depth=3
	s_or_b64 exec, exec, s[30:31]
	s_xor_b64 s[28:29], s[34:35], -1
	s_and_saveexec_b64 s[62:63], s[28:29]
	s_xor_b64 s[28:29], exec, s[62:63]
	s_cbranch_execz .LBB6_13038
; %bb.13037:                            ;   in Loop: Header=BB6_13026 Depth=3
	ds_write_b32 v0, v2
	s_trap 2
	buffer_load_dword v2, off, s[0:3], s33 offset:72 ; 4-byte Folded Reload
	s_waitcnt vmcnt(0)
	v_or_b32_e32 v2, 64, v2
	buffer_store_dword v2, off, s[0:3], s33 offset:72 ; 4-byte Folded Spill
.LBB6_13038:                            ;   in Loop: Header=BB6_13026 Depth=3
	s_or_b64 exec, exec, s[28:29]
.LBB6_13039:                            ;   in Loop: Header=BB6_13026 Depth=3
	s_or_b64 exec, exec, s[94:95]
	;;#ASMSTART
	s_wakeup
	;;#ASMEND
	buffer_load_dword v2, off, s[0:3], s33 offset:72 ; 4-byte Folded Reload
	s_waitcnt vmcnt(0)
	v_and_b32_e32 v2, 0x108, v2
	v_cmp_ne_u32_e32 vcc, s69, v2
                                        ; implicit-def: $vgpr2_vgpr3
	s_and_saveexec_b64 s[28:29], vcc
	s_xor_b64 s[28:29], exec, s[28:29]
	s_cbranch_execz .LBB6_13041
; %bb.13040:                            ;   in Loop: Header=BB6_13026 Depth=3
	buffer_load_dword v2, off, s[0:3], s33 offset:276 ; 4-byte Folded Reload
	buffer_load_dword v3, off, s[0:3], s33 offset:280 ; 4-byte Folded Reload
	s_waitcnt vmcnt(0)
	v_mov_b32_e32 v3, v33
                                        ; implicit-def: $vgpr4_vgpr5
                                        ; kill: killed $vgpr4_vgpr5
	v_and_b32_e32 v2, 7, v2
.LBB6_13041:                            ;   in Loop: Header=BB6_13026 Depth=3
	s_andn2_saveexec_b64 s[28:29], s[28:29]
	s_cbranch_execz .LBB6_13043
; %bb.13042:                            ;   in Loop: Header=BB6_13026 Depth=3
	buffer_load_dword v2, off, s[0:3], s33 offset:276 ; 4-byte Folded Reload
	buffer_load_dword v3, off, s[0:3], s33 offset:280 ; 4-byte Folded Reload
	;; [unrolled: 1-line block ×6, first 2 shown]
	s_waitcnt vmcnt(0)
	v_mov_b32_e32 v6, v9
	v_ashrrev_i32_e32 v7, 31, v6
	v_and_b32_e32 v2, 7, v2
	v_mad_u64_u32 v[4:5], s[62:63], v2, 24, v[3:4]
	v_mov_b32_e32 v3, v33
	flat_store_dwordx2 v[4:5], v[6:7] offset:8
.LBB6_13043:                            ;   in Loop: Header=BB6_13026 Depth=3
	s_or_b64 exec, exec, s[28:29]
	buffer_load_dword v4, off, s[0:3], s33 offset:72 ; 4-byte Folded Reload
	s_mov_b64 s[28:29], -1
	s_waitcnt vmcnt(0)
	v_and_b32_e32 v4, 0x100, v4
	v_cmp_ne_u32_e32 vcc, 0, v4
                                        ; implicit-def: $vgpr4_vgpr5
	s_and_saveexec_b64 s[94:95], vcc
	s_cbranch_execz .LBB6_13047
; %bb.13044:                            ;   in Loop: Header=BB6_13026 Depth=3
	buffer_load_dword v4, off, s[0:3], s33 offset:420 ; 4-byte Folded Reload
	buffer_load_dword v5, off, s[0:3], s33 offset:424 ; 4-byte Folded Reload
	buffer_load_dword v6, off, s[0:3], s33 offset:428 ; 4-byte Folded Reload
	buffer_load_dword v7, off, s[0:3], s33 offset:432 ; 4-byte Folded Reload
	s_waitcnt vmcnt(0)
	v_mad_u64_u32 v[6:7], s[28:29], v2, 24, v[4:5]
	v_mov_b32_e32 v4, v7
	v_mad_u64_u32 v[4:5], s[28:29], v3, 24, v[4:5]
	v_mov_b32_e32 v7, v4
	flat_load_dword v4, v[6:7]
	s_waitcnt vmcnt(0) lgkmcnt(0)
	v_cmp_ne_u32_e32 vcc, 1, v4
	v_cmp_eq_u32_e64 s[28:29], 1, v4
                                        ; implicit-def: $vgpr4_vgpr5
	s_and_saveexec_b64 s[30:31], s[28:29]
	s_cbranch_execz .LBB6_13046
; %bb.13045:                            ;   in Loop: Header=BB6_13026 Depth=3
	flat_load_dword v4, v[6:7] offset:4 glc
	s_waitcnt vmcnt(0) lgkmcnt(0)
	v_ashrrev_i32_e32 v5, 31, v4
.LBB6_13046:                            ;   in Loop: Header=BB6_13026 Depth=3
	s_or_b64 exec, exec, s[30:31]
	s_orn2_b64 s[28:29], vcc, exec
.LBB6_13047:                            ;   in Loop: Header=BB6_13026 Depth=3
	s_or_b64 exec, exec, s[94:95]
	s_and_saveexec_b64 s[94:95], s[28:29]
	s_cbranch_execz .LBB6_13049
; %bb.13048:                            ;   in Loop: Header=BB6_13026 Depth=3
	buffer_load_dword v4, off, s[0:3], s33 offset:456 ; 4-byte Folded Reload
	buffer_load_dword v5, off, s[0:3], s33 offset:476 ; 4-byte Folded Reload
	s_waitcnt vmcnt(0)
	v_mul_lo_u32 v3, v3, v4
	v_mul_lo_u32 v6, v2, v5
	v_mad_u64_u32 v[4:5], s[28:29], v2, v4, 0
	v_add3_u32 v5, v5, v6, v3
.LBB6_13049:                            ;   in Loop: Header=BB6_13026 Depth=3
	s_or_b64 exec, exec, s[94:95]
	v_cmp_eq_u32_e32 vcc, 0, v8
	v_mov_b32_e32 v2, 0xc8
	v_mov_b32_e32 v3, 0x90
	v_cndmask_b32_e32 v6, v2, v3, vcc
	buffer_load_dword v2, off, s[0:3], s33 offset:412 ; 4-byte Folded Reload
	buffer_load_dword v3, off, s[0:3], s33 offset:416 ; 4-byte Folded Reload
	s_waitcnt vmcnt(0)
	v_add_co_u32_e32 v2, vcc, v2, v4
	v_addc_co_u32_e32 v3, vcc, v3, v5, vcc
	v_add_u32_e32 v4, v0, v6
	ds_write_b64 v4, v[2:3] offset:584
	buffer_load_dword v2, off, s[0:3], s33 offset:72 ; 4-byte Folded Reload
	s_waitcnt vmcnt(0)
	v_and_b32_e32 v2, 0x2000, v2
	v_cmp_ne_u32_e32 vcc, 0, v2
	s_and_saveexec_b64 s[28:29], vcc
	s_cbranch_execz .LBB6_13051
; %bb.13050:                            ;   in Loop: Header=BB6_13026 Depth=3
	ds_read_b64 v[2:3], v0 offset:872
	s_waitcnt lgkmcnt(0)
	v_add_co_u32_e32 v2, vcc, 1, v2
	v_addc_co_u32_e32 v3, vcc, 0, v3, vcc
	ds_write_b64 v0, v[2:3] offset:872
.LBB6_13051:                            ;   in Loop: Header=BB6_13026 Depth=3
	s_or_b64 exec, exec, s[28:29]
	buffer_store_dword v0, off, s[0:3], s33 offset:276 ; 4-byte Folded Spill
	s_nop 0
	buffer_store_dword v1, off, s[0:3], s33 offset:280 ; 4-byte Folded Spill
.LBB6_13052:                            ;   in Loop: Header=BB6_13026 Depth=3
	s_or_b64 exec, exec, s[92:93]
	s_xor_b64 s[28:29], s[90:91], -1
	s_and_b64 s[28:29], exec, s[28:29]
	s_or_b64 s[42:43], s[28:29], s[42:43]
	s_and_saveexec_b64 s[28:29], s[12:13]
	s_cbranch_execz .LBB6_13071
; %bb.13053:                            ;   in Loop: Header=BB6_13026 Depth=3
	s_and_saveexec_b64 s[62:63], s[58:59]
	s_xor_b64 s[90:91], exec, s[62:63]
	s_cbranch_execz .LBB6_13068
; %bb.13054:                            ;   in Loop: Header=BB6_13026 Depth=3
	s_and_saveexec_b64 s[92:93], s[6:7]
	s_cbranch_execz .LBB6_13067
; %bb.13055:                            ;   in Loop: Header=BB6_13026 Depth=3
	s_mov_b64 s[30:31], exec
	v_mbcnt_lo_u32_b32 v0, s30, 0
	v_mbcnt_hi_u32_b32 v0, s31, v0
	v_cmp_eq_u32_e32 vcc, 0, v0
	s_waitcnt vmcnt(0) lgkmcnt(0)
	buffer_wbinvl1_vol
	s_and_saveexec_b64 s[94:95], vcc
	s_cbranch_execz .LBB6_13057
; %bb.13056:                            ;   in Loop: Header=BB6_13026 Depth=3
	s_bcnt1_i32_b64 s62, s[30:31]
	v_mov_b32_e32 v0, s62
	v_mov_b32_e32 v1, v33
	ds_add_u64 v0, v[0:1]
	s_trap 2
.LBB6_13057:                            ;   in Loop: Header=BB6_13026 Depth=3
	s_or_b64 exec, exec, s[94:95]
	s_trap 2
	ds_read_b64 v[0:1], v0
	s_waitcnt lgkmcnt(0)
	buffer_load_dword v2, off, s[0:3], s33 offset:76 ; 4-byte Folded Reload
	buffer_load_dword v3, off, s[0:3], s33 offset:80 ; 4-byte Folded Reload
	buffer_load_dword v4, off, s[0:3], s33 offset:284 ; 4-byte Folded Reload
	s_waitcnt vmcnt(0)
	v_add_co_u32_e32 v2, vcc, v2, v4
	v_addc_co_u32_e32 v3, vcc, 0, v3, vcc
	buffer_store_dword v2, off, s[0:3], s33 offset:76 ; 4-byte Folded Spill
	s_nop 0
	buffer_store_dword v3, off, s[0:3], s33 offset:80 ; 4-byte Folded Spill
	v_cmp_lt_u64_e32 vcc, v[0:1], v[2:3]
	s_and_saveexec_b64 s[94:95], vcc
	s_cbranch_execz .LBB6_13066
; %bb.13058:                            ;   in Loop: Header=BB6_13026 Depth=3
	s_mov_b32 s62, 0
	s_mov_b64 s[30:31], 0
                                        ; implicit-def: $sgpr34_sgpr35
                                        ; implicit-def: $sgpr36_sgpr37
	s_branch .LBB6_13060
.LBB6_13059:                            ;   in Loop: Header=BB6_13060 Depth=4
	s_or_b64 exec, exec, s[48:49]
	s_and_b64 vcc, exec, vcc
	s_or_b64 s[30:31], vcc, s[30:31]
	s_andn2_b64 vcc, s[34:35], exec
	s_and_b64 s[34:35], s[36:37], exec
	s_or_b64 s[34:35], vcc, s[34:35]
	s_andn2_b64 exec, exec, s[30:31]
	s_cbranch_execz .LBB6_13064
.LBB6_13060:                            ;   Parent Loop BB6_47 Depth=1
                                        ;     Parent Loop BB6_5387 Depth=2
                                        ;       Parent Loop BB6_13026 Depth=3
                                        ; =>      This Inner Loop Header: Depth=4
	s_add_i32 s62, s62, 1
	s_cmpk_lg_i32 s62, 0x2710
	s_cselect_b64 s[38:39], -1, 0
	s_and_b64 vcc, exec, s[38:39]
	s_cbranch_vccz .LBB6_13062
; %bb.13061:                            ;   in Loop: Header=BB6_13060 Depth=4
	s_mov_b64 vcc, -1
	s_or_b64 s[36:37], s[36:37], exec
	s_and_saveexec_b64 s[48:49], s[38:39]
	s_cbranch_execz .LBB6_13059
	s_branch .LBB6_13063
.LBB6_13062:                            ;   in Loop: Header=BB6_13060 Depth=4
	s_trap 2
	ds_read_b64 v[0:1], v0
	s_andn2_b64 s[38:39], s[38:39], exec
	s_mov_b32 s62, 0
	s_waitcnt vmcnt(0) lgkmcnt(0)
	flat_load_dword v0, v[0:1] glc
	s_waitcnt vmcnt(0) lgkmcnt(0)
	buffer_wbinvl1_vol
	v_cmp_eq_u32_e32 vcc, 0, v0
	s_and_b64 vcc, vcc, exec
	s_or_b64 s[38:39], s[38:39], vcc
	s_mov_b64 vcc, -1
	s_or_b64 s[36:37], s[36:37], exec
	s_and_saveexec_b64 s[48:49], s[38:39]
	s_cbranch_execz .LBB6_13059
.LBB6_13063:                            ;   in Loop: Header=BB6_13060 Depth=4
	s_sleep 1
	s_trap 2
	ds_read_b64 v[0:1], v0
	s_waitcnt lgkmcnt(0)
	buffer_load_dword v2, off, s[0:3], s33 offset:76 ; 4-byte Folded Reload
	buffer_load_dword v3, off, s[0:3], s33 offset:80 ; 4-byte Folded Reload
	s_andn2_b64 s[36:37], s[36:37], exec
	s_waitcnt vmcnt(0)
	v_cmp_ge_u64_e32 vcc, v[0:1], v[2:3]
	s_orn2_b64 vcc, vcc, exec
	s_branch .LBB6_13059
.LBB6_13064:                            ;   in Loop: Header=BB6_13026 Depth=3
	s_or_b64 exec, exec, s[30:31]
	s_and_saveexec_b64 s[62:63], s[34:35]
	s_xor_b64 s[62:63], exec, s[62:63]
	s_cbranch_execz .LBB6_13066
; %bb.13065:                            ;   in Loop: Header=BB6_13026 Depth=3
	v_mov_b32_e32 v0, 1
	ds_write_b32 v0, v0
	s_trap 2
.LBB6_13066:                            ;   in Loop: Header=BB6_13026 Depth=3
	s_or_b64 exec, exec, s[94:95]
	;;#ASMSTART
	s_wakeup
	;;#ASMEND
.LBB6_13067:                            ;   in Loop: Header=BB6_13026 Depth=3
	s_or_b64 exec, exec, s[92:93]
.LBB6_13068:                            ;   in Loop: Header=BB6_13026 Depth=3
	s_andn2_saveexec_b64 s[90:91], s[90:91]
	s_cbranch_execz .LBB6_13070
; %bb.13069:                            ;   in Loop: Header=BB6_13026 Depth=3
	s_waitcnt vmcnt(0) lgkmcnt(0)
	buffer_wbinvl1_vol
	s_barrier
.LBB6_13070:                            ;   in Loop: Header=BB6_13026 Depth=3
	s_or_b64 exec, exec, s[90:91]
.LBB6_13071:                            ;   in Loop: Header=BB6_13026 Depth=3
	s_or_b64 exec, exec, s[28:29]
                                        ; implicit-def: $vgpr0
	s_and_saveexec_b64 s[28:29], s[72:73]
	s_xor_b64 s[28:29], exec, s[28:29]
	s_cbranch_execz .LBB6_13083
; %bb.13072:                            ;   in Loop: Header=BB6_13026 Depth=3
	s_and_saveexec_b64 s[62:63], s[58:59]
	s_xor_b64 s[90:91], exec, s[62:63]
	s_cbranch_execz .LBB6_13088
; %bb.13073:                            ;   in Loop: Header=BB6_13026 Depth=3
	s_and_saveexec_b64 s[92:93], s[6:7]
	s_cbranch_execz .LBB6_13087
; %bb.13074:                            ;   in Loop: Header=BB6_13026 Depth=3
	s_mov_b64 s[30:31], exec
	v_mbcnt_lo_u32_b32 v0, s30, 0
	v_mbcnt_hi_u32_b32 v0, s31, v0
	v_cmp_eq_u32_e32 vcc, 0, v0
	;;#ASMSTART
	s_waitcnt lgkmcnt(0) vmcnt(0)
	;;#ASMEND
	s_and_saveexec_b64 s[94:95], vcc
	s_cbranch_execz .LBB6_13076
; %bb.13075:                            ;   in Loop: Header=BB6_13026 Depth=3
	s_bcnt1_i32_b64 s62, s[30:31]
	v_mov_b32_e32 v0, s62
	v_mov_b32_e32 v1, v33
	s_waitcnt lgkmcnt(0)
	ds_add_u64 v0, v[0:1]
	s_trap 2
.LBB6_13076:                            ;   in Loop: Header=BB6_13026 Depth=3
	s_or_b64 exec, exec, s[94:95]
	s_trap 2
	ds_read_b64 v[0:1], v0
	s_waitcnt lgkmcnt(0)
	buffer_load_dword v2, off, s[0:3], s33 offset:76 ; 4-byte Folded Reload
	buffer_load_dword v3, off, s[0:3], s33 offset:80 ; 4-byte Folded Reload
	;; [unrolled: 1-line block ×3, first 2 shown]
	s_waitcnt vmcnt(0)
	v_add_co_u32_e32 v2, vcc, v2, v4
	v_addc_co_u32_e32 v3, vcc, 0, v3, vcc
	buffer_store_dword v2, off, s[0:3], s33 offset:76 ; 4-byte Folded Spill
	s_nop 0
	buffer_store_dword v3, off, s[0:3], s33 offset:80 ; 4-byte Folded Spill
	v_cmp_lt_u64_e32 vcc, v[0:1], v[2:3]
	s_and_saveexec_b64 s[94:95], vcc
	s_cbranch_execz .LBB6_13086
; %bb.13077:                            ;   in Loop: Header=BB6_13026 Depth=3
	s_mov_b32 s62, 0
	s_mov_b64 s[30:31], 0
                                        ; implicit-def: $sgpr34_sgpr35
                                        ; implicit-def: $sgpr36_sgpr37
	s_branch .LBB6_13079
.LBB6_13078:                            ;   in Loop: Header=BB6_13079 Depth=4
	s_or_b64 exec, exec, s[48:49]
	s_and_b64 vcc, exec, vcc
	s_or_b64 s[30:31], vcc, s[30:31]
	s_andn2_b64 vcc, s[34:35], exec
	s_and_b64 s[34:35], s[36:37], exec
	s_or_b64 s[34:35], vcc, s[34:35]
	s_andn2_b64 exec, exec, s[30:31]
	s_cbranch_execz .LBB6_13084
.LBB6_13079:                            ;   Parent Loop BB6_47 Depth=1
                                        ;     Parent Loop BB6_5387 Depth=2
                                        ;       Parent Loop BB6_13026 Depth=3
                                        ; =>      This Inner Loop Header: Depth=4
	s_add_i32 s62, s62, 1
	s_cmpk_lg_i32 s62, 0x2710
	s_cselect_b64 s[38:39], -1, 0
	s_and_b64 vcc, exec, s[38:39]
	s_cbranch_vccz .LBB6_13081
; %bb.13080:                            ;   in Loop: Header=BB6_13079 Depth=4
	s_mov_b64 vcc, -1
	s_or_b64 s[36:37], s[36:37], exec
	s_and_saveexec_b64 s[48:49], s[38:39]
	s_cbranch_execz .LBB6_13078
	s_branch .LBB6_13082
.LBB6_13081:                            ;   in Loop: Header=BB6_13079 Depth=4
	s_trap 2
	ds_read_b64 v[0:1], v0
	s_andn2_b64 s[38:39], s[38:39], exec
	s_mov_b32 s62, 0
	s_waitcnt vmcnt(0) lgkmcnt(0)
	flat_load_dword v0, v[0:1] glc
	s_waitcnt vmcnt(0) lgkmcnt(0)
	buffer_wbinvl1_vol
	v_cmp_eq_u32_e32 vcc, 0, v0
	s_and_b64 vcc, vcc, exec
	s_or_b64 s[38:39], s[38:39], vcc
	s_mov_b64 vcc, -1
	s_or_b64 s[36:37], s[36:37], exec
	s_and_saveexec_b64 s[48:49], s[38:39]
	s_cbranch_execz .LBB6_13078
.LBB6_13082:                            ;   in Loop: Header=BB6_13079 Depth=4
	s_sleep 1
	s_trap 2
	ds_read_b64 v[0:1], v0
	s_waitcnt lgkmcnt(0)
	buffer_load_dword v2, off, s[0:3], s33 offset:76 ; 4-byte Folded Reload
	buffer_load_dword v3, off, s[0:3], s33 offset:80 ; 4-byte Folded Reload
	s_andn2_b64 s[36:37], s[36:37], exec
	s_waitcnt vmcnt(0)
	v_cmp_ge_u64_e32 vcc, v[0:1], v[2:3]
	s_orn2_b64 vcc, vcc, exec
	s_branch .LBB6_13078
.LBB6_13083:                            ;   in Loop: Header=BB6_13026 Depth=3
	s_andn2_saveexec_b64 s[28:29], s[28:29]
	s_cbranch_execnz .LBB6_13091
	s_branch .LBB6_13094
.LBB6_13084:                            ;   in Loop: Header=BB6_13026 Depth=3
	s_or_b64 exec, exec, s[30:31]
	s_and_saveexec_b64 s[62:63], s[34:35]
	s_xor_b64 s[62:63], exec, s[62:63]
	s_cbranch_execz .LBB6_13086
; %bb.13085:                            ;   in Loop: Header=BB6_13026 Depth=3
	v_mov_b32_e32 v0, 1
	ds_write_b32 v0, v0
	s_trap 2
.LBB6_13086:                            ;   in Loop: Header=BB6_13026 Depth=3
	s_or_b64 exec, exec, s[94:95]
	;;#ASMSTART
	s_wakeup
	;;#ASMEND
.LBB6_13087:                            ;   in Loop: Header=BB6_13026 Depth=3
	s_or_b64 exec, exec, s[92:93]
.LBB6_13088:                            ;   in Loop: Header=BB6_13026 Depth=3
	s_andn2_saveexec_b64 s[90:91], s[90:91]
	s_cbranch_execz .LBB6_13090
; %bb.13089:                            ;   in Loop: Header=BB6_13026 Depth=3
	;;#ASMSTART
	s_waitcnt lgkmcnt(0) vmcnt(0)
	;;#ASMEND
	s_waitcnt vmcnt(0) lgkmcnt(0)
	s_barrier
.LBB6_13090:                            ;   in Loop: Header=BB6_13026 Depth=3
	s_or_b64 exec, exec, s[90:91]
	buffer_load_dword v0, off, s[0:3], s33 offset:72 ; 4-byte Folded Reload
	s_waitcnt vmcnt(0)
	v_and_b32_e32 v0, 16, v0
	s_andn2_saveexec_b64 s[28:29], s[28:29]
	s_cbranch_execz .LBB6_13094
.LBB6_13091:                            ;   in Loop: Header=BB6_13026 Depth=3
	s_trap 2
	buffer_load_dword v1, off, s[0:3], s33 offset:72 ; 4-byte Folded Reload
	ds_read_b32 v0, v0
	v_cmp_lt_i32_e32 vcc, 0, v9
	s_waitcnt lgkmcnt(0)
	v_readfirstlane_b32 s62, v0
	s_cmp_eq_u32 s62, 0
	s_cselect_b64 s[62:63], -1, 0
	s_and_b64 s[62:63], vcc, s[62:63]
	s_waitcnt vmcnt(0)
	v_and_b32_e32 v0, 16, v1
	v_and_b32_e32 v1, 16, v1
	v_cmp_ne_u32_e32 vcc, 0, v1
	s_and_b64 s[62:63], vcc, s[62:63]
	s_and_saveexec_b64 s[90:91], s[62:63]
	s_cbranch_execz .LBB6_13093
; %bb.13092:                            ;   in Loop: Header=BB6_13026 Depth=3
	v_mov_b32_e32 v0, 1
	buffer_wbinvl1_vol
.LBB6_13093:                            ;   in Loop: Header=BB6_13026 Depth=3
	s_or_b64 exec, exec, s[90:91]
.LBB6_13094:                            ;   in Loop: Header=BB6_13026 Depth=3
	s_or_b64 exec, exec, s[28:29]
	v_cmp_ne_u32_e32 vcc, 0, v0
	s_xor_b64 s[28:29], s[20:21], -1
	s_and_b64 s[62:63], vcc, s[28:29]
	s_and_saveexec_b64 s[28:29], s[62:63]
	s_cbranch_execz .LBB6_13096
; %bb.13095:                            ;   in Loop: Header=BB6_13026 Depth=3
	buffer_load_dword v0, off, s[0:3], s33 offset:436 ; 4-byte Folded Reload
	buffer_load_dword v1, off, s[0:3], s33 offset:440 ; 4-byte Folded Reload
	v_mov_b32_e32 v2, 1
	s_waitcnt vmcnt(0)
	flat_store_dword v[0:1], v2
.LBB6_13096:                            ;   in Loop: Header=BB6_13026 Depth=3
	s_or_b64 exec, exec, s[28:29]
	buffer_load_dword v0, off, s[0:3], s33 offset:72 ; 4-byte Folded Reload
	s_waitcnt vmcnt(0)
	v_and_b32_e32 v0, 48, v0
	v_cmp_ne_u32_e32 vcc, 0, v0
	s_and_saveexec_b64 s[28:29], vcc
	s_cbranch_execz .LBB6_13025
; %bb.13097:                            ;   in Loop: Header=BB6_13026 Depth=3
	buffer_load_dword v2, off, s[0:3], s33 offset:276 ; 4-byte Folded Reload
	buffer_load_dword v3, off, s[0:3], s33 offset:280 ; 4-byte Folded Reload
	;; [unrolled: 1-line block ×4, first 2 shown]
	s_waitcnt vmcnt(0)
	v_add_co_u32_e32 v2, vcc, 2, v2
	v_addc_co_u32_e32 v3, vcc, 0, v3, vcc
	buffer_store_dword v2, off, s[0:3], s33 offset:276 ; 4-byte Folded Spill
	s_nop 0
	buffer_store_dword v3, off, s[0:3], s33 offset:280 ; 4-byte Folded Spill
	flat_store_dwordx2 v[0:1], v[2:3]
	s_branch .LBB6_13025
.LBB6_13098:                            ;   in Loop: Header=BB6_47 Depth=1
	buffer_load_dword v4, off, s[0:3], s33 offset:700 ; 4-byte Folded Reload
	buffer_load_dword v5, off, s[0:3], s33 offset:704 ; 4-byte Folded Reload
	v_mov_b32_e32 v12, 0
	s_waitcnt vmcnt(0)
	v_mul_lo_u32 v3, v4, s67
	v_mul_lo_u32 v2, v5, s66
	v_mad_u64_u32 v[0:1], s[28:29], v4, s66, 0
	v_add3_u32 v1, v1, v3, v2
	buffer_load_dword v2, off, s[0:3], s33 offset:692 ; 4-byte Folded Reload
	buffer_load_dword v3, off, s[0:3], s33 offset:696 ; 4-byte Folded Reload
	s_waitcnt vmcnt(0)
	v_sub_co_u32_e32 v2, vcc, v2, v0
	v_subb_co_u32_e32 v3, vcc, v3, v1, vcc
	v_cmp_lt_i64_e32 vcc, v[4:5], v[2:3]
	v_cndmask_b32_e32 v3, v2, v4, vcc
	v_max_i32_e32 v9, 0, v3
	v_add_u32_e32 v4, 31, v9
	v_lshrrev_b32_e32 v4, 1, v4
	v_and_b32_e32 v4, 0x3ffffff0, v4
	v_cmp_lt_i32_e32 vcc, 0, v3
	v_mov_b32_e32 v2, 0
	v_max_i32_e32 v10, s81, v4
	s_and_b64 s[28:29], s[74:75], vcc
	s_and_saveexec_b64 s[90:91], s[28:29]
	s_cbranch_execnz .LBB6_13099
; %bb.28915:                            ;   in Loop: Header=BB6_47 Depth=1
	s_getpc_b64 s[98:99]
.Lpost_getpc66:
	s_add_u32 s98, s98, (.LBB6_28258-.Lpost_getpc66)&4294967295
	s_addc_u32 s99, s99, (.LBB6_28258-.Lpost_getpc66)>>32
	s_setpc_b64 s[98:99]
.LBB6_13099:                            ;   in Loop: Header=BB6_47 Depth=1
	buffer_load_dword v2, off, s[0:3], s33 offset:500 ; 4-byte Folded Reload
	s_mov_b32 s80, 1
	s_mov_b64 s[94:95], -1
	v_mov_b32_e32 v12, 0
	s_mov_b64 s[92:93], 0
	buffer_store_dword v9, off, s[0:3], s33 offset:560 ; 4-byte Folded Spill
	s_waitcnt vmcnt(0)
	v_add_co_u32_e32 v0, vcc, v0, v2
	buffer_store_dword v0, off, s[0:3], s33 offset:552 ; 4-byte Folded Spill
	buffer_load_dword v0, off, s[0:3], s33 offset:504 ; 4-byte Folded Reload
	s_waitcnt vmcnt(0)
	v_addc_co_u32_e32 v0, vcc, v1, v0, vcc
	buffer_store_dword v0, off, s[0:3], s33 offset:556 ; 4-byte Folded Spill
	s_branch .LBB6_13101
.LBB6_13100:                            ;   in Loop: Header=BB6_13101 Depth=2
	s_or_b64 exec, exec, s[28:29]
	v_add_u32_e32 v12, v10, v12
	v_cmp_ge_i32_e32 vcc, v12, v9
	s_xor_b64 s[28:29], s[94:95], -1
	s_or_b64 s[28:29], s[28:29], vcc
	s_and_b64 s[28:29], exec, s[28:29]
	s_or_b64 s[92:93], s[28:29], s[92:93]
	s_mov_b64 s[94:95], 0
	v_mov_b32_e32 v2, s80
	s_mov_b32 s80, 2
	s_andn2_b64 exec, exec, s[92:93]
	s_cbranch_execnz .LBB6_13101
; %bb.28917:                            ;   in Loop: Header=BB6_47 Depth=1
	s_getpc_b64 s[98:99]
.Lpost_getpc67:
	s_add_u32 s98, s98, (.LBB6_28333-.Lpost_getpc67)&4294967295
	s_addc_u32 s99, s99, (.LBB6_28333-.Lpost_getpc67)>>32
	s_setpc_b64 s[98:99]
.LBB6_13101:                            ;   Parent Loop BB6_47 Depth=1
                                        ; =>  This Loop Header: Depth=2
                                        ;       Child Loop BB6_13109 Depth 3
                                        ;       Child Loop BB6_13137 Depth 3
                                        ;       Child Loop BB6_13156 Depth 3
                                        ;       Child Loop BB6_20708 Depth 3
                                        ;       Child Loop BB6_24817 Depth 3
                                        ;       Child Loop BB6_25823 Depth 3
                                        ;       Child Loop BB6_28138 Depth 3
                                        ;       Child Loop BB6_13186 Depth 3
                                        ;       Child Loop BB6_17293 Depth 3
                                        ;         Child Loop BB6_18274 Depth 4
                                        ;       Child Loop BB6_18303 Depth 3
                                        ;       Child Loop BB6_20616 Depth 3
                                        ;         Child Loop BB6_20695 Depth 4
                                        ;       Child Loop BB6_28224 Depth 3
                                        ;       Child Loop BB6_28243 Depth 3
	s_and_saveexec_b64 s[28:29], s[4:5]
	s_cbranch_execz .LBB6_13103
; %bb.13102:                            ;   in Loop: Header=BB6_13101 Depth=2
	s_trap 2
	buffer_load_dword v5, off, s[0:3], s33 offset:552 ; 4-byte Folded Reload
	buffer_load_dword v6, off, s[0:3], s33 offset:556 ; 4-byte Folded Reload
	ds_read2_b64 v[0:3], v0 offset1:1
	v_ashrrev_i32_e32 v4, 31, v12
	s_waitcnt vmcnt(0) lgkmcnt(0)
	v_add_co_u32_e32 v0, vcc, v0, v5
	v_addc_co_u32_e32 v1, vcc, v1, v6, vcc
	v_add_co_u32_e32 v0, vcc, v0, v12
	v_addc_co_u32_e32 v1, vcc, v1, v4, vcc
	ds_write_b64 v0, v[0:1]
	v_add_co_u32_e32 v0, vcc, v2, v5
	v_addc_co_u32_e32 v1, vcc, v3, v6, vcc
	v_add_co_u32_e32 v0, vcc, v0, v12
	v_addc_co_u32_e32 v1, vcc, v1, v4, vcc
	ds_write_b64 v0, v[0:1]
	ds_read_b64 v[0:1], v0
	s_waitcnt lgkmcnt(0)
	v_add_co_u32_e32 v2, vcc, v0, v5
	v_addc_co_u32_e32 v3, vcc, v1, v6, vcc
	v_add_co_u32_e32 v2, vcc, v2, v12
	v_addc_co_u32_e32 v3, vcc, v3, v4, vcc
	v_cmp_ne_u64_e32 vcc, 0, v[0:1]
	v_cndmask_b32_e32 v1, 0, v3, vcc
	v_cndmask_b32_e32 v0, 0, v2, vcc
	ds_write_b64 v0, v[0:1]
.LBB6_13103:                            ;   in Loop: Header=BB6_13101 Depth=2
	s_or_b64 exec, exec, s[28:29]
	v_sub_u32_e32 v0, v9, v12
	v_min_i32_e32 v10, v10, v0
	buffer_load_dword v0, off, s[0:3], s33 offset:72 ; 4-byte Folded Reload
	s_waitcnt vmcnt(0)
	v_and_b32_e32 v0, 12, v0
	v_cmp_ne_u32_e32 vcc, 0, v0
	s_and_saveexec_b64 s[40:41], vcc
	s_cbranch_execz .LBB6_13129
; %bb.13104:                            ;   in Loop: Header=BB6_13101 Depth=2
	buffer_load_dword v0, off, s[0:3], s33 offset:72 ; 4-byte Folded Reload
	s_waitcnt vmcnt(0)
	v_and_b32_e32 v8, 8, v0
	buffer_load_dword v0, off, s[0:3], s33 offset:56 ; 4-byte Folded Reload
	buffer_load_dword v1, off, s[0:3], s33 offset:60 ; 4-byte Folded Reload
	s_waitcnt vmcnt(0)
	v_add_co_u32_e32 v2, vcc, v0, v8
	v_addc_co_u32_e32 v3, vcc, 0, v1, vcc
	buffer_load_dword v0, off, s[0:3], s33 offset:276 ; 4-byte Folded Reload
	buffer_load_dword v1, off, s[0:3], s33 offset:280 ; 4-byte Folded Reload
	s_waitcnt vmcnt(0)
	v_add_co_u32_e32 v0, vcc, 2, v0
	v_addc_co_u32_e32 v1, vcc, 0, v1, vcc
	v_cmp_lt_u64_e32 vcc, v[2:3], v[0:1]
	s_and_saveexec_b64 s[42:43], vcc
	s_cbranch_execz .LBB6_13116
; %bb.13105:                            ;   in Loop: Header=BB6_13101 Depth=2
	buffer_load_dword v2, off, s[0:3], s33 offset:72 ; 4-byte Folded Reload
	s_mov_b32 s84, 0
	s_mov_b64 s[30:31], 0
                                        ; implicit-def: $sgpr34_sgpr35
                                        ; implicit-def: $sgpr36_sgpr37
                                        ; implicit-def: $sgpr38_sgpr39
	s_waitcnt vmcnt(0)
	v_and_b32_e32 v2, 64, v2
	v_cmp_eq_u32_e32 vcc, 0, v2
	s_branch .LBB6_13109
.LBB6_13106:                            ;   in Loop: Header=BB6_13109 Depth=3
	buffer_load_dword v3, off, s[0:3], s33 offset:56 ; 4-byte Folded Reload
	buffer_load_dword v4, off, s[0:3], s33 offset:60 ; 4-byte Folded Reload
	s_or_b64 s[52:53], s[52:53], exec
	s_waitcnt vmcnt(1)
	v_add_co_u32_e64 v3, s[28:29], v3, v8
	s_waitcnt vmcnt(0)
	v_addc_co_u32_e64 v4, s[28:29], 0, v4, s[28:29]
	v_cmp_ge_u64_e64 s[28:29], v[3:4], v[0:1]
	s_orn2_b64 s[50:51], s[28:29], exec
.LBB6_13107:                            ;   in Loop: Header=BB6_13109 Depth=3
	s_or_b64 exec, exec, s[64:65]
	s_andn2_b64 s[28:29], s[38:39], exec
	s_and_b64 s[62:63], s[52:53], exec
	s_or_b64 s[38:39], s[28:29], s[62:63]
	s_andn2_b64 s[28:29], s[36:37], exec
	s_and_b64 s[62:63], s[50:51], exec
	s_or_b64 s[36:37], s[28:29], s[62:63]
.LBB6_13108:                            ;   in Loop: Header=BB6_13109 Depth=3
	s_or_b64 exec, exec, s[48:49]
	s_and_b64 s[28:29], exec, s[36:37]
	s_or_b64 s[30:31], s[28:29], s[30:31]
	s_andn2_b64 s[28:29], s[34:35], exec
	s_and_b64 s[62:63], s[38:39], exec
	s_or_b64 s[34:35], s[28:29], s[62:63]
	s_andn2_b64 exec, exec, s[30:31]
	s_cbranch_execz .LBB6_13113
.LBB6_13109:                            ;   Parent Loop BB6_47 Depth=1
                                        ;     Parent Loop BB6_13101 Depth=2
                                        ; =>    This Inner Loop Header: Depth=3
	s_sleep 1
	buffer_load_dword v2, off, s[0:3], s33 offset:64 ; 4-byte Folded Reload
	buffer_load_dword v3, off, s[0:3], s33 offset:68 ; 4-byte Folded Reload
	s_or_b64 s[38:39], s[38:39], exec
	s_or_b64 s[36:37], s[36:37], exec
	s_waitcnt vmcnt(0)
	flat_load_dwordx2 v[2:3], v[2:3] glc
	s_waitcnt vmcnt(0) lgkmcnt(0)
	buffer_store_dword v2, off, s[0:3], s33 offset:56 ; 4-byte Folded Spill
	s_nop 0
	buffer_store_dword v3, off, s[0:3], s33 offset:60 ; 4-byte Folded Spill
                                        ; implicit-def: $vgpr2
	s_and_saveexec_b64 s[48:49], vcc
	s_cbranch_execz .LBB6_13108
; %bb.13110:                            ;   in Loop: Header=BB6_13109 Depth=3
	s_cmpk_lt_i32 s84, 0x270f
	s_cselect_b64 s[54:55], -1, 0
	s_cmpk_gt_i32 s84, 0x270e
	s_mov_b64 s[50:51], -1
	s_cbranch_scc0 .LBB6_13112
; %bb.13111:                            ;   in Loop: Header=BB6_13109 Depth=3
	s_trap 2
	ds_read_b64 v[2:3], v0
	s_andn2_b64 s[62:63], s[54:55], exec
	s_mov_b32 s84, 0
	s_mov_b64 s[52:53], 0
	s_waitcnt vmcnt(0) lgkmcnt(0)
	flat_load_dword v2, v[2:3] glc
	s_waitcnt vmcnt(0) lgkmcnt(0)
	buffer_wbinvl1_vol
	v_cmp_eq_u32_e64 s[28:29], 0, v2
	s_and_b64 s[28:29], s[28:29], exec
	s_or_b64 s[54:55], s[62:63], s[28:29]
	s_and_saveexec_b64 s[64:65], s[54:55]
	s_cbranch_execz .LBB6_13107
	s_branch .LBB6_13106
.LBB6_13112:                            ;   in Loop: Header=BB6_13109 Depth=3
	s_add_i32 s84, s84, 1
	s_mov_b64 s[52:53], -1
                                        ; implicit-def: $vgpr2
	s_and_saveexec_b64 s[64:65], s[54:55]
	s_cbranch_execz .LBB6_13107
	s_branch .LBB6_13106
.LBB6_13113:                            ;   in Loop: Header=BB6_13101 Depth=2
	s_or_b64 exec, exec, s[30:31]
	s_xor_b64 s[28:29], s[34:35], -1
	s_and_saveexec_b64 s[62:63], s[28:29]
	s_xor_b64 s[28:29], exec, s[62:63]
	s_cbranch_execz .LBB6_13115
; %bb.13114:                            ;   in Loop: Header=BB6_13101 Depth=2
	ds_write_b32 v0, v2
	s_trap 2
	buffer_load_dword v2, off, s[0:3], s33 offset:72 ; 4-byte Folded Reload
	s_waitcnt vmcnt(0)
	v_or_b32_e32 v2, 64, v2
	buffer_store_dword v2, off, s[0:3], s33 offset:72 ; 4-byte Folded Spill
.LBB6_13115:                            ;   in Loop: Header=BB6_13101 Depth=2
	s_or_b64 exec, exec, s[28:29]
.LBB6_13116:                            ;   in Loop: Header=BB6_13101 Depth=2
	s_or_b64 exec, exec, s[42:43]
	;;#ASMSTART
	s_wakeup
	;;#ASMEND
	buffer_load_dword v2, off, s[0:3], s33 offset:72 ; 4-byte Folded Reload
	s_waitcnt vmcnt(0)
	v_and_b32_e32 v2, 0x108, v2
	v_cmp_ne_u32_e32 vcc, s69, v2
                                        ; implicit-def: $vgpr2_vgpr3
	s_and_saveexec_b64 s[28:29], vcc
	s_xor_b64 s[28:29], exec, s[28:29]
	s_cbranch_execz .LBB6_13118
; %bb.13117:                            ;   in Loop: Header=BB6_13101 Depth=2
	buffer_load_dword v2, off, s[0:3], s33 offset:276 ; 4-byte Folded Reload
	buffer_load_dword v3, off, s[0:3], s33 offset:280 ; 4-byte Folded Reload
	s_waitcnt vmcnt(0)
	v_mov_b32_e32 v3, v33
                                        ; implicit-def: $vgpr4_vgpr5
                                        ; kill: killed $vgpr4_vgpr5
	v_and_b32_e32 v2, 7, v2
.LBB6_13118:                            ;   in Loop: Header=BB6_13101 Depth=2
	s_andn2_saveexec_b64 s[28:29], s[28:29]
	s_cbranch_execz .LBB6_13120
; %bb.13119:                            ;   in Loop: Header=BB6_13101 Depth=2
	buffer_load_dword v2, off, s[0:3], s33 offset:276 ; 4-byte Folded Reload
	buffer_load_dword v3, off, s[0:3], s33 offset:280 ; 4-byte Folded Reload
	;; [unrolled: 1-line block ×6, first 2 shown]
	v_ashrrev_i32_e32 v11, 31, v10
	s_waitcnt vmcnt(0)
	v_and_b32_e32 v2, 7, v2
	v_mad_u64_u32 v[4:5], s[42:43], v2, 24, v[3:4]
	v_mov_b32_e32 v3, v33
	flat_store_dwordx2 v[4:5], v[10:11] offset:8
.LBB6_13120:                            ;   in Loop: Header=BB6_13101 Depth=2
	s_or_b64 exec, exec, s[28:29]
	buffer_load_dword v4, off, s[0:3], s33 offset:72 ; 4-byte Folded Reload
	s_mov_b64 s[28:29], -1
	s_waitcnt vmcnt(0)
	v_and_b32_e32 v4, 0x100, v4
	v_cmp_ne_u32_e32 vcc, 0, v4
                                        ; implicit-def: $vgpr4_vgpr5
	s_and_saveexec_b64 s[42:43], vcc
	s_cbranch_execz .LBB6_13124
; %bb.13121:                            ;   in Loop: Header=BB6_13101 Depth=2
	buffer_load_dword v4, off, s[0:3], s33 offset:420 ; 4-byte Folded Reload
	buffer_load_dword v5, off, s[0:3], s33 offset:424 ; 4-byte Folded Reload
	;; [unrolled: 1-line block ×4, first 2 shown]
	s_waitcnt vmcnt(0)
	v_mad_u64_u32 v[6:7], s[28:29], v2, 24, v[4:5]
	v_mov_b32_e32 v4, v7
	v_mad_u64_u32 v[4:5], s[28:29], v3, 24, v[4:5]
	v_mov_b32_e32 v7, v4
	flat_load_dword v4, v[6:7]
	s_waitcnt vmcnt(0) lgkmcnt(0)
	v_cmp_ne_u32_e32 vcc, 1, v4
	v_cmp_eq_u32_e64 s[28:29], 1, v4
                                        ; implicit-def: $vgpr4_vgpr5
	s_and_saveexec_b64 s[30:31], s[28:29]
	s_cbranch_execz .LBB6_13123
; %bb.13122:                            ;   in Loop: Header=BB6_13101 Depth=2
	flat_load_dword v4, v[6:7] offset:4 glc
	s_waitcnt vmcnt(0) lgkmcnt(0)
	v_ashrrev_i32_e32 v5, 31, v4
.LBB6_13123:                            ;   in Loop: Header=BB6_13101 Depth=2
	s_or_b64 exec, exec, s[30:31]
	s_orn2_b64 s[28:29], vcc, exec
.LBB6_13124:                            ;   in Loop: Header=BB6_13101 Depth=2
	s_or_b64 exec, exec, s[42:43]
	s_and_saveexec_b64 s[42:43], s[28:29]
	s_cbranch_execz .LBB6_13126
; %bb.13125:                            ;   in Loop: Header=BB6_13101 Depth=2
	buffer_load_dword v4, off, s[0:3], s33 offset:456 ; 4-byte Folded Reload
	buffer_load_dword v5, off, s[0:3], s33 offset:476 ; 4-byte Folded Reload
	s_waitcnt vmcnt(0)
	v_mul_lo_u32 v3, v3, v4
	v_mul_lo_u32 v6, v2, v5
	v_mad_u64_u32 v[4:5], s[28:29], v2, v4, 0
	v_add3_u32 v5, v5, v6, v3
.LBB6_13126:                            ;   in Loop: Header=BB6_13101 Depth=2
	s_or_b64 exec, exec, s[42:43]
	v_cmp_eq_u32_e32 vcc, 0, v8
	v_mov_b32_e32 v2, 0x90
	v_mov_b32_e32 v3, 0xd0
	v_cndmask_b32_e32 v6, v3, v2, vcc
	buffer_load_dword v2, off, s[0:3], s33 offset:412 ; 4-byte Folded Reload
	buffer_load_dword v3, off, s[0:3], s33 offset:416 ; 4-byte Folded Reload
	s_waitcnt vmcnt(0)
	v_add_co_u32_e32 v2, vcc, v2, v4
	v_addc_co_u32_e32 v3, vcc, v3, v5, vcc
	v_add_u32_e32 v4, v0, v6
	ds_write_b64 v4, v[2:3] offset:584
	buffer_load_dword v2, off, s[0:3], s33 offset:72 ; 4-byte Folded Reload
	s_waitcnt vmcnt(0)
	v_and_b32_e32 v2, 0x2000, v2
	v_cmp_ne_u32_e32 vcc, 0, v2
	s_and_saveexec_b64 s[28:29], vcc
	s_cbranch_execz .LBB6_13128
; %bb.13127:                            ;   in Loop: Header=BB6_13101 Depth=2
	ds_read_b64 v[2:3], v0 offset:872
	s_waitcnt lgkmcnt(0)
	v_add_co_u32_e32 v2, vcc, 1, v2
	v_addc_co_u32_e32 v3, vcc, 0, v3, vcc
	ds_write_b64 v0, v[2:3] offset:872
.LBB6_13128:                            ;   in Loop: Header=BB6_13101 Depth=2
	s_or_b64 exec, exec, s[28:29]
	buffer_store_dword v0, off, s[0:3], s33 offset:276 ; 4-byte Folded Spill
	s_nop 0
	buffer_store_dword v1, off, s[0:3], s33 offset:280 ; 4-byte Folded Spill
.LBB6_13129:                            ;   in Loop: Header=BB6_13101 Depth=2
	s_or_b64 exec, exec, s[40:41]
	s_and_saveexec_b64 s[28:29], s[12:13]
	s_cbranch_execz .LBB6_13148
; %bb.13130:                            ;   in Loop: Header=BB6_13101 Depth=2
	s_and_saveexec_b64 s[40:41], s[58:59]
	s_xor_b64 s[40:41], exec, s[40:41]
	s_cbranch_execz .LBB6_13145
; %bb.13131:                            ;   in Loop: Header=BB6_13101 Depth=2
	s_and_saveexec_b64 s[42:43], s[6:7]
	s_cbranch_execz .LBB6_13144
; %bb.13132:                            ;   in Loop: Header=BB6_13101 Depth=2
	s_mov_b64 s[34:35], exec
	v_mbcnt_lo_u32_b32 v0, s34, 0
	v_mbcnt_hi_u32_b32 v0, s35, v0
	v_cmp_eq_u32_e32 vcc, 0, v0
	s_waitcnt vmcnt(0) lgkmcnt(0)
	buffer_wbinvl1_vol
	s_and_saveexec_b64 s[30:31], vcc
	s_cbranch_execz .LBB6_13134
; %bb.13133:                            ;   in Loop: Header=BB6_13101 Depth=2
	s_bcnt1_i32_b64 s62, s[34:35]
	v_mov_b32_e32 v0, s62
	v_mov_b32_e32 v1, v33
	ds_add_u64 v0, v[0:1]
	s_trap 2
.LBB6_13134:                            ;   in Loop: Header=BB6_13101 Depth=2
	s_or_b64 exec, exec, s[30:31]
	s_trap 2
	ds_read_b64 v[0:1], v0
	s_waitcnt lgkmcnt(0)
	buffer_load_dword v2, off, s[0:3], s33 offset:76 ; 4-byte Folded Reload
	buffer_load_dword v3, off, s[0:3], s33 offset:80 ; 4-byte Folded Reload
	;; [unrolled: 1-line block ×3, first 2 shown]
	s_waitcnt vmcnt(0)
	v_add_co_u32_e32 v2, vcc, v2, v4
	v_addc_co_u32_e32 v3, vcc, 0, v3, vcc
	buffer_store_dword v2, off, s[0:3], s33 offset:76 ; 4-byte Folded Spill
	s_nop 0
	buffer_store_dword v3, off, s[0:3], s33 offset:80 ; 4-byte Folded Spill
	v_cmp_lt_u64_e32 vcc, v[0:1], v[2:3]
	s_and_saveexec_b64 s[30:31], vcc
	s_cbranch_execz .LBB6_13143
; %bb.13135:                            ;   in Loop: Header=BB6_13101 Depth=2
	s_mov_b32 s62, 0
	s_mov_b64 s[34:35], 0
                                        ; implicit-def: $sgpr36_sgpr37
                                        ; implicit-def: $sgpr38_sgpr39
	s_branch .LBB6_13137
.LBB6_13136:                            ;   in Loop: Header=BB6_13137 Depth=3
	s_or_b64 exec, exec, s[50:51]
	s_and_b64 vcc, exec, vcc
	s_or_b64 s[34:35], vcc, s[34:35]
	s_andn2_b64 vcc, s[36:37], exec
	s_and_b64 s[36:37], s[38:39], exec
	s_or_b64 s[36:37], vcc, s[36:37]
	s_andn2_b64 exec, exec, s[34:35]
	s_cbranch_execz .LBB6_13141
.LBB6_13137:                            ;   Parent Loop BB6_47 Depth=1
                                        ;     Parent Loop BB6_13101 Depth=2
                                        ; =>    This Inner Loop Header: Depth=3
	s_add_i32 s62, s62, 1
	s_cmpk_lg_i32 s62, 0x2710
	s_cselect_b64 s[48:49], -1, 0
	s_and_b64 vcc, exec, s[48:49]
	s_cbranch_vccz .LBB6_13139
; %bb.13138:                            ;   in Loop: Header=BB6_13137 Depth=3
	s_mov_b64 vcc, -1
	s_or_b64 s[38:39], s[38:39], exec
	s_and_saveexec_b64 s[50:51], s[48:49]
	s_cbranch_execz .LBB6_13136
	s_branch .LBB6_13140
.LBB6_13139:                            ;   in Loop: Header=BB6_13137 Depth=3
	s_trap 2
	ds_read_b64 v[0:1], v0
	s_andn2_b64 s[48:49], s[48:49], exec
	s_mov_b32 s62, 0
	s_waitcnt vmcnt(0) lgkmcnt(0)
	flat_load_dword v0, v[0:1] glc
	s_waitcnt vmcnt(0) lgkmcnt(0)
	buffer_wbinvl1_vol
	v_cmp_eq_u32_e32 vcc, 0, v0
	s_and_b64 vcc, vcc, exec
	s_or_b64 s[48:49], s[48:49], vcc
	s_mov_b64 vcc, -1
	s_or_b64 s[38:39], s[38:39], exec
	s_and_saveexec_b64 s[50:51], s[48:49]
	s_cbranch_execz .LBB6_13136
.LBB6_13140:                            ;   in Loop: Header=BB6_13137 Depth=3
	s_sleep 1
	s_trap 2
	ds_read_b64 v[0:1], v0
	s_waitcnt lgkmcnt(0)
	buffer_load_dword v2, off, s[0:3], s33 offset:76 ; 4-byte Folded Reload
	buffer_load_dword v3, off, s[0:3], s33 offset:80 ; 4-byte Folded Reload
	s_andn2_b64 s[38:39], s[38:39], exec
	s_waitcnt vmcnt(0)
	v_cmp_ge_u64_e32 vcc, v[0:1], v[2:3]
	s_orn2_b64 vcc, vcc, exec
	s_branch .LBB6_13136
.LBB6_13141:                            ;   in Loop: Header=BB6_13101 Depth=2
	s_or_b64 exec, exec, s[34:35]
	s_and_saveexec_b64 s[62:63], s[36:37]
	s_xor_b64 s[62:63], exec, s[62:63]
	s_cbranch_execz .LBB6_13143
; %bb.13142:                            ;   in Loop: Header=BB6_13101 Depth=2
	v_mov_b32_e32 v0, 1
	ds_write_b32 v0, v0
	s_trap 2
.LBB6_13143:                            ;   in Loop: Header=BB6_13101 Depth=2
	s_or_b64 exec, exec, s[30:31]
	;;#ASMSTART
	s_wakeup
	;;#ASMEND
.LBB6_13144:                            ;   in Loop: Header=BB6_13101 Depth=2
	s_or_b64 exec, exec, s[42:43]
.LBB6_13145:                            ;   in Loop: Header=BB6_13101 Depth=2
	s_andn2_saveexec_b64 s[40:41], s[40:41]
	s_cbranch_execz .LBB6_13147
; %bb.13146:                            ;   in Loop: Header=BB6_13101 Depth=2
	s_waitcnt vmcnt(0) lgkmcnt(0)
	buffer_wbinvl1_vol
	s_barrier
.LBB6_13147:                            ;   in Loop: Header=BB6_13101 Depth=2
	s_or_b64 exec, exec, s[40:41]
.LBB6_13148:                            ;   in Loop: Header=BB6_13101 Depth=2
	s_or_b64 exec, exec, s[28:29]
	s_trap 2
	buffer_load_dword v1, off, s[0:3], s33 offset:72 ; 4-byte Folded Reload
	ds_read_b32 v0, v0
	s_xor_b64 s[28:29], s[10:11], -1
	s_waitcnt vmcnt(0)
	v_and_b32_e32 v1, 0x4000, v1
	v_cmp_ne_u32_e32 vcc, 0, v1
	s_and_b64 s[40:41], s[28:29], vcc
	s_and_saveexec_b64 s[28:29], s[40:41]
	s_cbranch_execz .LBB6_13167
; %bb.13149:                            ;   in Loop: Header=BB6_13101 Depth=2
	s_and_saveexec_b64 s[40:41], s[58:59]
	s_xor_b64 s[40:41], exec, s[40:41]
	s_cbranch_execz .LBB6_13164
; %bb.13150:                            ;   in Loop: Header=BB6_13101 Depth=2
	s_and_saveexec_b64 s[42:43], s[6:7]
	s_cbranch_execz .LBB6_13163
; %bb.13151:                            ;   in Loop: Header=BB6_13101 Depth=2
	s_mov_b64 s[34:35], exec
	v_mbcnt_lo_u32_b32 v1, s34, 0
	v_mbcnt_hi_u32_b32 v1, s35, v1
	v_cmp_eq_u32_e32 vcc, 0, v1
	s_waitcnt lgkmcnt(0)
	buffer_wbinvl1_vol
	s_and_saveexec_b64 s[30:31], vcc
	s_cbranch_execz .LBB6_13153
; %bb.13152:                            ;   in Loop: Header=BB6_13101 Depth=2
	s_bcnt1_i32_b64 s62, s[34:35]
	v_mov_b32_e32 v1, s62
	v_mov_b32_e32 v2, v33
	ds_add_u64 v0, v[1:2]
	s_trap 2
.LBB6_13153:                            ;   in Loop: Header=BB6_13101 Depth=2
	s_or_b64 exec, exec, s[30:31]
	s_trap 2
	ds_read_b64 v[1:2], v0
	s_waitcnt lgkmcnt(0)
	buffer_load_dword v3, off, s[0:3], s33 offset:76 ; 4-byte Folded Reload
	buffer_load_dword v4, off, s[0:3], s33 offset:80 ; 4-byte Folded Reload
	;; [unrolled: 1-line block ×3, first 2 shown]
	s_waitcnt vmcnt(0)
	v_add_co_u32_e32 v3, vcc, v3, v5
	v_addc_co_u32_e32 v4, vcc, 0, v4, vcc
	buffer_store_dword v3, off, s[0:3], s33 offset:76 ; 4-byte Folded Spill
	s_nop 0
	buffer_store_dword v4, off, s[0:3], s33 offset:80 ; 4-byte Folded Spill
	v_cmp_lt_u64_e32 vcc, v[1:2], v[3:4]
	s_and_saveexec_b64 s[30:31], vcc
	s_cbranch_execz .LBB6_13162
; %bb.13154:                            ;   in Loop: Header=BB6_13101 Depth=2
	s_mov_b32 s62, 0
	s_mov_b64 s[34:35], 0
                                        ; implicit-def: $sgpr36_sgpr37
                                        ; implicit-def: $sgpr38_sgpr39
	s_branch .LBB6_13156
.LBB6_13155:                            ;   in Loop: Header=BB6_13156 Depth=3
	s_or_b64 exec, exec, s[50:51]
	s_and_b64 vcc, exec, vcc
	s_or_b64 s[34:35], vcc, s[34:35]
	s_andn2_b64 vcc, s[36:37], exec
	s_and_b64 s[36:37], s[38:39], exec
	s_or_b64 s[36:37], vcc, s[36:37]
	s_andn2_b64 exec, exec, s[34:35]
	s_cbranch_execz .LBB6_13160
.LBB6_13156:                            ;   Parent Loop BB6_47 Depth=1
                                        ;     Parent Loop BB6_13101 Depth=2
                                        ; =>    This Inner Loop Header: Depth=3
	s_add_i32 s62, s62, 1
	s_cmpk_lg_i32 s62, 0x2710
	s_cselect_b64 s[48:49], -1, 0
	s_and_b64 vcc, exec, s[48:49]
	s_cbranch_vccz .LBB6_13158
; %bb.13157:                            ;   in Loop: Header=BB6_13156 Depth=3
	s_mov_b64 vcc, -1
	s_or_b64 s[38:39], s[38:39], exec
	s_and_saveexec_b64 s[50:51], s[48:49]
	s_cbranch_execz .LBB6_13155
	s_branch .LBB6_13159
.LBB6_13158:                            ;   in Loop: Header=BB6_13156 Depth=3
	s_trap 2
	ds_read_b64 v[1:2], v0
	s_andn2_b64 s[48:49], s[48:49], exec
	s_mov_b32 s62, 0
	s_waitcnt vmcnt(0) lgkmcnt(0)
	flat_load_dword v1, v[1:2] glc
	s_waitcnt vmcnt(0) lgkmcnt(0)
	buffer_wbinvl1_vol
	v_cmp_eq_u32_e32 vcc, 0, v1
	s_and_b64 vcc, vcc, exec
	s_or_b64 s[48:49], s[48:49], vcc
	s_mov_b64 vcc, -1
	s_or_b64 s[38:39], s[38:39], exec
	s_and_saveexec_b64 s[50:51], s[48:49]
	s_cbranch_execz .LBB6_13155
.LBB6_13159:                            ;   in Loop: Header=BB6_13156 Depth=3
	s_sleep 1
	s_trap 2
	ds_read_b64 v[1:2], v0
	s_waitcnt lgkmcnt(0)
	buffer_load_dword v3, off, s[0:3], s33 offset:76 ; 4-byte Folded Reload
	buffer_load_dword v4, off, s[0:3], s33 offset:80 ; 4-byte Folded Reload
	s_andn2_b64 s[38:39], s[38:39], exec
	s_waitcnt vmcnt(0)
	v_cmp_ge_u64_e32 vcc, v[1:2], v[3:4]
	s_orn2_b64 vcc, vcc, exec
	s_branch .LBB6_13155
.LBB6_13160:                            ;   in Loop: Header=BB6_13101 Depth=2
	s_or_b64 exec, exec, s[34:35]
	s_and_saveexec_b64 s[62:63], s[36:37]
	s_xor_b64 s[62:63], exec, s[62:63]
	s_cbranch_execz .LBB6_13162
; %bb.13161:                            ;   in Loop: Header=BB6_13101 Depth=2
	v_mov_b32_e32 v1, 1
	ds_write_b32 v0, v1
	s_trap 2
.LBB6_13162:                            ;   in Loop: Header=BB6_13101 Depth=2
	s_or_b64 exec, exec, s[30:31]
	;;#ASMSTART
	s_wakeup
	;;#ASMEND
.LBB6_13163:                            ;   in Loop: Header=BB6_13101 Depth=2
	s_or_b64 exec, exec, s[42:43]
.LBB6_13164:                            ;   in Loop: Header=BB6_13101 Depth=2
	s_andn2_saveexec_b64 s[40:41], s[40:41]
	s_cbranch_execz .LBB6_13166
; %bb.13165:                            ;   in Loop: Header=BB6_13101 Depth=2
	s_waitcnt vmcnt(0) lgkmcnt(0)
	buffer_wbinvl1_vol
	s_barrier
.LBB6_13166:                            ;   in Loop: Header=BB6_13101 Depth=2
	s_or_b64 exec, exec, s[40:41]
.LBB6_13167:                            ;   in Loop: Header=BB6_13101 Depth=2
	s_or_b64 exec, exec, s[28:29]
	s_trap 2
	s_waitcnt lgkmcnt(0)
	ds_read_b64 v[1:2], v0
	s_waitcnt lgkmcnt(0)
	v_cmp_eq_u64_e32 vcc, 0, v[1:2]
	s_cbranch_vccnz .LBB6_13176
; %bb.13168:                            ;   in Loop: Header=BB6_13101 Depth=2
	buffer_store_dword v1, off, s[0:3], s33 offset:516 ; 4-byte Folded Spill
	s_nop 0
	buffer_store_dword v2, off, s[0:3], s33 offset:520 ; 4-byte Folded Spill
	s_trap 2
	ds_read_b64 v[1:2], v0
	s_waitcnt lgkmcnt(0)
	buffer_store_dword v1, off, s[0:3], s33 offset:508 ; 4-byte Folded Spill
	s_nop 0
	buffer_store_dword v2, off, s[0:3], s33 offset:512 ; 4-byte Folded Spill
	v_cmp_eq_u64_e32 vcc, 0, v[1:2]
	s_cbranch_vccnz .LBB6_13176
; %bb.13169:                            ;   in Loop: Header=BB6_13101 Depth=2
	s_trap 2
	ds_read_b64 v[40:41], v0
	v_cmp_eq_u32_e64 s[28:29], 0, v0
	v_cndmask_b32_e64 v0, 0, v10, s[28:29]
	buffer_store_dword v0, off, s[0:3], s33 offset:452 ; 4-byte Folded Spill
	buffer_store_dword v10, off, s[0:3], s33 offset:532 ; 4-byte Folded Spill
	s_nop 0
	buffer_store_dword v11, off, s[0:3], s33 offset:536 ; 4-byte Folded Spill
	buffer_store_dword v12, off, s[0:3], s33 offset:540 ; 4-byte Folded Spill
	s_waitcnt lgkmcnt(0)
	v_cmp_ne_u64_e32 vcc, 0, v[40:41]
	s_cbranch_vccz .LBB6_13181
; %bb.13170:                            ;   in Loop: Header=BB6_13101 Depth=2
	s_mov_b64 s[40:41], -1
	s_and_saveexec_b64 s[28:29], s[24:25]
	s_cbranch_execz .LBB6_13172
; %bb.13171:                            ;   in Loop: Header=BB6_13101 Depth=2
	ds_read_b32 v0, v0 offset:720
	s_waitcnt lgkmcnt(0)
	v_and_b32_e32 v0, 15, v0
	v_cmp_eq_u32_e32 vcc, 0, v0
	s_orn2_b64 s[40:41], vcc, exec
.LBB6_13172:                            ;   in Loop: Header=BB6_13101 Depth=2
	s_or_b64 exec, exec, s[28:29]
	s_and_saveexec_b64 s[28:29], s[24:25]
	s_cbranch_execz .LBB6_13174
; %bb.13173:                            ;   in Loop: Header=BB6_13101 Depth=2
	ds_read_b32 v0, v0 offset:784
	s_waitcnt lgkmcnt(0)
	v_and_b32_e32 v0, 15, v0
	v_cmp_eq_u32_e32 vcc, 0, v0
	s_and_b64 s[42:43], s[40:41], vcc
	s_andn2_b64 s[40:41], s[40:41], exec
	s_and_b64 s[42:43], s[42:43], exec
	s_or_b64 s[40:41], s[40:41], s[42:43]
.LBB6_13174:                            ;   in Loop: Header=BB6_13101 Depth=2
	s_or_b64 exec, exec, s[28:29]
	buffer_load_dword v3, off, s[0:3], s33 offset:452 ; 4-byte Folded Reload
	buffer_load_dword v2, off, s[0:3], s33 offset:480 ; 4-byte Folded Reload
	s_xor_b64 s[40:41], s[40:41], -1
	v_cndmask_b32_e64 v0, 0, 1, s[40:41]
	s_mov_b64 s[28:29], -1
	v_mov_b32_e32 v5, 0
	v_cmp_ne_u32_e32 vcc, 0, v0
	s_cbranch_vccz .LBB6_13182
; %bb.13175:                            ;   in Loop: Header=BB6_13101 Depth=2
	s_and_saveexec_b64 s[42:43], s[28:29]
	s_cbranch_execnz .LBB6_28851
; %bb.28919:                            ;   in Loop: Header=BB6_13101 Depth=2
	s_getpc_b64 s[98:99]
.Lpost_getpc68:
	s_add_u32 s98, s98, (.LBB6_20697-.Lpost_getpc68)&4294967295
	s_addc_u32 s99, s99, (.LBB6_20697-.Lpost_getpc68)>>32
	s_setpc_b64 s[98:99]
.LBB6_28851:                            ;   in Loop: Header=BB6_13101 Depth=2
	s_getpc_b64 s[98:99]
.Lpost_getpc34:
	s_add_u32 s98, s98, (.LBB6_18299-.Lpost_getpc34)&4294967295
	s_addc_u32 s99, s99, (.LBB6_18299-.Lpost_getpc34)>>32
	s_setpc_b64 s[98:99]
.LBB6_13176:                            ;   in Loop: Header=BB6_13101 Depth=2
	s_mov_b64 s[28:29], 0
	s_and_saveexec_b64 s[40:41], s[12:13]
	s_cbranch_execz .LBB6_13177
; %bb.28921:                            ;   in Loop: Header=BB6_13101 Depth=2
	s_getpc_b64 s[98:99]
.Lpost_getpc69:
	s_add_u32 s98, s98, (.LBB6_28217-.Lpost_getpc69)&4294967295
	s_addc_u32 s99, s99, (.LBB6_28217-.Lpost_getpc69)>>32
	s_setpc_b64 s[98:99]
.LBB6_13177:                            ;   in Loop: Header=BB6_13101 Depth=2
	s_or_b64 exec, exec, s[40:41]
                                        ; implicit-def: $vgpr0
	s_and_saveexec_b64 s[40:41], s[18:19]
	s_xor_b64 s[40:41], exec, s[40:41]
	s_cbranch_execnz .LBB6_13178
; %bb.28923:                            ;   in Loop: Header=BB6_13101 Depth=2
	s_getpc_b64 s[98:99]
.Lpost_getpc70:
	s_add_u32 s98, s98, (.LBB6_28235-.Lpost_getpc70)&4294967295
	s_addc_u32 s99, s99, (.LBB6_28235-.Lpost_getpc70)>>32
	s_setpc_b64 s[98:99]
.LBB6_13178:                            ;   in Loop: Header=BB6_13101 Depth=2
	buffer_load_dword v1, off, s[0:3], s33 offset:72 ; 4-byte Folded Reload
	s_waitcnt vmcnt(0)
	v_and_b32_e32 v0, 16, v1
	v_and_b32_e32 v1, 16, v1
	v_cmp_ne_u32_e32 vcc, 0, v1
	s_and_b64 s[42:43], vcc, s[28:29]
	s_and_saveexec_b64 s[28:29], s[42:43]
	s_cbranch_execz .LBB6_13180
; %bb.13179:                            ;   in Loop: Header=BB6_13101 Depth=2
	v_mov_b32_e32 v0, 1
	s_waitcnt lgkmcnt(0)
	buffer_wbinvl1_vol
.LBB6_13180:                            ;   in Loop: Header=BB6_13101 Depth=2
	s_or_b64 exec, exec, s[28:29]
	s_andn2_saveexec_b64 s[28:29], s[40:41]
	s_cbranch_execnz .LBB6_28853
; %bb.28925:                            ;   in Loop: Header=BB6_13101 Depth=2
	s_getpc_b64 s[98:99]
.Lpost_getpc71:
	s_add_u32 s98, s98, (.LBB6_28254-.Lpost_getpc71)&4294967295
	s_addc_u32 s99, s99, (.LBB6_28254-.Lpost_getpc71)>>32
	s_setpc_b64 s[98:99]
.LBB6_28853:                            ;   in Loop: Header=BB6_13101 Depth=2
	s_getpc_b64 s[98:99]
.Lpost_getpc35:
	s_add_u32 s98, s98, (.LBB6_28236-.Lpost_getpc35)&4294967295
	s_addc_u32 s99, s99, (.LBB6_28236-.Lpost_getpc35)>>32
	s_setpc_b64 s[98:99]
.LBB6_13181:                            ;   in Loop: Header=BB6_13101 Depth=2
	s_cbranch_execz .LBB6_28855
; %bb.28927:                            ;   in Loop: Header=BB6_13101 Depth=2
	s_getpc_b64 s[98:99]
.Lpost_getpc72:
	s_add_u32 s98, s98, (.LBB6_20698-.Lpost_getpc72)&4294967295
	s_addc_u32 s99, s99, (.LBB6_20698-.Lpost_getpc72)>>32
	s_setpc_b64 s[98:99]
.LBB6_28855:                            ;   in Loop: Header=BB6_13101 Depth=2
	s_getpc_b64 s[98:99]
.Lpost_getpc36:
	s_add_u32 s98, s98, (.LBB6_28216-.Lpost_getpc36)&4294967295
	s_addc_u32 s99, s99, (.LBB6_28216-.Lpost_getpc36)>>32
	s_setpc_b64 s[98:99]
.LBB6_13182:                            ;   in Loop: Header=BB6_13101 Depth=2
	buffer_load_dword v1, off, s[0:3], s33 offset:452 ; 4-byte Folded Reload
	s_waitcnt vmcnt(0)
	v_ashrrev_i32_e32 v0, 31, v1
	v_lshrrev_b32_e32 v0, 20, v0
	v_add_u32_e32 v0, v1, v0
	v_ashrrev_i32_e32 v1, 12, v0
	buffer_load_dword v0, off, s[0:3], s33 offset:524 ; 4-byte Folded Reload
	s_waitcnt vmcnt(0)
	v_sub_u32_e32 v4, v1, v0
	v_cmp_lt_i32_e32 vcc, 0, v4
	s_and_saveexec_b64 s[42:43], vcc
	s_cbranch_execz .LBB6_17290
; %bb.13183:                            ;   in Loop: Header=BB6_13101 Depth=2
	buffer_store_dword v1, off, s[0:3], s33 offset:572 ; 4-byte Folded Spill
	s_trap 2
	ds_read_b64 v[0:1], v0
	buffer_load_dword v2, off, s[0:3], s33 offset:680 ; 4-byte Folded Reload
	buffer_load_dword v5, off, s[0:3], s33 offset:516 ; 4-byte Folded Reload
	;; [unrolled: 1-line block ×3, first 2 shown]
	s_waitcnt lgkmcnt(0)
	v_readfirstlane_b32 s40, v0
	s_bfe_i32 s62, s40, 0x80000
	s_and_b32 s41, s40, 3
	s_bfe_u32 s28, s40, 0x50002
	s_and_b32 s29, s40, 0x7c
	s_cmpk_eq_i32 s29, 0x7c
	s_flbit_i32_b32 s29, s41
	s_waitcnt vmcnt(1)
	v_add_co_u32_e32 v60, vcc, v5, v2
	s_waitcnt vmcnt(0)
	v_addc_co_u32_e32 v61, vcc, 0, v6, vcc
	v_add_co_u32_e32 v26, vcc, v0, v2
	v_addc_co_u32_e32 v27, vcc, 0, v1, vcc
	s_cselect_b64 vcc, -1, 0
	s_min_u32 s29, s29, 32
	s_sub_i32 s63, s29, 29
	v_lshlrev_b64 v[0:1], s63, v[0:1]
	s_sub_i32 s29, 30, s29
	s_cmp_eq_u32 s28, 0
	v_and_b32_e32 v0, 3, v0
	s_cselect_b32 s63, s29, s28
	v_mov_b32_e32 v1, s41
	s_cselect_b64 s[28:29], -1, 0
	v_cndmask_b32_e64 v0, v1, v0, s[28:29]
	s_lshl_b32 s28, s40, 24
	s_and_b32 s28, s28, 0x80000000
	s_lshl_b32 s29, s63, 23
	s_add_i32 s29, s29, s28
	v_lshlrev_b32_e32 v0, 21, v0
	s_cmp_eq_u32 s41, 0
	s_sext_i32_i8 s40, s40
	v_or_b32_e32 v0, s29, v0
	s_cselect_b64 s[28:29], -1, 0
	s_cmp_gt_i32 s40, -1
	s_cselect_b64 s[40:41], -1, 0
	v_mov_b32_e32 v1, 0xff800000
	v_mov_b32_e32 v2, 0x7f800000
	v_cndmask_b32_e64 v1, v1, v2, s[40:41]
	v_mov_b32_e32 v2, 0x7f800001
	v_add_u32_e32 v0, 0x38000000, v0
	v_cndmask_b32_e64 v1, v2, v1, s[28:29]
	v_cndmask_b32_e32 v0, v0, v1, vcc
	buffer_store_dword v0, off, s[0:3], s33 offset:548 ; 4-byte Folded Spill
	buffer_store_dword v40, off, s[0:3], s33 offset:564 ; 4-byte Folded Spill
	s_nop 0
	buffer_store_dword v41, off, s[0:3], s33 offset:568 ; 4-byte Folded Spill
	buffer_load_dword v45, off, s[0:3], s33 offset:508 ; 4-byte Folded Reload
	buffer_load_dword v46, off, s[0:3], s33 offset:512 ; 4-byte Folded Reload
	s_mov_b64 s[40:41], 0
	s_and_b32 s48, s62, 0xff
	v_mov_b32_e32 v28, v40
	v_mov_b32_e32 v29, v41
	s_branch .LBB6_13186
.LBB6_13184:                            ;   in Loop: Header=BB6_13186 Depth=3
	s_or_b64 exec, exec, s[30:31]
.LBB6_13185:                            ;   in Loop: Header=BB6_13186 Depth=3
	s_or_b64 exec, exec, s[28:29]
	v_lshl_or_b32 v0, v44, 8, v43
	v_lshl_or_b32 v1, v19, 8, v6
	v_lshlrev_b32_e32 v5, 16, v56
	v_lshlrev_b32_e32 v6, 24, v12
	;; [unrolled: 1-line block ×4, first 2 shown]
	v_or3_b32 v11, v0, v5, v6
	v_or3_b32 v10, v1, v10, v12
	v_lshl_or_b32 v0, v55, 8, v13
	v_lshlrev_b32_e32 v1, 16, v57
	v_lshlrev_b32_e32 v5, 24, v58
	v_or3_b32 v12, v0, v1, v5
	v_lshl_or_b32 v0, v20, 8, v50
	v_lshlrev_b32_e32 v1, 24, v14
	v_lshlrev_b32_e32 v5, 16, v21
	v_or3_b32 v13, v0, v5, v1
	buffer_load_dword v0, off, s[0:3], s33 offset:348 ; 4-byte Folded Reload
	buffer_load_dword v5, off, s[0:3], s33 offset:360 ; 4-byte Folded Reload
	;; [unrolled: 1-line block ×6, first 2 shown]
	v_lshlrev_b32_e32 v2, 24, v2
	v_lshlrev_b32_e32 v3, 16, v3
	s_waitcnt vmcnt(5)
	v_lshl_or_b32 v0, v0, 8, v49
	s_waitcnt vmcnt(4)
	v_lshlrev_b32_e32 v5, 16, v5
	s_waitcnt vmcnt(3)
	v_lshlrev_b32_e32 v6, 24, v6
	v_or3_b32 v49, v0, v5, v6
	buffer_load_dword v0, off, s[0:3], s33 offset:332 ; 4-byte Folded Reload
	s_waitcnt vmcnt(2)
	v_lshl_or_b32 v1, v1, 8, v48
	s_waitcnt vmcnt(1)
	v_lshlrev_b32_e32 v7, 16, v7
	v_lshlrev_b32_e32 v14, 24, v14
	v_or3_b32 v48, v1, v7, v14
	v_lshlrev_b32_e32 v1, 16, v51
	v_lshlrev_b32_e32 v5, 24, v52
	;; [unrolled: 1-line block ×4, first 2 shown]
	s_waitcnt vmcnt(0)
	v_lshl_or_b32 v0, v36, 8, v0
	v_or3_b32 v50, v0, v1, v5
	v_lshlrev_b32_e32 v0, 24, v18
	v_lshlrev_b32_e32 v1, 16, v40
	v_lshl_or_b32 v5, v53, 8, v25
	v_or3_b32 v51, v5, v1, v0
	buffer_load_dword v0, off, s[0:3], s33 offset:188 ; 4-byte Folded Reload
	buffer_load_dword v1, off, s[0:3], s33 offset:220 ; 4-byte Folded Reload
	buffer_load_dword v5, off, s[0:3], s33 offset:300 ; 4-byte Folded Reload
	s_waitcnt vmcnt(1)
	v_lshl_or_b32 v0, v1, 8, v0
	buffer_load_dword v1, off, s[0:3], s33 offset:252 ; 4-byte Folded Reload
	s_waitcnt vmcnt(1)
	v_lshlrev_b32_e32 v5, 24, v5
	s_waitcnt vmcnt(0)
	v_lshlrev_b32_e32 v1, 16, v1
	v_or3_b32 v17, v0, v1, v5
	buffer_load_dword v0, off, s[0:3], s33 offset:92 ; 4-byte Folded Reload
	buffer_load_dword v1, off, s[0:3], s33 offset:100 ; 4-byte Folded Reload
	buffer_load_dword v5, off, s[0:3], s33 offset:140 ; 4-byte Folded Reload
	s_waitcnt vmcnt(1)
	v_lshl_or_b32 v0, v1, 8, v0
	buffer_load_dword v1, off, s[0:3], s33 offset:116 ; 4-byte Folded Reload
	s_waitcnt vmcnt(1)
	v_lshlrev_b32_e32 v5, 24, v5
	s_waitcnt vmcnt(0)
	v_lshlrev_b32_e32 v1, 16, v1
	;; [unrolled: 11-line block ×3, first 2 shown]
	v_or3_b32 v18, v0, v1, v5
	buffer_load_dword v0, off, s[0:3], s33 offset:448 ; 4-byte Folded Reload
	buffer_load_dword v1, off, s[0:3], s33 offset:400 ; 4-byte Folded Reload
	;; [unrolled: 1-line block ×4, first 2 shown]
	s_waitcnt vmcnt(3)
	v_lshlrev_b32_e32 v0, 24, v0
	s_waitcnt vmcnt(2)
	v_lshlrev_b32_e32 v1, 16, v1
	s_waitcnt vmcnt(0)
	v_lshl_or_b32 v5, v6, 8, v5
	v_or3_b32 v19, v5, v1, v0
	buffer_load_dword v5, off, s[0:3], s33 offset:680 ; 4-byte Folded Reload
	v_lshlrev_b32_e32 v6, 16, v32
	s_waitcnt vmcnt(0)
	v_add_co_u32_e32 v0, vcc, v5, v45
	v_addc_co_u32_e32 v1, vcc, 0, v46, vcc
	v_add_co_u32_e32 v20, vcc, v5, v28
	v_lshl_or_b32 v5, v59, 8, v34
	v_or3_b32 v6, v5, v6, v7
	v_lshl_or_b32 v5, v37, 8, v15
	v_lshlrev_b32_e32 v7, 16, v54
	v_or3_b32 v5, v5, v7, v8
	v_lshl_or_b32 v7, v30, 8, v9
	v_lshlrev_b32_e32 v8, 16, v38
	v_lshlrev_b32_e32 v9, 24, v39
	v_or3_b32 v7, v7, v8, v9
	v_lshl_or_b32 v8, v22, 8, v24
	v_addc_co_u32_e32 v21, vcc, 0, v29, vcc
	v_or3_b32 v8, v8, v3, v2
	global_store_dwordx4 v[0:1], v[16:19], off glc slc
	global_store_dwordx4 v[0:1], v[48:51], off offset:1024 glc slc
	global_store_dwordx4 v[0:1], v[10:13], off offset:2048 glc slc
	;; [unrolled: 1-line block ×3, first 2 shown]
	global_store_dwordx4 v[20:21], v[16:19], off glc slc
	global_store_dwordx4 v[20:21], v[48:51], off offset:1024 glc slc
	global_store_dwordx4 v[20:21], v[10:13], off offset:2048 glc slc
	;; [unrolled: 1-line block ×3, first 2 shown]
	buffer_load_dword v1, off, s[0:3], s33 offset:408 ; 4-byte Folded Reload
	buffer_load_dword v0, off, s[0:3], s33 offset:284 ; 4-byte Folded Reload
	s_waitcnt vmcnt(1)
	v_add_co_u32_e32 v60, vcc, v60, v1
	v_addc_co_u32_e32 v61, vcc, 0, v61, vcc
	v_add_co_u32_e32 v26, vcc, v26, v1
	v_addc_co_u32_e32 v27, vcc, 0, v27, vcc
	v_add_co_u32_e32 v45, vcc, v45, v1
	s_waitcnt vmcnt(0)
	v_sub_u32_e32 v4, v4, v0
	v_addc_co_u32_e32 v46, vcc, 0, v46, vcc
	v_cmp_gt_i32_e32 vcc, 1, v4
	s_or_b64 s[40:41], vcc, s[40:41]
	v_add_co_u32_e32 v28, vcc, v28, v1
	v_addc_co_u32_e32 v29, vcc, 0, v29, vcc
	s_andn2_b64 exec, exec, s[40:41]
	s_cbranch_execz .LBB6_17289
.LBB6_13186:                            ;   Parent Loop BB6_47 Depth=1
                                        ;     Parent Loop BB6_13101 Depth=2
                                        ; =>    This Inner Loop Header: Depth=3
	s_cmpk_lt_i32 s48, 0x80
	s_cbranch_scc1 .LBB6_13190
; %bb.13187:                            ;   in Loop: Header=BB6_13186 Depth=3
	s_and_b32 s62, 0xffff, s48
	s_mov_b64 s[28:29], -1
	s_cmpk_eq_i32 s62, 0x80
	s_cbranch_scc0 .LBB6_13189
; %bb.13188:                            ;   in Loop: Header=BB6_13186 Depth=3
	s_mov_b64 s[28:29], 0
.LBB6_13189:                            ;   in Loop: Header=BB6_13186 Depth=3
	s_brev_b32 s62, 1
	s_branch .LBB6_13192
.LBB6_13190:                            ;   in Loop: Header=BB6_13186 Depth=3
	s_mov_b64 s[28:29], 0
	s_brev_b32 s62, 1
	s_cbranch_execz .LBB6_13192
; %bb.13191:                            ;   in Loop: Header=BB6_13186 Depth=3
	s_and_b32 s28, 0xffff, s48
	s_cmp_lg_u32 s28, 0
	s_mov_b32 s62, 0
	s_cselect_b64 s[28:29], -1, 0
.LBB6_13192:                            ;   in Loop: Header=BB6_13186 Depth=3
	s_andn2_b64 vcc, exec, s[28:29]
	v_mov_b32_e32 v12, s62
	s_cbranch_vccnz .LBB6_13194
; %bb.13193:                            ;   in Loop: Header=BB6_13186 Depth=3
	buffer_load_dword v12, off, s[0:3], s33 offset:548 ; 4-byte Folded Reload
.LBB6_13194:                            ;   in Loop: Header=BB6_13186 Depth=3
	global_load_dwordx4 v[8:11], v[60:61], off glc slc
	v_mov_b32_e32 v0, 0
	s_waitcnt vmcnt(0)
	v_cmp_ne_u16_sdwa s[62:63], v8, v33 src0_sel:BYTE_0 src1_sel:DWORD
	s_and_saveexec_b64 s[28:29], s[62:63]
	s_cbranch_execz .LBB6_13202
; %bb.13195:                            ;   in Loop: Header=BB6_13186 Depth=3
	v_cmp_ne_u16_sdwa s[62:63], sext(v8), s46 src0_sel:BYTE_0 src1_sel:DWORD
	v_bfrev_b32_e32 v0, 1
	s_and_saveexec_b64 s[30:31], s[62:63]
	s_cbranch_execz .LBB6_13201
; %bb.13196:                            ;   in Loop: Header=BB6_13186 Depth=3
	v_and_b32_e32 v0, 0x7c, v8
	v_and_b32_e32 v1, 3, v8
	v_cmp_ne_u32_e32 vcc, s86, v0
                                        ; implicit-def: $vgpr0
	s_and_saveexec_b64 s[62:63], vcc
	s_xor_b64 s[34:35], exec, s[62:63]
	s_cbranch_execz .LBB6_13198
; %bb.13197:                            ;   in Loop: Header=BB6_13186 Depth=3
	v_ffbh_u32_e32 v2, v1
	v_min_u32_e32 v5, 32, v2
	v_subrev_u32_e32 v2, 29, v5
	v_lshlrev_b64 v[2:3], v2, v[8:9]
	v_bfe_u32 v0, v8, 2, 5
	v_and_b32_e32 v2, 3, v2
	v_cmp_eq_u32_e32 vcc, 0, v0
	v_sub_u32_e32 v3, 30, v5
	v_cndmask_b32_e32 v1, v1, v2, vcc
	v_lshlrev_b32_e32 v2, 24, v8
	v_cndmask_b32_e32 v0, v0, v3, vcc
	v_and_b32_e32 v2, 0x80000000, v2
	v_lshl_add_u32 v0, v0, 23, v2
	v_lshl_or_b32 v0, v1, 21, v0
	v_add_u32_e32 v0, 0x38000000, v0
                                        ; implicit-def: $vgpr1
.LBB6_13198:                            ;   in Loop: Header=BB6_13186 Depth=3
	s_andn2_saveexec_b64 s[34:35], s[34:35]
; %bb.13199:                            ;   in Loop: Header=BB6_13186 Depth=3
	v_mov_b32_e32 v0, -1
	v_cmp_gt_i16_sdwa vcc, sext(v8), v0 src0_sel:BYTE_0 src1_sel:DWORD
	v_mov_b32_e32 v0, 0xff800000
	v_mov_b32_e32 v2, 0x7f800000
	v_cndmask_b32_e32 v0, v0, v2, vcc
	v_cmp_eq_u32_e32 vcc, 0, v1
	v_mov_b32_e32 v1, 0x7f800001
	v_cndmask_b32_e32 v0, v1, v0, vcc
; %bb.13200:                            ;   in Loop: Header=BB6_13186 Depth=3
	s_or_b64 exec, exec, s[34:35]
.LBB6_13201:                            ;   in Loop: Header=BB6_13186 Depth=3
	s_or_b64 exec, exec, s[30:31]
.LBB6_13202:                            ;   in Loop: Header=BB6_13186 Depth=3
	s_or_b64 exec, exec, s[28:29]
	v_mul_f32_e32 v2, v12, v0
	v_and_b32_e32 v5, 0x7f800000, v2
	v_mov_b32_e32 v6, v33
	v_cmp_ne_u64_e32 vcc, s[76:77], v[5:6]
	v_and_b32_e32 v0, 0x7fffff, v2
	v_mov_b32_e32 v1, v33
                                        ; implicit-def: $vgpr39
	s_and_saveexec_b64 s[28:29], vcc
	s_xor_b64 s[30:31], exec, s[28:29]
	s_cbranch_execz .LBB6_13216
; %bb.13203:                            ;   in Loop: Header=BB6_13186 Depth=3
	v_and_b32_e32 v5, 0x7fffffff, v2
	v_mov_b32_e32 v6, v33
	v_cmp_gt_u64_e32 vcc, s[78:79], v[5:6]
	v_and_b32_sdwa v3, v2, s97 dst_sel:DWORD dst_unused:UNUSED_PAD src0_sel:BYTE_3 src1_sel:DWORD
                                        ; implicit-def: $vgpr39
	s_and_saveexec_b64 s[28:29], vcc
	s_xor_b64 s[34:35], exec, s[28:29]
	s_cbranch_execz .LBB6_13213
; %bb.13204:                            ;   in Loop: Header=BB6_13186 Depth=3
	v_mov_b32_e32 v39, 0
	v_cmp_ne_u32_e32 vcc, 0, v2
	s_and_saveexec_b64 s[36:37], vcc
	s_cbranch_execz .LBB6_13212
; %bb.13205:                            ;   in Loop: Header=BB6_13186 Depth=3
	v_bfe_u32 v5, v2, 23, 8
	v_cmp_gt_u32_e64 s[28:29], s47, v5
	v_sub_u32_e32 v2, 0x71, v5
	v_cmp_eq_u32_e32 vcc, 0, v5
	v_cndmask_b32_e64 v2, 0, v2, s[28:29]
	v_mov_b32_e32 v6, 0x70
	v_cndmask_b32_e32 v6, v2, v6, vcc
	v_add_u32_e32 v2, 21, v6
	v_or_b32_e32 v7, 0x800000, v0
	v_lshlrev_b64 v[13:14], v2, -1
	v_cndmask_b32_e32 v0, v7, v0, vcc
	v_add_u32_e32 v2, 20, v6
	v_bfi_b32 v13, v13, 0, v0
	v_lshlrev_b64 v[15:16], v2, 1
	v_lshrrev_b64 v[0:1], v6, v[0:1]
	v_bfi_b32 v14, v14, 0, 0
	v_cmp_eq_u64_e64 s[28:29], v[13:14], v[15:16]
	v_mov_b32_e32 v2, v1
	v_mov_b32_e32 v1, v0
	s_and_saveexec_b64 s[38:39], s[28:29]
; %bb.13206:                            ;   in Loop: Header=BB6_13186 Depth=3
	v_bfe_u32 v1, v0, 21, 1
	v_add_co_u32_e64 v1, s[28:29], v0, v1
	v_add_co_u32_e64 v1, s[28:29], -1, v1
; %bb.13207:                            ;   in Loop: Header=BB6_13186 Depth=3
	s_or_b64 exec, exec, s[38:39]
	v_add_u32_e32 v2, 0xffffff81, v5
	v_mov_b32_e32 v5, 0xffffff82
	v_cndmask_b32_e32 v2, v2, v5, vcc
	v_lshrrev_b32_e32 v5, 23, v0
	v_add3_u32 v6, v6, v2, v5
	v_add_u32_e32 v5, 14, v6
	v_and_b32_e32 v1, 0x1fffff, v1
	v_add_u32_e32 v0, v1, v0
	v_mov_b32_e32 v1, v33
	v_cmp_ne_u32_e32 vcc, 0, v5
                                        ; implicit-def: $vgpr2
	s_and_saveexec_b64 s[28:29], vcc
	s_xor_b64 s[28:29], exec, s[28:29]
; %bb.13208:                            ;   in Loop: Header=BB6_13186 Depth=3
	v_cmp_lt_u64_e32 vcc, s[88:89], v[0:1]
	v_add_u32_e32 v2, 15, v6
	v_cndmask_b32_e32 v2, v5, v2, vcc
	v_cndmask_b32_e64 v5, 0, 1, vcc
	v_lshrrev_b64 v[0:1], v5, v[0:1]
; %bb.13209:                            ;   in Loop: Header=BB6_13186 Depth=3
	s_andn2_saveexec_b64 s[28:29], s[28:29]
; %bb.13210:                            ;   in Loop: Header=BB6_13186 Depth=3
	v_bfe_u32 v2, v0, 23, 1
; %bb.13211:                            ;   in Loop: Header=BB6_13186 Depth=3
	s_or_b64 exec, exec, s[28:29]
	v_lshrrev_b64 v[0:1], 21, v[0:1]
	v_cmp_gt_i32_e32 vcc, 32, v2
	v_cndmask_b32_e32 v1, 0, v1, vcc
	v_cndmask_b32_e32 v0, 3, v0, vcc
	v_cmp_eq_u64_e64 s[28:29], 0, v[0:1]
	v_min_i32_e32 v1, 31, v2
	v_lshlrev_b32_e32 v1, 2, v1
	v_cmp_eq_u32_e32 vcc, 0, v2
	v_and_b32_e32 v1, 0xfc, v1
	v_and_or_b32 v0, v0, 3, v1
	s_and_b64 s[28:29], vcc, s[28:29]
	v_cndmask_b32_e64 v0, v0, 0, s[28:29]
	v_or_b32_e32 v39, v0, v3
.LBB6_13212:                            ;   in Loop: Header=BB6_13186 Depth=3
	s_or_b64 exec, exec, s[36:37]
                                        ; implicit-def: $vgpr3
.LBB6_13213:                            ;   in Loop: Header=BB6_13186 Depth=3
	s_andn2_saveexec_b64 s[28:29], s[34:35]
; %bb.13214:                            ;   in Loop: Header=BB6_13186 Depth=3
	v_or_b32_e32 v39, 0x7b, v3
; %bb.13215:                            ;   in Loop: Header=BB6_13186 Depth=3
	s_or_b64 exec, exec, s[28:29]
                                        ; implicit-def: $vgpr2
                                        ; implicit-def: $vgpr0_vgpr1
.LBB6_13216:                            ;   in Loop: Header=BB6_13186 Depth=3
	s_andn2_saveexec_b64 s[28:29], s[30:31]
	s_cbranch_execz .LBB6_13222
; %bb.13217:                            ;   in Loop: Header=BB6_13186 Depth=3
	v_cmp_ne_u64_e32 vcc, 0, v[0:1]
                                        ; implicit-def: $vgpr39
	s_and_saveexec_b64 s[62:63], vcc
	s_xor_b64 vcc, exec, s[62:63]
; %bb.13218:                            ;   in Loop: Header=BB6_13186 Depth=3
	v_or_b32_sdwa v39, v2, s44 dst_sel:DWORD dst_unused:UNUSED_PAD src0_sel:BYTE_3 src1_sel:DWORD
                                        ; implicit-def: $vgpr2
; %bb.13219:                            ;   in Loop: Header=BB6_13186 Depth=3
	s_andn2_saveexec_b64 s[30:31], vcc
; %bb.13220:                            ;   in Loop: Header=BB6_13186 Depth=3
	v_cmp_lt_i32_e32 vcc, -1, v2
	v_bfrev_b32_e32 v0, 0.5
	v_mov_b32_e32 v1, 0x7c
	v_cndmask_b32_e32 v39, v0, v1, vcc
; %bb.13221:                            ;   in Loop: Header=BB6_13186 Depth=3
	s_or_b64 exec, exec, s[30:31]
.LBB6_13222:                            ;   in Loop: Header=BB6_13186 Depth=3
	s_or_b64 exec, exec, s[28:29]
	v_lshrrev_b16_e32 v0, 8, v8
	v_cmp_ne_u16_e32 vcc, 0, v0
	v_mov_b32_e32 v1, 0
	s_and_saveexec_b64 s[28:29], vcc
	s_cbranch_execz .LBB6_13230
; %bb.13223:                            ;   in Loop: Header=BB6_13186 Depth=3
	v_cmp_ne_u16_e32 vcc, s97, v0
	v_bfrev_b32_e32 v1, 1
	s_and_saveexec_b64 s[30:31], vcc
	s_cbranch_execz .LBB6_13229
; %bb.13224:                            ;   in Loop: Header=BB6_13186 Depth=3
	v_and_b32_e32 v1, 0x7c, v0
	v_and_b32_e32 v2, 3, v0
	v_cmp_ne_u32_e32 vcc, s86, v1
                                        ; implicit-def: $vgpr1
	s_and_saveexec_b64 s[62:63], vcc
	s_xor_b64 s[34:35], exec, s[62:63]
	s_cbranch_execz .LBB6_13226
; %bb.13225:                            ;   in Loop: Header=BB6_13186 Depth=3
	v_ffbh_u32_e32 v5, v2
	v_min_u32_e32 v5, 32, v5
	v_mov_b32_e32 v1, v33
	v_subrev_u32_e32 v6, 29, v5
	v_bfe_u32 v3, v0, 2, 5
	v_lshlrev_b64 v[0:1], v6, v[0:1]
	v_cmp_eq_u32_e32 vcc, 0, v3
	v_and_b32_e32 v0, 3, v0
	v_sub_u32_e32 v1, 30, v5
	v_cndmask_b32_e32 v0, v2, v0, vcc
	v_lshlrev_b32_e32 v2, 16, v8
	v_cndmask_b32_e32 v1, v3, v1, vcc
	v_and_b32_e32 v2, 0x80000000, v2
	v_lshl_add_u32 v1, v1, 23, v2
	v_lshl_or_b32 v0, v0, 21, v1
	v_add_u32_e32 v1, 0x38000000, v0
                                        ; implicit-def: $vgpr2
.LBB6_13226:                            ;   in Loop: Header=BB6_13186 Depth=3
	s_andn2_saveexec_b64 s[34:35], s[34:35]
; %bb.13227:                            ;   in Loop: Header=BB6_13186 Depth=3
	v_cmp_lt_i16_e32 vcc, -1, v8
	v_mov_b32_e32 v0, 0xff800000
	v_mov_b32_e32 v1, 0x7f800000
	v_cndmask_b32_e32 v0, v0, v1, vcc
	v_cmp_eq_u32_e32 vcc, 0, v2
	v_mov_b32_e32 v1, 0x7f800001
	v_cndmask_b32_e32 v1, v1, v0, vcc
; %bb.13228:                            ;   in Loop: Header=BB6_13186 Depth=3
	s_or_b64 exec, exec, s[34:35]
.LBB6_13229:                            ;   in Loop: Header=BB6_13186 Depth=3
	s_or_b64 exec, exec, s[30:31]
.LBB6_13230:                            ;   in Loop: Header=BB6_13186 Depth=3
	s_or_b64 exec, exec, s[28:29]
	v_mul_f32_e32 v2, v12, v1
	v_and_b32_e32 v5, 0x7f800000, v2
	v_mov_b32_e32 v6, v33
	v_cmp_ne_u64_e32 vcc, s[76:77], v[5:6]
	v_and_b32_e32 v0, 0x7fffff, v2
	v_mov_b32_e32 v1, v33
                                        ; implicit-def: $vgpr42
	s_and_saveexec_b64 s[28:29], vcc
	s_xor_b64 s[30:31], exec, s[28:29]
	s_cbranch_execz .LBB6_13244
; %bb.13231:                            ;   in Loop: Header=BB6_13186 Depth=3
	v_and_b32_e32 v5, 0x7fffffff, v2
	v_mov_b32_e32 v6, v33
	v_cmp_gt_u64_e32 vcc, s[78:79], v[5:6]
	v_and_b32_sdwa v3, v2, s97 dst_sel:DWORD dst_unused:UNUSED_PAD src0_sel:BYTE_3 src1_sel:DWORD
                                        ; implicit-def: $vgpr42
	s_and_saveexec_b64 s[28:29], vcc
	s_xor_b64 s[34:35], exec, s[28:29]
	s_cbranch_execz .LBB6_13241
; %bb.13232:                            ;   in Loop: Header=BB6_13186 Depth=3
	v_mov_b32_e32 v42, 0
	v_cmp_ne_u32_e32 vcc, 0, v2
	s_and_saveexec_b64 s[36:37], vcc
	s_cbranch_execz .LBB6_13240
; %bb.13233:                            ;   in Loop: Header=BB6_13186 Depth=3
	v_bfe_u32 v5, v2, 23, 8
	v_cmp_gt_u32_e64 s[28:29], s47, v5
	v_sub_u32_e32 v2, 0x71, v5
	v_cmp_eq_u32_e32 vcc, 0, v5
	v_cndmask_b32_e64 v2, 0, v2, s[28:29]
	v_mov_b32_e32 v6, 0x70
	v_cndmask_b32_e32 v6, v2, v6, vcc
	v_add_u32_e32 v2, 21, v6
	v_or_b32_e32 v7, 0x800000, v0
	v_lshlrev_b64 v[13:14], v2, -1
	v_cndmask_b32_e32 v0, v7, v0, vcc
	v_add_u32_e32 v2, 20, v6
	v_bfi_b32 v13, v13, 0, v0
	v_lshlrev_b64 v[15:16], v2, 1
	v_lshrrev_b64 v[0:1], v6, v[0:1]
	v_bfi_b32 v14, v14, 0, 0
	v_cmp_eq_u64_e64 s[28:29], v[13:14], v[15:16]
	v_mov_b32_e32 v2, v1
	v_mov_b32_e32 v1, v0
	s_and_saveexec_b64 s[38:39], s[28:29]
; %bb.13234:                            ;   in Loop: Header=BB6_13186 Depth=3
	v_bfe_u32 v1, v0, 21, 1
	v_add_co_u32_e64 v1, s[28:29], v0, v1
	v_add_co_u32_e64 v1, s[28:29], -1, v1
; %bb.13235:                            ;   in Loop: Header=BB6_13186 Depth=3
	s_or_b64 exec, exec, s[38:39]
	v_add_u32_e32 v2, 0xffffff81, v5
	v_mov_b32_e32 v5, 0xffffff82
	v_cndmask_b32_e32 v2, v2, v5, vcc
	v_lshrrev_b32_e32 v5, 23, v0
	v_add3_u32 v6, v6, v2, v5
	v_add_u32_e32 v5, 14, v6
	v_and_b32_e32 v1, 0x1fffff, v1
	v_add_u32_e32 v0, v1, v0
	v_mov_b32_e32 v1, v33
	v_cmp_ne_u32_e32 vcc, 0, v5
                                        ; implicit-def: $vgpr2
	s_and_saveexec_b64 s[28:29], vcc
	s_xor_b64 s[28:29], exec, s[28:29]
; %bb.13236:                            ;   in Loop: Header=BB6_13186 Depth=3
	v_cmp_lt_u64_e32 vcc, s[88:89], v[0:1]
	v_add_u32_e32 v2, 15, v6
	v_cndmask_b32_e32 v2, v5, v2, vcc
	v_cndmask_b32_e64 v5, 0, 1, vcc
	v_lshrrev_b64 v[0:1], v5, v[0:1]
; %bb.13237:                            ;   in Loop: Header=BB6_13186 Depth=3
	s_andn2_saveexec_b64 s[28:29], s[28:29]
; %bb.13238:                            ;   in Loop: Header=BB6_13186 Depth=3
	v_bfe_u32 v2, v0, 23, 1
; %bb.13239:                            ;   in Loop: Header=BB6_13186 Depth=3
	s_or_b64 exec, exec, s[28:29]
	v_lshrrev_b64 v[0:1], 21, v[0:1]
	v_cmp_gt_i32_e32 vcc, 32, v2
	v_cndmask_b32_e32 v1, 0, v1, vcc
	v_cndmask_b32_e32 v0, 3, v0, vcc
	v_cmp_eq_u64_e64 s[28:29], 0, v[0:1]
	v_min_i32_e32 v1, 31, v2
	v_lshlrev_b32_e32 v1, 2, v1
	v_cmp_eq_u32_e32 vcc, 0, v2
	v_and_b32_e32 v1, 0xfc, v1
	v_and_or_b32 v0, v0, 3, v1
	s_and_b64 s[28:29], vcc, s[28:29]
	v_cndmask_b32_e64 v0, v0, 0, s[28:29]
	v_or_b32_e32 v42, v0, v3
.LBB6_13240:                            ;   in Loop: Header=BB6_13186 Depth=3
	s_or_b64 exec, exec, s[36:37]
                                        ; implicit-def: $vgpr3
.LBB6_13241:                            ;   in Loop: Header=BB6_13186 Depth=3
	s_andn2_saveexec_b64 s[28:29], s[34:35]
; %bb.13242:                            ;   in Loop: Header=BB6_13186 Depth=3
	v_or_b32_e32 v42, 0x7b, v3
; %bb.13243:                            ;   in Loop: Header=BB6_13186 Depth=3
	s_or_b64 exec, exec, s[28:29]
                                        ; implicit-def: $vgpr2
                                        ; implicit-def: $vgpr0_vgpr1
.LBB6_13244:                            ;   in Loop: Header=BB6_13186 Depth=3
	s_andn2_saveexec_b64 s[28:29], s[30:31]
	s_cbranch_execz .LBB6_13250
; %bb.13245:                            ;   in Loop: Header=BB6_13186 Depth=3
	v_cmp_ne_u64_e32 vcc, 0, v[0:1]
                                        ; implicit-def: $vgpr42
	s_and_saveexec_b64 s[62:63], vcc
	s_xor_b64 vcc, exec, s[62:63]
; %bb.13246:                            ;   in Loop: Header=BB6_13186 Depth=3
	v_or_b32_sdwa v42, v2, s44 dst_sel:DWORD dst_unused:UNUSED_PAD src0_sel:BYTE_3 src1_sel:DWORD
                                        ; implicit-def: $vgpr2
; %bb.13247:                            ;   in Loop: Header=BB6_13186 Depth=3
	s_andn2_saveexec_b64 s[30:31], vcc
; %bb.13248:                            ;   in Loop: Header=BB6_13186 Depth=3
	v_cmp_lt_i32_e32 vcc, -1, v2
	v_bfrev_b32_e32 v0, 0.5
	v_mov_b32_e32 v1, 0x7c
	v_cndmask_b32_e32 v42, v0, v1, vcc
; %bb.13249:                            ;   in Loop: Header=BB6_13186 Depth=3
	s_or_b64 exec, exec, s[30:31]
.LBB6_13250:                            ;   in Loop: Header=BB6_13186 Depth=3
	s_or_b64 exec, exec, s[28:29]
	v_lshrrev_b32_e32 v0, 16, v8
	v_cmp_ne_u16_sdwa s[62:63], v0, v33 src0_sel:BYTE_0 src1_sel:DWORD
	v_mov_b32_e32 v1, 0
	s_and_saveexec_b64 s[28:29], s[62:63]
	s_cbranch_execz .LBB6_13258
; %bb.13251:                            ;   in Loop: Header=BB6_13186 Depth=3
	v_cmp_ne_u16_sdwa s[62:63], v0, s97 src0_sel:BYTE_0 src1_sel:DWORD
	v_bfrev_b32_e32 v1, 1
	s_and_saveexec_b64 s[30:31], s[62:63]
	s_cbranch_execz .LBB6_13257
; %bb.13252:                            ;   in Loop: Header=BB6_13186 Depth=3
	v_and_b32_e32 v1, 0x7c0000, v8
	v_bfe_u32 v2, v8, 16, 2
	v_cmp_ne_u32_e32 vcc, s45, v1
                                        ; implicit-def: $vgpr1
	s_and_saveexec_b64 s[62:63], vcc
	s_xor_b64 s[34:35], exec, s[62:63]
	s_cbranch_execz .LBB6_13254
; %bb.13253:                            ;   in Loop: Header=BB6_13186 Depth=3
	v_ffbh_u32_e32 v1, v2
	v_min_u32_e32 v5, 32, v1
	v_subrev_u32_e32 v1, 29, v5
	v_lshlrev_b64 v[0:1], v1, v[0:1]
	v_bfe_u32 v3, v8, 18, 5
	v_and_b32_e32 v0, 3, v0
	v_cmp_eq_u32_e32 vcc, 0, v3
	v_sub_u32_e32 v1, 30, v5
	v_cndmask_b32_e32 v0, v2, v0, vcc
	v_lshlrev_b32_e32 v2, 8, v8
	v_cndmask_b32_e32 v1, v3, v1, vcc
	v_and_b32_e32 v2, 0x80000000, v2
	v_lshl_add_u32 v1, v1, 23, v2
	v_lshl_or_b32 v0, v0, 21, v1
	v_add_u32_e32 v1, 0x38000000, v0
                                        ; implicit-def: $vgpr2
                                        ; implicit-def: $vgpr0
.LBB6_13254:                            ;   in Loop: Header=BB6_13186 Depth=3
	s_andn2_saveexec_b64 s[34:35], s[34:35]
; %bb.13255:                            ;   in Loop: Header=BB6_13186 Depth=3
	v_mov_b32_e32 v1, -1
	v_cmp_gt_i16_sdwa vcc, sext(v0), v1 src0_sel:BYTE_0 src1_sel:DWORD
	v_mov_b32_e32 v0, 0xff800000
	v_mov_b32_e32 v1, 0x7f800000
	v_cndmask_b32_e32 v0, v0, v1, vcc
	v_cmp_eq_u32_e32 vcc, 0, v2
	v_mov_b32_e32 v1, 0x7f800001
	v_cndmask_b32_e32 v1, v1, v0, vcc
; %bb.13256:                            ;   in Loop: Header=BB6_13186 Depth=3
	s_or_b64 exec, exec, s[34:35]
.LBB6_13257:                            ;   in Loop: Header=BB6_13186 Depth=3
	s_or_b64 exec, exec, s[30:31]
.LBB6_13258:                            ;   in Loop: Header=BB6_13186 Depth=3
	s_or_b64 exec, exec, s[28:29]
	v_mul_f32_e32 v2, v12, v1
	v_and_b32_e32 v5, 0x7f800000, v2
	v_mov_b32_e32 v6, v33
	v_cmp_ne_u64_e32 vcc, s[76:77], v[5:6]
	v_and_b32_e32 v0, 0x7fffff, v2
	v_mov_b32_e32 v1, v33
                                        ; implicit-def: $vgpr57
	s_and_saveexec_b64 s[28:29], vcc
	s_xor_b64 s[30:31], exec, s[28:29]
	s_cbranch_execz .LBB6_13272
; %bb.13259:                            ;   in Loop: Header=BB6_13186 Depth=3
	v_and_b32_e32 v5, 0x7fffffff, v2
	v_mov_b32_e32 v6, v33
	v_cmp_gt_u64_e32 vcc, s[78:79], v[5:6]
	v_and_b32_sdwa v3, v2, s97 dst_sel:DWORD dst_unused:UNUSED_PAD src0_sel:BYTE_3 src1_sel:DWORD
                                        ; implicit-def: $vgpr57
	s_and_saveexec_b64 s[28:29], vcc
	s_xor_b64 s[34:35], exec, s[28:29]
	s_cbranch_execz .LBB6_13269
; %bb.13260:                            ;   in Loop: Header=BB6_13186 Depth=3
	v_mov_b32_e32 v57, 0
	v_cmp_ne_u32_e32 vcc, 0, v2
	s_and_saveexec_b64 s[36:37], vcc
	s_cbranch_execz .LBB6_13268
; %bb.13261:                            ;   in Loop: Header=BB6_13186 Depth=3
	v_bfe_u32 v5, v2, 23, 8
	v_cmp_gt_u32_e64 s[28:29], s47, v5
	v_sub_u32_e32 v2, 0x71, v5
	v_cmp_eq_u32_e32 vcc, 0, v5
	v_cndmask_b32_e64 v2, 0, v2, s[28:29]
	v_mov_b32_e32 v6, 0x70
	v_cndmask_b32_e32 v6, v2, v6, vcc
	v_add_u32_e32 v2, 21, v6
	v_or_b32_e32 v7, 0x800000, v0
	v_lshlrev_b64 v[13:14], v2, -1
	v_cndmask_b32_e32 v0, v7, v0, vcc
	v_add_u32_e32 v2, 20, v6
	v_bfi_b32 v13, v13, 0, v0
	v_lshlrev_b64 v[15:16], v2, 1
	v_lshrrev_b64 v[0:1], v6, v[0:1]
	v_bfi_b32 v14, v14, 0, 0
	v_cmp_eq_u64_e64 s[28:29], v[13:14], v[15:16]
	v_mov_b32_e32 v2, v1
	v_mov_b32_e32 v1, v0
	s_and_saveexec_b64 s[38:39], s[28:29]
; %bb.13262:                            ;   in Loop: Header=BB6_13186 Depth=3
	v_bfe_u32 v1, v0, 21, 1
	v_add_co_u32_e64 v1, s[28:29], v0, v1
	v_add_co_u32_e64 v1, s[28:29], -1, v1
; %bb.13263:                            ;   in Loop: Header=BB6_13186 Depth=3
	s_or_b64 exec, exec, s[38:39]
	v_add_u32_e32 v2, 0xffffff81, v5
	v_mov_b32_e32 v5, 0xffffff82
	v_cndmask_b32_e32 v2, v2, v5, vcc
	v_lshrrev_b32_e32 v5, 23, v0
	v_add3_u32 v6, v6, v2, v5
	v_add_u32_e32 v5, 14, v6
	v_and_b32_e32 v1, 0x1fffff, v1
	v_add_u32_e32 v0, v1, v0
	v_mov_b32_e32 v1, v33
	v_cmp_ne_u32_e32 vcc, 0, v5
                                        ; implicit-def: $vgpr2
	s_and_saveexec_b64 s[28:29], vcc
	s_xor_b64 s[28:29], exec, s[28:29]
; %bb.13264:                            ;   in Loop: Header=BB6_13186 Depth=3
	v_cmp_lt_u64_e32 vcc, s[88:89], v[0:1]
	v_add_u32_e32 v2, 15, v6
	v_cndmask_b32_e32 v2, v5, v2, vcc
	v_cndmask_b32_e64 v5, 0, 1, vcc
	v_lshrrev_b64 v[0:1], v5, v[0:1]
; %bb.13265:                            ;   in Loop: Header=BB6_13186 Depth=3
	s_andn2_saveexec_b64 s[28:29], s[28:29]
; %bb.13266:                            ;   in Loop: Header=BB6_13186 Depth=3
	v_bfe_u32 v2, v0, 23, 1
; %bb.13267:                            ;   in Loop: Header=BB6_13186 Depth=3
	s_or_b64 exec, exec, s[28:29]
	v_lshrrev_b64 v[0:1], 21, v[0:1]
	v_cmp_gt_i32_e32 vcc, 32, v2
	v_cndmask_b32_e32 v1, 0, v1, vcc
	v_cndmask_b32_e32 v0, 3, v0, vcc
	v_cmp_eq_u64_e64 s[28:29], 0, v[0:1]
	v_min_i32_e32 v1, 31, v2
	v_lshlrev_b32_e32 v1, 2, v1
	v_cmp_eq_u32_e32 vcc, 0, v2
	v_and_b32_e32 v1, 0xfc, v1
	v_and_or_b32 v0, v0, 3, v1
	s_and_b64 s[28:29], vcc, s[28:29]
	v_cndmask_b32_e64 v0, v0, 0, s[28:29]
	v_or_b32_e32 v57, v0, v3
.LBB6_13268:                            ;   in Loop: Header=BB6_13186 Depth=3
	s_or_b64 exec, exec, s[36:37]
                                        ; implicit-def: $vgpr3
.LBB6_13269:                            ;   in Loop: Header=BB6_13186 Depth=3
	s_andn2_saveexec_b64 s[28:29], s[34:35]
; %bb.13270:                            ;   in Loop: Header=BB6_13186 Depth=3
	v_or_b32_e32 v57, 0x7b, v3
; %bb.13271:                            ;   in Loop: Header=BB6_13186 Depth=3
	s_or_b64 exec, exec, s[28:29]
                                        ; implicit-def: $vgpr2
                                        ; implicit-def: $vgpr0_vgpr1
.LBB6_13272:                            ;   in Loop: Header=BB6_13186 Depth=3
	s_andn2_saveexec_b64 s[28:29], s[30:31]
	s_cbranch_execz .LBB6_13278
; %bb.13273:                            ;   in Loop: Header=BB6_13186 Depth=3
	v_cmp_ne_u64_e32 vcc, 0, v[0:1]
                                        ; implicit-def: $vgpr57
	s_and_saveexec_b64 s[62:63], vcc
	s_xor_b64 vcc, exec, s[62:63]
; %bb.13274:                            ;   in Loop: Header=BB6_13186 Depth=3
	v_or_b32_sdwa v57, v2, s44 dst_sel:DWORD dst_unused:UNUSED_PAD src0_sel:BYTE_3 src1_sel:DWORD
                                        ; implicit-def: $vgpr2
; %bb.13275:                            ;   in Loop: Header=BB6_13186 Depth=3
	s_andn2_saveexec_b64 s[30:31], vcc
; %bb.13276:                            ;   in Loop: Header=BB6_13186 Depth=3
	v_cmp_lt_i32_e32 vcc, -1, v2
	v_bfrev_b32_e32 v0, 0.5
	v_mov_b32_e32 v1, 0x7c
	v_cndmask_b32_e32 v57, v0, v1, vcc
; %bb.13277:                            ;   in Loop: Header=BB6_13186 Depth=3
	s_or_b64 exec, exec, s[30:31]
.LBB6_13278:                            ;   in Loop: Header=BB6_13186 Depth=3
	s_or_b64 exec, exec, s[28:29]
	v_cmp_lt_u32_e32 vcc, s57, v8
	v_mov_b32_e32 v1, 0
	s_and_saveexec_b64 s[28:29], vcc
	s_cbranch_execz .LBB6_13286
; %bb.13279:                            ;   in Loop: Header=BB6_13186 Depth=3
	v_lshrrev_b32_e32 v0, 24, v8
	v_cmp_ne_u32_e32 vcc, s97, v0
	v_bfrev_b32_e32 v1, 1
	s_and_saveexec_b64 s[30:31], vcc
	s_cbranch_execz .LBB6_13285
; %bb.13280:                            ;   in Loop: Header=BB6_13186 Depth=3
	v_and_b32_e32 v1, 0x7c000000, v8
	v_bfe_u32 v2, v8, 24, 2
	v_cmp_ne_u32_e32 vcc, s68, v1
                                        ; implicit-def: $vgpr1
	s_and_saveexec_b64 s[62:63], vcc
	s_xor_b64 s[34:35], exec, s[62:63]
	s_cbranch_execz .LBB6_13282
; %bb.13281:                            ;   in Loop: Header=BB6_13186 Depth=3
	v_ffbh_u32_e32 v1, v2
	v_min_u32_e32 v5, 32, v1
	v_subrev_u32_e32 v1, 29, v5
	v_lshlrev_b64 v[0:1], v1, v[0:1]
	v_bfe_u32 v3, v8, 26, 5
	v_sub_u32_e32 v1, 30, v5
	v_and_b32_e32 v0, 3, v0
	v_cmp_eq_u32_e32 vcc, 0, v3
	v_cndmask_b32_e32 v1, v3, v1, vcc
	v_cndmask_b32_e32 v0, v2, v0, vcc
	v_and_b32_e32 v2, 0x80000000, v8
	v_lshl_add_u32 v1, v1, 23, v2
	v_lshl_or_b32 v0, v0, 21, v1
	v_add_u32_e32 v1, 0x38000000, v0
                                        ; implicit-def: $vgpr2
.LBB6_13282:                            ;   in Loop: Header=BB6_13186 Depth=3
	s_andn2_saveexec_b64 s[34:35], s[34:35]
; %bb.13283:                            ;   in Loop: Header=BB6_13186 Depth=3
	v_cmp_lt_i32_e32 vcc, -1, v8
	v_mov_b32_e32 v0, 0xff800000
	v_mov_b32_e32 v1, 0x7f800000
	v_cndmask_b32_e32 v0, v0, v1, vcc
	v_cmp_eq_u32_e32 vcc, 0, v2
	v_mov_b32_e32 v1, 0x7f800001
	v_cndmask_b32_e32 v1, v1, v0, vcc
; %bb.13284:                            ;   in Loop: Header=BB6_13186 Depth=3
	s_or_b64 exec, exec, s[34:35]
.LBB6_13285:                            ;   in Loop: Header=BB6_13186 Depth=3
	s_or_b64 exec, exec, s[30:31]
.LBB6_13286:                            ;   in Loop: Header=BB6_13186 Depth=3
	s_or_b64 exec, exec, s[28:29]
	v_mul_f32_e32 v2, v12, v1
	v_and_b32_e32 v5, 0x7f800000, v2
	v_mov_b32_e32 v6, v33
	v_cmp_ne_u64_e32 vcc, s[76:77], v[5:6]
	v_and_b32_e32 v0, 0x7fffff, v2
	v_mov_b32_e32 v1, v33
                                        ; implicit-def: $vgpr5
	s_and_saveexec_b64 s[28:29], vcc
	s_xor_b64 s[30:31], exec, s[28:29]
	s_cbranch_execz .LBB6_13300
; %bb.13287:                            ;   in Loop: Header=BB6_13186 Depth=3
	v_and_b32_e32 v5, 0x7fffffff, v2
	v_mov_b32_e32 v6, v33
	v_cmp_gt_u64_e32 vcc, s[78:79], v[5:6]
	v_and_b32_sdwa v3, v2, s97 dst_sel:DWORD dst_unused:UNUSED_PAD src0_sel:BYTE_3 src1_sel:DWORD
                                        ; implicit-def: $vgpr5
	s_and_saveexec_b64 s[28:29], vcc
	s_xor_b64 s[34:35], exec, s[28:29]
	s_cbranch_execz .LBB6_13297
; %bb.13288:                            ;   in Loop: Header=BB6_13186 Depth=3
	v_mov_b32_e32 v5, 0
	v_cmp_ne_u32_e32 vcc, 0, v2
	s_and_saveexec_b64 s[36:37], vcc
	s_cbranch_execz .LBB6_13296
; %bb.13289:                            ;   in Loop: Header=BB6_13186 Depth=3
	v_bfe_u32 v5, v2, 23, 8
	v_cmp_gt_u32_e64 s[28:29], s47, v5
	v_sub_u32_e32 v2, 0x71, v5
	v_cmp_eq_u32_e32 vcc, 0, v5
	v_cndmask_b32_e64 v2, 0, v2, s[28:29]
	v_mov_b32_e32 v6, 0x70
	v_cndmask_b32_e32 v6, v2, v6, vcc
	v_add_u32_e32 v2, 21, v6
	v_or_b32_e32 v7, 0x800000, v0
	v_lshlrev_b64 v[13:14], v2, -1
	v_cndmask_b32_e32 v0, v7, v0, vcc
	v_add_u32_e32 v2, 20, v6
	v_bfi_b32 v13, v13, 0, v0
	v_lshlrev_b64 v[15:16], v2, 1
	v_lshrrev_b64 v[0:1], v6, v[0:1]
	v_bfi_b32 v14, v14, 0, 0
	v_cmp_eq_u64_e64 s[28:29], v[13:14], v[15:16]
	v_mov_b32_e32 v2, v1
	v_mov_b32_e32 v1, v0
	s_and_saveexec_b64 s[38:39], s[28:29]
; %bb.13290:                            ;   in Loop: Header=BB6_13186 Depth=3
	v_bfe_u32 v1, v0, 21, 1
	v_add_co_u32_e64 v1, s[28:29], v0, v1
	v_add_co_u32_e64 v1, s[28:29], -1, v1
; %bb.13291:                            ;   in Loop: Header=BB6_13186 Depth=3
	s_or_b64 exec, exec, s[38:39]
	v_add_u32_e32 v2, 0xffffff81, v5
	v_mov_b32_e32 v5, 0xffffff82
	v_cndmask_b32_e32 v2, v2, v5, vcc
	v_lshrrev_b32_e32 v5, 23, v0
	v_add3_u32 v6, v6, v2, v5
	v_add_u32_e32 v5, 14, v6
	v_and_b32_e32 v1, 0x1fffff, v1
	v_add_u32_e32 v0, v1, v0
	v_mov_b32_e32 v1, v33
	v_cmp_ne_u32_e32 vcc, 0, v5
                                        ; implicit-def: $vgpr2
	s_and_saveexec_b64 s[28:29], vcc
	s_xor_b64 s[28:29], exec, s[28:29]
; %bb.13292:                            ;   in Loop: Header=BB6_13186 Depth=3
	v_cmp_lt_u64_e32 vcc, s[88:89], v[0:1]
	v_add_u32_e32 v2, 15, v6
	v_cndmask_b32_e32 v2, v5, v2, vcc
	v_cndmask_b32_e64 v5, 0, 1, vcc
	v_lshrrev_b64 v[0:1], v5, v[0:1]
; %bb.13293:                            ;   in Loop: Header=BB6_13186 Depth=3
	s_andn2_saveexec_b64 s[28:29], s[28:29]
; %bb.13294:                            ;   in Loop: Header=BB6_13186 Depth=3
	v_bfe_u32 v2, v0, 23, 1
; %bb.13295:                            ;   in Loop: Header=BB6_13186 Depth=3
	s_or_b64 exec, exec, s[28:29]
	v_lshrrev_b64 v[0:1], 21, v[0:1]
	v_cmp_gt_i32_e32 vcc, 32, v2
	v_cndmask_b32_e32 v1, 0, v1, vcc
	v_cndmask_b32_e32 v0, 3, v0, vcc
	v_cmp_eq_u64_e64 s[28:29], 0, v[0:1]
	v_min_i32_e32 v1, 31, v2
	v_lshlrev_b32_e32 v1, 2, v1
	v_cmp_eq_u32_e32 vcc, 0, v2
	v_and_b32_e32 v1, 0xfc, v1
	v_and_or_b32 v0, v0, 3, v1
	s_and_b64 s[28:29], vcc, s[28:29]
	v_cndmask_b32_e64 v0, v0, 0, s[28:29]
	v_or_b32_e32 v5, v0, v3
.LBB6_13296:                            ;   in Loop: Header=BB6_13186 Depth=3
	s_or_b64 exec, exec, s[36:37]
                                        ; implicit-def: $vgpr3
.LBB6_13297:                            ;   in Loop: Header=BB6_13186 Depth=3
	s_andn2_saveexec_b64 s[28:29], s[34:35]
; %bb.13298:                            ;   in Loop: Header=BB6_13186 Depth=3
	v_or_b32_e32 v5, 0x7b, v3
; %bb.13299:                            ;   in Loop: Header=BB6_13186 Depth=3
	s_or_b64 exec, exec, s[28:29]
                                        ; implicit-def: $vgpr2
                                        ; implicit-def: $vgpr0_vgpr1
.LBB6_13300:                            ;   in Loop: Header=BB6_13186 Depth=3
	s_andn2_saveexec_b64 s[28:29], s[30:31]
	s_cbranch_execz .LBB6_13306
; %bb.13301:                            ;   in Loop: Header=BB6_13186 Depth=3
	v_cmp_ne_u64_e32 vcc, 0, v[0:1]
                                        ; implicit-def: $vgpr5
	s_and_saveexec_b64 s[62:63], vcc
	s_xor_b64 vcc, exec, s[62:63]
; %bb.13302:                            ;   in Loop: Header=BB6_13186 Depth=3
	v_or_b32_sdwa v5, v2, s44 dst_sel:DWORD dst_unused:UNUSED_PAD src0_sel:BYTE_3 src1_sel:DWORD
                                        ; implicit-def: $vgpr2
; %bb.13303:                            ;   in Loop: Header=BB6_13186 Depth=3
	s_andn2_saveexec_b64 s[30:31], vcc
; %bb.13304:                            ;   in Loop: Header=BB6_13186 Depth=3
	v_cmp_lt_i32_e32 vcc, -1, v2
	v_bfrev_b32_e32 v0, 0.5
	v_mov_b32_e32 v1, 0x7c
	v_cndmask_b32_e32 v5, v0, v1, vcc
; %bb.13305:                            ;   in Loop: Header=BB6_13186 Depth=3
	s_or_b64 exec, exec, s[30:31]
.LBB6_13306:                            ;   in Loop: Header=BB6_13186 Depth=3
	s_or_b64 exec, exec, s[28:29]
	v_mov_b32_e32 v0, v9
	v_mov_b32_e32 v1, v33
	v_cmp_ne_u16_sdwa s[62:63], v9, v33 src0_sel:BYTE_0 src1_sel:DWORD
	v_mov_b32_e32 v2, 0
	s_and_saveexec_b64 s[28:29], s[62:63]
	s_cbranch_execz .LBB6_13314
; %bb.13307:                            ;   in Loop: Header=BB6_13186 Depth=3
	v_cmp_ne_u16_sdwa s[62:63], v9, s97 src0_sel:BYTE_0 src1_sel:DWORD
	v_bfrev_b32_e32 v2, 1
	s_and_saveexec_b64 s[30:31], s[62:63]
	s_cbranch_execz .LBB6_13313
; %bb.13308:                            ;   in Loop: Header=BB6_13186 Depth=3
	v_and_b32_e32 v2, 0x7c, v9
	v_and_b32_e32 v3, 3, v9
	v_cmp_ne_u32_e32 vcc, s86, v2
                                        ; implicit-def: $vgpr2
	s_and_saveexec_b64 s[62:63], vcc
	s_xor_b64 s[34:35], exec, s[62:63]
	s_cbranch_execz .LBB6_13310
; %bb.13309:                            ;   in Loop: Header=BB6_13186 Depth=3
	v_ffbh_u32_e32 v2, v3
	v_min_u32_e32 v7, 32, v2
	v_subrev_u32_e32 v2, 29, v7
	v_lshlrev_b64 v[1:2], v2, v[0:1]
	v_bfe_u32 v6, v9, 2, 5
	v_and_b32_e32 v1, 3, v1
	v_cmp_eq_u32_e32 vcc, 0, v6
	v_sub_u32_e32 v2, 30, v7
	v_cndmask_b32_e32 v1, v3, v1, vcc
	v_lshlrev_b32_e32 v3, 24, v9
	v_cndmask_b32_e32 v2, v6, v2, vcc
	v_and_b32_e32 v3, 0x80000000, v3
	v_lshl_add_u32 v2, v2, 23, v3
	v_lshl_or_b32 v1, v1, 21, v2
	v_add_u32_e32 v2, 0x38000000, v1
                                        ; implicit-def: $vgpr3
.LBB6_13310:                            ;   in Loop: Header=BB6_13186 Depth=3
	s_andn2_saveexec_b64 s[34:35], s[34:35]
; %bb.13311:                            ;   in Loop: Header=BB6_13186 Depth=3
	v_mov_b32_e32 v1, -1
	v_cmp_gt_i16_sdwa vcc, sext(v9), v1 src0_sel:BYTE_0 src1_sel:DWORD
	v_mov_b32_e32 v1, 0xff800000
	v_mov_b32_e32 v2, 0x7f800000
	v_cndmask_b32_e32 v1, v1, v2, vcc
	v_cmp_eq_u32_e32 vcc, 0, v3
	v_mov_b32_e32 v2, 0x7f800001
	v_cndmask_b32_e32 v2, v2, v1, vcc
; %bb.13312:                            ;   in Loop: Header=BB6_13186 Depth=3
	s_or_b64 exec, exec, s[34:35]
.LBB6_13313:                            ;   in Loop: Header=BB6_13186 Depth=3
	s_or_b64 exec, exec, s[30:31]
.LBB6_13314:                            ;   in Loop: Header=BB6_13186 Depth=3
	s_or_b64 exec, exec, s[28:29]
	v_mul_f32_e32 v3, v12, v2
	v_and_b32_e32 v6, 0x7f800000, v3
	v_mov_b32_e32 v7, v33
	v_cmp_ne_u64_e32 vcc, s[76:77], v[6:7]
	v_and_b32_e32 v1, 0x7fffff, v3
	v_mov_b32_e32 v2, v33
                                        ; implicit-def: $vgpr47
	s_and_saveexec_b64 s[28:29], vcc
	s_xor_b64 s[30:31], exec, s[28:29]
	s_cbranch_execz .LBB6_13328
; %bb.13315:                            ;   in Loop: Header=BB6_13186 Depth=3
	v_and_b32_e32 v6, 0x7fffffff, v3
	v_mov_b32_e32 v7, v33
	v_cmp_gt_u64_e32 vcc, s[78:79], v[6:7]
	v_and_b32_sdwa v6, v3, s97 dst_sel:DWORD dst_unused:UNUSED_PAD src0_sel:BYTE_3 src1_sel:DWORD
                                        ; implicit-def: $vgpr47
	s_and_saveexec_b64 s[28:29], vcc
	s_xor_b64 s[34:35], exec, s[28:29]
	s_cbranch_execz .LBB6_13325
; %bb.13316:                            ;   in Loop: Header=BB6_13186 Depth=3
	v_mov_b32_e32 v47, 0
	v_cmp_ne_u32_e32 vcc, 0, v3
	s_and_saveexec_b64 s[36:37], vcc
	s_cbranch_execz .LBB6_13324
; %bb.13317:                            ;   in Loop: Header=BB6_13186 Depth=3
	v_bfe_u32 v7, v3, 23, 8
	v_cmp_gt_u32_e64 s[28:29], s47, v7
	v_sub_u32_e32 v3, 0x71, v7
	v_cmp_eq_u32_e32 vcc, 0, v7
	v_cndmask_b32_e64 v3, 0, v3, s[28:29]
	v_mov_b32_e32 v13, 0x70
	v_cndmask_b32_e32 v13, v3, v13, vcc
	v_or_b32_e32 v14, 0x800000, v1
	v_add_u32_e32 v3, 21, v13
	v_cndmask_b32_e32 v1, v14, v1, vcc
	v_lshlrev_b64 v[14:15], v3, -1
	v_add_u32_e32 v3, 20, v13
	v_bfi_b32 v14, v14, 0, v1
	v_lshlrev_b64 v[16:17], v3, 1
	v_lshrrev_b64 v[1:2], v13, v[1:2]
	v_bfi_b32 v15, v15, 0, 0
	v_cmp_eq_u64_e64 s[28:29], v[14:15], v[16:17]
	v_mov_b32_e32 v3, v2
	v_mov_b32_e32 v2, v1
	s_and_saveexec_b64 s[38:39], s[28:29]
; %bb.13318:                            ;   in Loop: Header=BB6_13186 Depth=3
	v_bfe_u32 v2, v1, 21, 1
	v_add_co_u32_e64 v2, s[28:29], v1, v2
	v_add_co_u32_e64 v2, s[28:29], -1, v2
; %bb.13319:                            ;   in Loop: Header=BB6_13186 Depth=3
	s_or_b64 exec, exec, s[38:39]
	v_add_u32_e32 v3, 0xffffff81, v7
	v_mov_b32_e32 v7, 0xffffff82
	v_cndmask_b32_e32 v3, v3, v7, vcc
	v_lshrrev_b32_e32 v7, 23, v1
	v_add3_u32 v13, v13, v3, v7
	v_add_u32_e32 v7, 14, v13
	v_and_b32_e32 v2, 0x1fffff, v2
	v_add_u32_e32 v1, v2, v1
	v_mov_b32_e32 v2, v33
	v_cmp_ne_u32_e32 vcc, 0, v7
                                        ; implicit-def: $vgpr3
	s_and_saveexec_b64 s[28:29], vcc
	s_xor_b64 s[28:29], exec, s[28:29]
; %bb.13320:                            ;   in Loop: Header=BB6_13186 Depth=3
	v_cmp_lt_u64_e32 vcc, s[88:89], v[1:2]
	v_add_u32_e32 v3, 15, v13
	v_cndmask_b32_e32 v3, v7, v3, vcc
	v_cndmask_b32_e64 v7, 0, 1, vcc
	v_lshrrev_b64 v[1:2], v7, v[1:2]
; %bb.13321:                            ;   in Loop: Header=BB6_13186 Depth=3
	s_andn2_saveexec_b64 s[28:29], s[28:29]
; %bb.13322:                            ;   in Loop: Header=BB6_13186 Depth=3
	v_bfe_u32 v3, v1, 23, 1
; %bb.13323:                            ;   in Loop: Header=BB6_13186 Depth=3
	s_or_b64 exec, exec, s[28:29]
	v_lshrrev_b64 v[1:2], 21, v[1:2]
	v_cmp_gt_i32_e32 vcc, 32, v3
	v_cndmask_b32_e32 v2, 0, v2, vcc
	v_cndmask_b32_e32 v1, 3, v1, vcc
	v_cmp_eq_u64_e64 s[28:29], 0, v[1:2]
	v_min_i32_e32 v2, 31, v3
	v_lshlrev_b32_e32 v2, 2, v2
	v_cmp_eq_u32_e32 vcc, 0, v3
	v_and_b32_e32 v2, 0xfc, v2
	v_and_or_b32 v1, v1, 3, v2
	s_and_b64 s[28:29], vcc, s[28:29]
	v_cndmask_b32_e64 v1, v1, 0, s[28:29]
	v_or_b32_e32 v47, v1, v6
.LBB6_13324:                            ;   in Loop: Header=BB6_13186 Depth=3
	s_or_b64 exec, exec, s[36:37]
                                        ; implicit-def: $vgpr6
.LBB6_13325:                            ;   in Loop: Header=BB6_13186 Depth=3
	s_andn2_saveexec_b64 s[28:29], s[34:35]
; %bb.13326:                            ;   in Loop: Header=BB6_13186 Depth=3
	v_or_b32_e32 v47, 0x7b, v6
; %bb.13327:                            ;   in Loop: Header=BB6_13186 Depth=3
	s_or_b64 exec, exec, s[28:29]
                                        ; implicit-def: $vgpr3
                                        ; implicit-def: $vgpr1_vgpr2
.LBB6_13328:                            ;   in Loop: Header=BB6_13186 Depth=3
	s_andn2_saveexec_b64 s[28:29], s[30:31]
	s_cbranch_execz .LBB6_13334
; %bb.13329:                            ;   in Loop: Header=BB6_13186 Depth=3
	v_cmp_ne_u64_e32 vcc, 0, v[1:2]
                                        ; implicit-def: $vgpr47
	s_and_saveexec_b64 s[62:63], vcc
	s_xor_b64 vcc, exec, s[62:63]
; %bb.13330:                            ;   in Loop: Header=BB6_13186 Depth=3
	v_or_b32_sdwa v47, v3, s44 dst_sel:DWORD dst_unused:UNUSED_PAD src0_sel:BYTE_3 src1_sel:DWORD
                                        ; implicit-def: $vgpr3
; %bb.13331:                            ;   in Loop: Header=BB6_13186 Depth=3
	s_andn2_saveexec_b64 s[30:31], vcc
; %bb.13332:                            ;   in Loop: Header=BB6_13186 Depth=3
	v_cmp_lt_i32_e32 vcc, -1, v3
	v_bfrev_b32_e32 v1, 0.5
	v_mov_b32_e32 v2, 0x7c
	v_cndmask_b32_e32 v47, v1, v2, vcc
; %bb.13333:                            ;   in Loop: Header=BB6_13186 Depth=3
	s_or_b64 exec, exec, s[30:31]
.LBB6_13334:                            ;   in Loop: Header=BB6_13186 Depth=3
	s_or_b64 exec, exec, s[28:29]
	v_lshrrev_b16_e32 v1, 8, v0
	v_cmp_ne_u16_e32 vcc, 0, v1
	v_mov_b32_e32 v2, 0
	s_and_saveexec_b64 s[28:29], vcc
	s_cbranch_execz .LBB6_13342
; %bb.13335:                            ;   in Loop: Header=BB6_13186 Depth=3
	v_cmp_ne_u16_e32 vcc, s97, v1
	v_bfrev_b32_e32 v2, 1
	s_and_saveexec_b64 s[30:31], vcc
	s_cbranch_execz .LBB6_13341
; %bb.13336:                            ;   in Loop: Header=BB6_13186 Depth=3
	v_and_b32_e32 v2, 0x7c, v1
	v_and_b32_e32 v3, 3, v1
	v_cmp_ne_u32_e32 vcc, s86, v2
                                        ; implicit-def: $vgpr2
	s_and_saveexec_b64 s[62:63], vcc
	s_xor_b64 s[34:35], exec, s[62:63]
	s_cbranch_execz .LBB6_13338
; %bb.13337:                            ;   in Loop: Header=BB6_13186 Depth=3
	v_ffbh_u32_e32 v7, v3
	v_min_u32_e32 v7, 32, v7
	v_mov_b32_e32 v2, v33
	v_subrev_u32_e32 v13, 29, v7
	v_bfe_u32 v6, v1, 2, 5
	v_lshlrev_b64 v[1:2], v13, v[1:2]
	v_sub_u32_e32 v2, 30, v7
	v_cmp_eq_u32_e32 vcc, 0, v6
	v_lshlrev_b32_e32 v0, 16, v0
	v_and_b32_e32 v1, 3, v1
	v_cndmask_b32_e32 v2, v6, v2, vcc
	v_and_b32_e32 v0, 0x80000000, v0
	v_cndmask_b32_e32 v1, v3, v1, vcc
	v_lshl_add_u32 v0, v2, 23, v0
	v_lshl_or_b32 v0, v1, 21, v0
	v_add_u32_e32 v2, 0x38000000, v0
                                        ; implicit-def: $vgpr3
                                        ; implicit-def: $vgpr0_vgpr1
.LBB6_13338:                            ;   in Loop: Header=BB6_13186 Depth=3
	s_andn2_saveexec_b64 s[34:35], s[34:35]
; %bb.13339:                            ;   in Loop: Header=BB6_13186 Depth=3
	v_cmp_lt_i16_e32 vcc, -1, v0
	v_mov_b32_e32 v0, 0xff800000
	v_mov_b32_e32 v1, 0x7f800000
	v_cndmask_b32_e32 v0, v0, v1, vcc
	v_cmp_eq_u32_e32 vcc, 0, v3
	v_mov_b32_e32 v1, 0x7f800001
	v_cndmask_b32_e32 v2, v1, v0, vcc
; %bb.13340:                            ;   in Loop: Header=BB6_13186 Depth=3
	s_or_b64 exec, exec, s[34:35]
.LBB6_13341:                            ;   in Loop: Header=BB6_13186 Depth=3
	s_or_b64 exec, exec, s[30:31]
.LBB6_13342:                            ;   in Loop: Header=BB6_13186 Depth=3
	s_or_b64 exec, exec, s[28:29]
	v_mul_f32_e32 v2, v12, v2
	v_and_b32_e32 v6, 0x7f800000, v2
	v_mov_b32_e32 v7, v33
	v_cmp_ne_u64_e32 vcc, s[76:77], v[6:7]
	v_and_b32_e32 v0, 0x7fffff, v2
	v_mov_b32_e32 v1, v33
                                        ; implicit-def: $vgpr52
	s_and_saveexec_b64 s[28:29], vcc
	s_xor_b64 s[30:31], exec, s[28:29]
	s_cbranch_execz .LBB6_13356
; %bb.13343:                            ;   in Loop: Header=BB6_13186 Depth=3
	v_and_b32_e32 v6, 0x7fffffff, v2
	v_mov_b32_e32 v7, v33
	v_cmp_gt_u64_e32 vcc, s[78:79], v[6:7]
	v_and_b32_sdwa v3, v2, s97 dst_sel:DWORD dst_unused:UNUSED_PAD src0_sel:BYTE_3 src1_sel:DWORD
                                        ; implicit-def: $vgpr52
	s_and_saveexec_b64 s[28:29], vcc
	s_xor_b64 s[34:35], exec, s[28:29]
	s_cbranch_execz .LBB6_13353
; %bb.13344:                            ;   in Loop: Header=BB6_13186 Depth=3
	v_mov_b32_e32 v52, 0
	v_cmp_ne_u32_e32 vcc, 0, v2
	s_and_saveexec_b64 s[36:37], vcc
	s_cbranch_execz .LBB6_13352
; %bb.13345:                            ;   in Loop: Header=BB6_13186 Depth=3
	v_bfe_u32 v6, v2, 23, 8
	v_cmp_gt_u32_e64 s[28:29], s47, v6
	v_sub_u32_e32 v2, 0x71, v6
	v_cmp_eq_u32_e32 vcc, 0, v6
	v_cndmask_b32_e64 v2, 0, v2, s[28:29]
	v_mov_b32_e32 v7, 0x70
	v_cndmask_b32_e32 v7, v2, v7, vcc
	v_or_b32_e32 v13, 0x800000, v0
	v_add_u32_e32 v2, 21, v7
	v_cndmask_b32_e32 v0, v13, v0, vcc
	v_lshlrev_b64 v[13:14], v2, -1
	v_add_u32_e32 v2, 20, v7
	v_bfi_b32 v13, v13, 0, v0
	v_lshlrev_b64 v[15:16], v2, 1
	v_lshrrev_b64 v[0:1], v7, v[0:1]
	v_bfi_b32 v14, v14, 0, 0
	v_cmp_eq_u64_e64 s[28:29], v[13:14], v[15:16]
	v_mov_b32_e32 v2, v1
	v_mov_b32_e32 v1, v0
	s_and_saveexec_b64 s[38:39], s[28:29]
; %bb.13346:                            ;   in Loop: Header=BB6_13186 Depth=3
	v_bfe_u32 v1, v0, 21, 1
	v_add_co_u32_e64 v1, s[28:29], v0, v1
	v_add_co_u32_e64 v1, s[28:29], -1, v1
; %bb.13347:                            ;   in Loop: Header=BB6_13186 Depth=3
	s_or_b64 exec, exec, s[38:39]
	v_add_u32_e32 v2, 0xffffff81, v6
	v_mov_b32_e32 v6, 0xffffff82
	v_cndmask_b32_e32 v2, v2, v6, vcc
	v_lshrrev_b32_e32 v6, 23, v0
	v_add3_u32 v7, v7, v2, v6
	v_add_u32_e32 v6, 14, v7
	v_and_b32_e32 v1, 0x1fffff, v1
	v_add_u32_e32 v0, v1, v0
	v_mov_b32_e32 v1, v33
	v_cmp_ne_u32_e32 vcc, 0, v6
                                        ; implicit-def: $vgpr2
	s_and_saveexec_b64 s[28:29], vcc
	s_xor_b64 s[28:29], exec, s[28:29]
; %bb.13348:                            ;   in Loop: Header=BB6_13186 Depth=3
	v_cmp_lt_u64_e32 vcc, s[88:89], v[0:1]
	v_add_u32_e32 v2, 15, v7
	v_cndmask_b32_e32 v2, v6, v2, vcc
	v_cndmask_b32_e64 v6, 0, 1, vcc
	v_lshrrev_b64 v[0:1], v6, v[0:1]
; %bb.13349:                            ;   in Loop: Header=BB6_13186 Depth=3
	s_andn2_saveexec_b64 s[28:29], s[28:29]
; %bb.13350:                            ;   in Loop: Header=BB6_13186 Depth=3
	v_bfe_u32 v2, v0, 23, 1
; %bb.13351:                            ;   in Loop: Header=BB6_13186 Depth=3
	s_or_b64 exec, exec, s[28:29]
	v_lshrrev_b64 v[0:1], 21, v[0:1]
	v_cmp_gt_i32_e32 vcc, 32, v2
	v_cndmask_b32_e32 v1, 0, v1, vcc
	v_cndmask_b32_e32 v0, 3, v0, vcc
	v_cmp_eq_u64_e64 s[28:29], 0, v[0:1]
	v_min_i32_e32 v1, 31, v2
	v_lshlrev_b32_e32 v1, 2, v1
	v_cmp_eq_u32_e32 vcc, 0, v2
	v_and_b32_e32 v1, 0xfc, v1
	v_and_or_b32 v0, v0, 3, v1
	s_and_b64 s[28:29], vcc, s[28:29]
	v_cndmask_b32_e64 v0, v0, 0, s[28:29]
	v_or_b32_e32 v52, v0, v3
.LBB6_13352:                            ;   in Loop: Header=BB6_13186 Depth=3
	s_or_b64 exec, exec, s[36:37]
                                        ; implicit-def: $vgpr3
.LBB6_13353:                            ;   in Loop: Header=BB6_13186 Depth=3
	s_andn2_saveexec_b64 s[28:29], s[34:35]
; %bb.13354:                            ;   in Loop: Header=BB6_13186 Depth=3
	v_or_b32_e32 v52, 0x7b, v3
; %bb.13355:                            ;   in Loop: Header=BB6_13186 Depth=3
	s_or_b64 exec, exec, s[28:29]
                                        ; implicit-def: $vgpr2
                                        ; implicit-def: $vgpr0_vgpr1
.LBB6_13356:                            ;   in Loop: Header=BB6_13186 Depth=3
	s_andn2_saveexec_b64 s[28:29], s[30:31]
	s_cbranch_execz .LBB6_13362
; %bb.13357:                            ;   in Loop: Header=BB6_13186 Depth=3
	v_cmp_ne_u64_e32 vcc, 0, v[0:1]
                                        ; implicit-def: $vgpr52
	s_and_saveexec_b64 s[62:63], vcc
	s_xor_b64 vcc, exec, s[62:63]
; %bb.13358:                            ;   in Loop: Header=BB6_13186 Depth=3
	v_or_b32_sdwa v52, v2, s44 dst_sel:DWORD dst_unused:UNUSED_PAD src0_sel:BYTE_3 src1_sel:DWORD
                                        ; implicit-def: $vgpr2
; %bb.13359:                            ;   in Loop: Header=BB6_13186 Depth=3
	s_andn2_saveexec_b64 s[30:31], vcc
; %bb.13360:                            ;   in Loop: Header=BB6_13186 Depth=3
	v_cmp_lt_i32_e32 vcc, -1, v2
	v_bfrev_b32_e32 v0, 0.5
	v_mov_b32_e32 v1, 0x7c
	v_cndmask_b32_e32 v52, v0, v1, vcc
; %bb.13361:                            ;   in Loop: Header=BB6_13186 Depth=3
	s_or_b64 exec, exec, s[30:31]
.LBB6_13362:                            ;   in Loop: Header=BB6_13186 Depth=3
	s_or_b64 exec, exec, s[28:29]
	v_lshrrev_b32_e32 v0, 16, v9
	v_cmp_ne_u16_sdwa s[62:63], v0, v33 src0_sel:BYTE_0 src1_sel:DWORD
	v_mov_b32_e32 v1, 0
	s_and_saveexec_b64 s[28:29], s[62:63]
	s_cbranch_execz .LBB6_13370
; %bb.13363:                            ;   in Loop: Header=BB6_13186 Depth=3
	v_cmp_ne_u16_sdwa s[62:63], v0, s97 src0_sel:BYTE_0 src1_sel:DWORD
	v_bfrev_b32_e32 v1, 1
	s_and_saveexec_b64 s[30:31], s[62:63]
	s_cbranch_execz .LBB6_13369
; %bb.13364:                            ;   in Loop: Header=BB6_13186 Depth=3
	v_and_b32_e32 v1, 0x7c0000, v9
	v_bfe_u32 v2, v9, 16, 2
	v_cmp_ne_u32_e32 vcc, s45, v1
                                        ; implicit-def: $vgpr1
	s_and_saveexec_b64 s[62:63], vcc
	s_xor_b64 s[34:35], exec, s[62:63]
	s_cbranch_execz .LBB6_13366
; %bb.13365:                            ;   in Loop: Header=BB6_13186 Depth=3
	v_ffbh_u32_e32 v1, v2
	v_min_u32_e32 v6, 32, v1
	v_subrev_u32_e32 v1, 29, v6
	v_lshlrev_b64 v[0:1], v1, v[0:1]
	v_bfe_u32 v3, v9, 18, 5
	v_and_b32_e32 v0, 3, v0
	v_cmp_eq_u32_e32 vcc, 0, v3
	v_sub_u32_e32 v1, 30, v6
	v_cndmask_b32_e32 v0, v2, v0, vcc
	v_lshlrev_b32_e32 v2, 8, v9
	v_cndmask_b32_e32 v1, v3, v1, vcc
	v_and_b32_e32 v2, 0x80000000, v2
	v_lshl_add_u32 v1, v1, 23, v2
	v_lshl_or_b32 v0, v0, 21, v1
	v_add_u32_e32 v1, 0x38000000, v0
                                        ; implicit-def: $vgpr2
                                        ; implicit-def: $vgpr0
.LBB6_13366:                            ;   in Loop: Header=BB6_13186 Depth=3
	s_andn2_saveexec_b64 s[34:35], s[34:35]
; %bb.13367:                            ;   in Loop: Header=BB6_13186 Depth=3
	v_mov_b32_e32 v1, -1
	v_cmp_gt_i16_sdwa vcc, sext(v0), v1 src0_sel:BYTE_0 src1_sel:DWORD
	v_mov_b32_e32 v0, 0xff800000
	v_mov_b32_e32 v1, 0x7f800000
	v_cndmask_b32_e32 v0, v0, v1, vcc
	v_cmp_eq_u32_e32 vcc, 0, v2
	v_mov_b32_e32 v1, 0x7f800001
	v_cndmask_b32_e32 v1, v1, v0, vcc
; %bb.13368:                            ;   in Loop: Header=BB6_13186 Depth=3
	s_or_b64 exec, exec, s[34:35]
.LBB6_13369:                            ;   in Loop: Header=BB6_13186 Depth=3
	s_or_b64 exec, exec, s[30:31]
.LBB6_13370:                            ;   in Loop: Header=BB6_13186 Depth=3
	s_or_b64 exec, exec, s[28:29]
	v_mul_f32_e32 v2, v12, v1
	v_and_b32_e32 v6, 0x7f800000, v2
	v_mov_b32_e32 v7, v33
	v_cmp_ne_u64_e32 vcc, s[76:77], v[6:7]
	v_and_b32_e32 v0, 0x7fffff, v2
	v_mov_b32_e32 v1, v33
                                        ; implicit-def: $vgpr41
	s_and_saveexec_b64 s[28:29], vcc
	s_xor_b64 s[30:31], exec, s[28:29]
	s_cbranch_execz .LBB6_13384
; %bb.13371:                            ;   in Loop: Header=BB6_13186 Depth=3
	v_and_b32_e32 v6, 0x7fffffff, v2
	v_mov_b32_e32 v7, v33
	v_cmp_gt_u64_e32 vcc, s[78:79], v[6:7]
	v_and_b32_sdwa v3, v2, s97 dst_sel:DWORD dst_unused:UNUSED_PAD src0_sel:BYTE_3 src1_sel:DWORD
                                        ; implicit-def: $vgpr41
	s_and_saveexec_b64 s[28:29], vcc
	s_xor_b64 s[34:35], exec, s[28:29]
	s_cbranch_execz .LBB6_13381
; %bb.13372:                            ;   in Loop: Header=BB6_13186 Depth=3
	v_mov_b32_e32 v41, 0
	v_cmp_ne_u32_e32 vcc, 0, v2
	s_and_saveexec_b64 s[36:37], vcc
	s_cbranch_execz .LBB6_13380
; %bb.13373:                            ;   in Loop: Header=BB6_13186 Depth=3
	v_bfe_u32 v6, v2, 23, 8
	v_cmp_gt_u32_e64 s[28:29], s47, v6
	v_sub_u32_e32 v2, 0x71, v6
	v_cmp_eq_u32_e32 vcc, 0, v6
	v_cndmask_b32_e64 v2, 0, v2, s[28:29]
	v_mov_b32_e32 v7, 0x70
	v_cndmask_b32_e32 v7, v2, v7, vcc
	v_or_b32_e32 v13, 0x800000, v0
	v_add_u32_e32 v2, 21, v7
	v_cndmask_b32_e32 v0, v13, v0, vcc
	v_lshlrev_b64 v[13:14], v2, -1
	v_add_u32_e32 v2, 20, v7
	v_bfi_b32 v13, v13, 0, v0
	v_lshlrev_b64 v[15:16], v2, 1
	v_lshrrev_b64 v[0:1], v7, v[0:1]
	v_bfi_b32 v14, v14, 0, 0
	v_cmp_eq_u64_e64 s[28:29], v[13:14], v[15:16]
	v_mov_b32_e32 v2, v1
	v_mov_b32_e32 v1, v0
	s_and_saveexec_b64 s[38:39], s[28:29]
; %bb.13374:                            ;   in Loop: Header=BB6_13186 Depth=3
	v_bfe_u32 v1, v0, 21, 1
	v_add_co_u32_e64 v1, s[28:29], v0, v1
	v_add_co_u32_e64 v1, s[28:29], -1, v1
; %bb.13375:                            ;   in Loop: Header=BB6_13186 Depth=3
	s_or_b64 exec, exec, s[38:39]
	v_add_u32_e32 v2, 0xffffff81, v6
	v_mov_b32_e32 v6, 0xffffff82
	v_cndmask_b32_e32 v2, v2, v6, vcc
	v_lshrrev_b32_e32 v6, 23, v0
	v_add3_u32 v7, v7, v2, v6
	v_add_u32_e32 v6, 14, v7
	v_and_b32_e32 v1, 0x1fffff, v1
	v_add_u32_e32 v0, v1, v0
	v_mov_b32_e32 v1, v33
	v_cmp_ne_u32_e32 vcc, 0, v6
                                        ; implicit-def: $vgpr2
	s_and_saveexec_b64 s[28:29], vcc
	s_xor_b64 s[28:29], exec, s[28:29]
; %bb.13376:                            ;   in Loop: Header=BB6_13186 Depth=3
	v_cmp_lt_u64_e32 vcc, s[88:89], v[0:1]
	v_add_u32_e32 v2, 15, v7
	v_cndmask_b32_e32 v2, v6, v2, vcc
	v_cndmask_b32_e64 v6, 0, 1, vcc
	v_lshrrev_b64 v[0:1], v6, v[0:1]
; %bb.13377:                            ;   in Loop: Header=BB6_13186 Depth=3
	s_andn2_saveexec_b64 s[28:29], s[28:29]
; %bb.13378:                            ;   in Loop: Header=BB6_13186 Depth=3
	v_bfe_u32 v2, v0, 23, 1
; %bb.13379:                            ;   in Loop: Header=BB6_13186 Depth=3
	s_or_b64 exec, exec, s[28:29]
	v_lshrrev_b64 v[0:1], 21, v[0:1]
	v_cmp_gt_i32_e32 vcc, 32, v2
	v_cndmask_b32_e32 v1, 0, v1, vcc
	v_cndmask_b32_e32 v0, 3, v0, vcc
	v_cmp_eq_u64_e64 s[28:29], 0, v[0:1]
	v_min_i32_e32 v1, 31, v2
	v_lshlrev_b32_e32 v1, 2, v1
	v_cmp_eq_u32_e32 vcc, 0, v2
	v_and_b32_e32 v1, 0xfc, v1
	v_and_or_b32 v0, v0, 3, v1
	s_and_b64 s[28:29], vcc, s[28:29]
	v_cndmask_b32_e64 v0, v0, 0, s[28:29]
	v_or_b32_e32 v41, v0, v3
.LBB6_13380:                            ;   in Loop: Header=BB6_13186 Depth=3
	s_or_b64 exec, exec, s[36:37]
                                        ; implicit-def: $vgpr3
.LBB6_13381:                            ;   in Loop: Header=BB6_13186 Depth=3
	s_andn2_saveexec_b64 s[28:29], s[34:35]
; %bb.13382:                            ;   in Loop: Header=BB6_13186 Depth=3
	v_or_b32_e32 v41, 0x7b, v3
; %bb.13383:                            ;   in Loop: Header=BB6_13186 Depth=3
	s_or_b64 exec, exec, s[28:29]
                                        ; implicit-def: $vgpr2
                                        ; implicit-def: $vgpr0_vgpr1
.LBB6_13384:                            ;   in Loop: Header=BB6_13186 Depth=3
	s_andn2_saveexec_b64 s[28:29], s[30:31]
	s_cbranch_execz .LBB6_13390
; %bb.13385:                            ;   in Loop: Header=BB6_13186 Depth=3
	v_cmp_ne_u64_e32 vcc, 0, v[0:1]
                                        ; implicit-def: $vgpr41
	s_and_saveexec_b64 s[62:63], vcc
	s_xor_b64 vcc, exec, s[62:63]
; %bb.13386:                            ;   in Loop: Header=BB6_13186 Depth=3
	v_or_b32_sdwa v41, v2, s44 dst_sel:DWORD dst_unused:UNUSED_PAD src0_sel:BYTE_3 src1_sel:DWORD
                                        ; implicit-def: $vgpr2
; %bb.13387:                            ;   in Loop: Header=BB6_13186 Depth=3
	s_andn2_saveexec_b64 s[30:31], vcc
; %bb.13388:                            ;   in Loop: Header=BB6_13186 Depth=3
	v_cmp_lt_i32_e32 vcc, -1, v2
	v_bfrev_b32_e32 v0, 0.5
	v_mov_b32_e32 v1, 0x7c
	v_cndmask_b32_e32 v41, v0, v1, vcc
; %bb.13389:                            ;   in Loop: Header=BB6_13186 Depth=3
	s_or_b64 exec, exec, s[30:31]
.LBB6_13390:                            ;   in Loop: Header=BB6_13186 Depth=3
	s_or_b64 exec, exec, s[28:29]
	v_cmp_lt_u64_e32 vcc, s[56:57], v[8:9]
	v_mov_b32_e32 v1, 0
	s_and_saveexec_b64 s[28:29], vcc
	s_cbranch_execz .LBB6_13398
; %bb.13391:                            ;   in Loop: Header=BB6_13186 Depth=3
	v_lshrrev_b32_e32 v0, 24, v9
	v_cmp_ne_u32_e32 vcc, s97, v0
	v_bfrev_b32_e32 v1, 1
	s_and_saveexec_b64 s[30:31], vcc
	s_cbranch_execz .LBB6_13397
; %bb.13392:                            ;   in Loop: Header=BB6_13186 Depth=3
	v_and_b32_e32 v1, 0x7c000000, v9
	v_bfe_u32 v2, v9, 24, 2
	v_cmp_ne_u32_e32 vcc, s68, v1
                                        ; implicit-def: $vgpr1
	s_and_saveexec_b64 s[62:63], vcc
	s_xor_b64 s[34:35], exec, s[62:63]
	s_cbranch_execz .LBB6_13394
; %bb.13393:                            ;   in Loop: Header=BB6_13186 Depth=3
	v_ffbh_u32_e32 v1, v2
	v_min_u32_e32 v6, 32, v1
	v_subrev_u32_e32 v1, 29, v6
	v_lshlrev_b64 v[0:1], v1, v[0:1]
	v_bfe_u32 v3, v9, 26, 5
	v_sub_u32_e32 v1, 30, v6
	v_and_b32_e32 v0, 3, v0
	v_cmp_eq_u32_e32 vcc, 0, v3
	v_cndmask_b32_e32 v1, v3, v1, vcc
	v_cndmask_b32_e32 v0, v2, v0, vcc
	v_and_b32_e32 v2, 0x80000000, v9
	v_lshl_add_u32 v1, v1, 23, v2
	v_lshl_or_b32 v0, v0, 21, v1
	v_add_u32_e32 v1, 0x38000000, v0
                                        ; implicit-def: $vgpr2
.LBB6_13394:                            ;   in Loop: Header=BB6_13186 Depth=3
	s_andn2_saveexec_b64 s[34:35], s[34:35]
; %bb.13395:                            ;   in Loop: Header=BB6_13186 Depth=3
	v_cmp_lt_i64_e32 vcc, -1, v[8:9]
	v_mov_b32_e32 v0, 0xff800000
	v_mov_b32_e32 v1, 0x7f800000
	v_cndmask_b32_e32 v0, v0, v1, vcc
	v_cmp_eq_u32_e32 vcc, 0, v2
	v_mov_b32_e32 v1, 0x7f800001
	v_cndmask_b32_e32 v1, v1, v0, vcc
; %bb.13396:                            ;   in Loop: Header=BB6_13186 Depth=3
	s_or_b64 exec, exec, s[34:35]
.LBB6_13397:                            ;   in Loop: Header=BB6_13186 Depth=3
	s_or_b64 exec, exec, s[30:31]
.LBB6_13398:                            ;   in Loop: Header=BB6_13186 Depth=3
	s_or_b64 exec, exec, s[28:29]
	v_mul_f32_e32 v2, v12, v1
	v_and_b32_e32 v6, 0x7f800000, v2
	v_mov_b32_e32 v7, v33
	v_cmp_ne_u64_e32 vcc, s[76:77], v[6:7]
	v_and_b32_e32 v0, 0x7fffff, v2
	v_mov_b32_e32 v1, v33
                                        ; implicit-def: $vgpr43
	s_and_saveexec_b64 s[28:29], vcc
	s_xor_b64 s[30:31], exec, s[28:29]
	s_cbranch_execz .LBB6_13412
; %bb.13399:                            ;   in Loop: Header=BB6_13186 Depth=3
	v_and_b32_e32 v6, 0x7fffffff, v2
	v_mov_b32_e32 v7, v33
	v_cmp_gt_u64_e32 vcc, s[78:79], v[6:7]
	v_and_b32_sdwa v3, v2, s97 dst_sel:DWORD dst_unused:UNUSED_PAD src0_sel:BYTE_3 src1_sel:DWORD
                                        ; implicit-def: $vgpr43
	s_and_saveexec_b64 s[28:29], vcc
	s_xor_b64 s[34:35], exec, s[28:29]
	s_cbranch_execz .LBB6_13409
; %bb.13400:                            ;   in Loop: Header=BB6_13186 Depth=3
	v_mov_b32_e32 v43, 0
	v_cmp_ne_u32_e32 vcc, 0, v2
	s_and_saveexec_b64 s[36:37], vcc
	s_cbranch_execz .LBB6_13408
; %bb.13401:                            ;   in Loop: Header=BB6_13186 Depth=3
	v_bfe_u32 v6, v2, 23, 8
	v_cmp_gt_u32_e64 s[28:29], s47, v6
	v_sub_u32_e32 v2, 0x71, v6
	v_cmp_eq_u32_e32 vcc, 0, v6
	v_cndmask_b32_e64 v2, 0, v2, s[28:29]
	v_mov_b32_e32 v7, 0x70
	v_cndmask_b32_e32 v7, v2, v7, vcc
	v_or_b32_e32 v8, 0x800000, v0
	v_add_u32_e32 v2, 21, v7
	v_cndmask_b32_e32 v0, v8, v0, vcc
	v_lshlrev_b64 v[8:9], v2, -1
	v_add_u32_e32 v2, 20, v7
	v_bfi_b32 v8, v8, 0, v0
	v_lshlrev_b64 v[13:14], v2, 1
	v_lshrrev_b64 v[0:1], v7, v[0:1]
	v_bfi_b32 v9, v9, 0, 0
	v_cmp_eq_u64_e64 s[28:29], v[8:9], v[13:14]
	v_mov_b32_e32 v2, v1
	v_mov_b32_e32 v1, v0
	s_and_saveexec_b64 s[38:39], s[28:29]
; %bb.13402:                            ;   in Loop: Header=BB6_13186 Depth=3
	v_bfe_u32 v1, v0, 21, 1
	v_add_co_u32_e64 v1, s[28:29], v0, v1
	v_add_co_u32_e64 v1, s[28:29], -1, v1
; %bb.13403:                            ;   in Loop: Header=BB6_13186 Depth=3
	s_or_b64 exec, exec, s[38:39]
	v_add_u32_e32 v2, 0xffffff81, v6
	v_mov_b32_e32 v6, 0xffffff82
	v_cndmask_b32_e32 v2, v2, v6, vcc
	v_lshrrev_b32_e32 v6, 23, v0
	v_add3_u32 v7, v7, v2, v6
	v_add_u32_e32 v6, 14, v7
	v_and_b32_e32 v1, 0x1fffff, v1
	v_add_u32_e32 v0, v1, v0
	v_mov_b32_e32 v1, v33
	v_cmp_ne_u32_e32 vcc, 0, v6
                                        ; implicit-def: $vgpr2
	s_and_saveexec_b64 s[28:29], vcc
	s_xor_b64 s[28:29], exec, s[28:29]
; %bb.13404:                            ;   in Loop: Header=BB6_13186 Depth=3
	v_cmp_lt_u64_e32 vcc, s[88:89], v[0:1]
	v_add_u32_e32 v2, 15, v7
	v_cndmask_b32_e32 v2, v6, v2, vcc
	v_cndmask_b32_e64 v6, 0, 1, vcc
	v_lshrrev_b64 v[0:1], v6, v[0:1]
; %bb.13405:                            ;   in Loop: Header=BB6_13186 Depth=3
	s_andn2_saveexec_b64 s[28:29], s[28:29]
; %bb.13406:                            ;   in Loop: Header=BB6_13186 Depth=3
	v_bfe_u32 v2, v0, 23, 1
; %bb.13407:                            ;   in Loop: Header=BB6_13186 Depth=3
	s_or_b64 exec, exec, s[28:29]
	v_lshrrev_b64 v[0:1], 21, v[0:1]
	v_cmp_gt_i32_e32 vcc, 32, v2
	v_cndmask_b32_e32 v1, 0, v1, vcc
	v_cndmask_b32_e32 v0, 3, v0, vcc
	v_cmp_eq_u64_e64 s[28:29], 0, v[0:1]
	v_min_i32_e32 v1, 31, v2
	v_lshlrev_b32_e32 v1, 2, v1
	v_cmp_eq_u32_e32 vcc, 0, v2
	v_and_b32_e32 v1, 0xfc, v1
	v_and_or_b32 v0, v0, 3, v1
	s_and_b64 s[28:29], vcc, s[28:29]
	v_cndmask_b32_e64 v0, v0, 0, s[28:29]
	v_or_b32_e32 v43, v0, v3
.LBB6_13408:                            ;   in Loop: Header=BB6_13186 Depth=3
	s_or_b64 exec, exec, s[36:37]
                                        ; implicit-def: $vgpr3
.LBB6_13409:                            ;   in Loop: Header=BB6_13186 Depth=3
	s_andn2_saveexec_b64 s[28:29], s[34:35]
; %bb.13410:                            ;   in Loop: Header=BB6_13186 Depth=3
	v_or_b32_e32 v43, 0x7b, v3
; %bb.13411:                            ;   in Loop: Header=BB6_13186 Depth=3
	s_or_b64 exec, exec, s[28:29]
                                        ; implicit-def: $vgpr2
                                        ; implicit-def: $vgpr0_vgpr1
.LBB6_13412:                            ;   in Loop: Header=BB6_13186 Depth=3
	s_andn2_saveexec_b64 s[28:29], s[30:31]
	s_cbranch_execz .LBB6_13418
; %bb.13413:                            ;   in Loop: Header=BB6_13186 Depth=3
	v_cmp_ne_u64_e32 vcc, 0, v[0:1]
                                        ; implicit-def: $vgpr43
	s_and_saveexec_b64 s[62:63], vcc
	s_xor_b64 vcc, exec, s[62:63]
; %bb.13414:                            ;   in Loop: Header=BB6_13186 Depth=3
	v_or_b32_sdwa v43, v2, s44 dst_sel:DWORD dst_unused:UNUSED_PAD src0_sel:BYTE_3 src1_sel:DWORD
                                        ; implicit-def: $vgpr2
; %bb.13415:                            ;   in Loop: Header=BB6_13186 Depth=3
	s_andn2_saveexec_b64 s[30:31], vcc
; %bb.13416:                            ;   in Loop: Header=BB6_13186 Depth=3
	v_cmp_lt_i32_e32 vcc, -1, v2
	v_bfrev_b32_e32 v0, 0.5
	v_mov_b32_e32 v1, 0x7c
	v_cndmask_b32_e32 v43, v0, v1, vcc
; %bb.13417:                            ;   in Loop: Header=BB6_13186 Depth=3
	s_or_b64 exec, exec, s[30:31]
.LBB6_13418:                            ;   in Loop: Header=BB6_13186 Depth=3
	s_or_b64 exec, exec, s[28:29]
	v_cmp_ne_u16_sdwa s[62:63], v10, v33 src0_sel:BYTE_0 src1_sel:DWORD
	v_mov_b32_e32 v0, 0
	s_and_saveexec_b64 s[28:29], s[62:63]
	s_cbranch_execz .LBB6_13426
; %bb.13419:                            ;   in Loop: Header=BB6_13186 Depth=3
	v_cmp_ne_u16_sdwa s[62:63], sext(v10), s46 src0_sel:BYTE_0 src1_sel:DWORD
	v_bfrev_b32_e32 v0, 1
	s_and_saveexec_b64 s[30:31], s[62:63]
	s_cbranch_execz .LBB6_13425
; %bb.13420:                            ;   in Loop: Header=BB6_13186 Depth=3
	v_and_b32_e32 v0, 0x7c, v10
	v_and_b32_e32 v1, 3, v10
	v_cmp_ne_u32_e32 vcc, s86, v0
                                        ; implicit-def: $vgpr0
	s_and_saveexec_b64 s[62:63], vcc
	s_xor_b64 s[34:35], exec, s[62:63]
	s_cbranch_execz .LBB6_13422
; %bb.13421:                            ;   in Loop: Header=BB6_13186 Depth=3
	v_ffbh_u32_e32 v2, v1
	v_min_u32_e32 v6, 32, v2
	v_subrev_u32_e32 v2, 29, v6
	v_lshlrev_b64 v[2:3], v2, v[10:11]
	v_bfe_u32 v0, v10, 2, 5
	v_and_b32_e32 v2, 3, v2
	v_cmp_eq_u32_e32 vcc, 0, v0
	v_sub_u32_e32 v3, 30, v6
	v_cndmask_b32_e32 v1, v1, v2, vcc
	v_lshlrev_b32_e32 v2, 24, v10
	v_cndmask_b32_e32 v0, v0, v3, vcc
	v_and_b32_e32 v2, 0x80000000, v2
	v_lshl_add_u32 v0, v0, 23, v2
	v_lshl_or_b32 v0, v1, 21, v0
	v_add_u32_e32 v0, 0x38000000, v0
                                        ; implicit-def: $vgpr1
.LBB6_13422:                            ;   in Loop: Header=BB6_13186 Depth=3
	s_andn2_saveexec_b64 s[34:35], s[34:35]
; %bb.13423:                            ;   in Loop: Header=BB6_13186 Depth=3
	v_mov_b32_e32 v0, -1
	v_cmp_gt_i16_sdwa vcc, sext(v10), v0 src0_sel:BYTE_0 src1_sel:DWORD
	v_mov_b32_e32 v0, 0xff800000
	v_mov_b32_e32 v2, 0x7f800000
	v_cndmask_b32_e32 v0, v0, v2, vcc
	v_cmp_eq_u32_e32 vcc, 0, v1
	v_mov_b32_e32 v1, 0x7f800001
	v_cndmask_b32_e32 v0, v1, v0, vcc
; %bb.13424:                            ;   in Loop: Header=BB6_13186 Depth=3
	s_or_b64 exec, exec, s[34:35]
.LBB6_13425:                            ;   in Loop: Header=BB6_13186 Depth=3
	s_or_b64 exec, exec, s[30:31]
.LBB6_13426:                            ;   in Loop: Header=BB6_13186 Depth=3
	s_or_b64 exec, exec, s[28:29]
	v_mul_f32_e32 v2, v12, v0
	v_and_b32_e32 v6, 0x7f800000, v2
	v_mov_b32_e32 v7, v33
	v_cmp_ne_u64_e32 vcc, s[76:77], v[6:7]
	v_and_b32_e32 v0, 0x7fffff, v2
	v_mov_b32_e32 v1, v33
                                        ; implicit-def: $vgpr54
	s_and_saveexec_b64 s[28:29], vcc
	s_xor_b64 s[30:31], exec, s[28:29]
	s_cbranch_execz .LBB6_13440
; %bb.13427:                            ;   in Loop: Header=BB6_13186 Depth=3
	v_and_b32_e32 v6, 0x7fffffff, v2
	v_mov_b32_e32 v7, v33
	v_cmp_gt_u64_e32 vcc, s[78:79], v[6:7]
	v_and_b32_sdwa v3, v2, s97 dst_sel:DWORD dst_unused:UNUSED_PAD src0_sel:BYTE_3 src1_sel:DWORD
                                        ; implicit-def: $vgpr54
	s_and_saveexec_b64 s[28:29], vcc
	s_xor_b64 s[34:35], exec, s[28:29]
	s_cbranch_execz .LBB6_13437
; %bb.13428:                            ;   in Loop: Header=BB6_13186 Depth=3
	v_mov_b32_e32 v54, 0
	v_cmp_ne_u32_e32 vcc, 0, v2
	s_and_saveexec_b64 s[36:37], vcc
	s_cbranch_execz .LBB6_13436
; %bb.13429:                            ;   in Loop: Header=BB6_13186 Depth=3
	v_bfe_u32 v6, v2, 23, 8
	v_cmp_gt_u32_e64 s[28:29], s47, v6
	v_sub_u32_e32 v2, 0x71, v6
	v_cmp_eq_u32_e32 vcc, 0, v6
	v_cndmask_b32_e64 v2, 0, v2, s[28:29]
	v_mov_b32_e32 v7, 0x70
	v_cndmask_b32_e32 v7, v2, v7, vcc
	v_or_b32_e32 v8, 0x800000, v0
	v_add_u32_e32 v2, 21, v7
	v_cndmask_b32_e32 v0, v8, v0, vcc
	v_lshlrev_b64 v[8:9], v2, -1
	v_add_u32_e32 v2, 20, v7
	v_bfi_b32 v8, v8, 0, v0
	v_lshlrev_b64 v[13:14], v2, 1
	v_lshrrev_b64 v[0:1], v7, v[0:1]
	v_bfi_b32 v9, v9, 0, 0
	v_cmp_eq_u64_e64 s[28:29], v[8:9], v[13:14]
	v_mov_b32_e32 v2, v1
	v_mov_b32_e32 v1, v0
	s_and_saveexec_b64 s[38:39], s[28:29]
; %bb.13430:                            ;   in Loop: Header=BB6_13186 Depth=3
	v_bfe_u32 v1, v0, 21, 1
	v_add_co_u32_e64 v1, s[28:29], v0, v1
	v_add_co_u32_e64 v1, s[28:29], -1, v1
; %bb.13431:                            ;   in Loop: Header=BB6_13186 Depth=3
	s_or_b64 exec, exec, s[38:39]
	v_add_u32_e32 v2, 0xffffff81, v6
	v_mov_b32_e32 v6, 0xffffff82
	v_cndmask_b32_e32 v2, v2, v6, vcc
	v_lshrrev_b32_e32 v6, 23, v0
	v_add3_u32 v7, v7, v2, v6
	v_add_u32_e32 v6, 14, v7
	v_and_b32_e32 v1, 0x1fffff, v1
	v_add_u32_e32 v0, v1, v0
	v_mov_b32_e32 v1, v33
	v_cmp_ne_u32_e32 vcc, 0, v6
                                        ; implicit-def: $vgpr2
	s_and_saveexec_b64 s[28:29], vcc
	s_xor_b64 s[28:29], exec, s[28:29]
; %bb.13432:                            ;   in Loop: Header=BB6_13186 Depth=3
	v_cmp_lt_u64_e32 vcc, s[88:89], v[0:1]
	v_add_u32_e32 v2, 15, v7
	v_cndmask_b32_e32 v2, v6, v2, vcc
	v_cndmask_b32_e64 v6, 0, 1, vcc
	v_lshrrev_b64 v[0:1], v6, v[0:1]
; %bb.13433:                            ;   in Loop: Header=BB6_13186 Depth=3
	s_andn2_saveexec_b64 s[28:29], s[28:29]
; %bb.13434:                            ;   in Loop: Header=BB6_13186 Depth=3
	v_bfe_u32 v2, v0, 23, 1
; %bb.13435:                            ;   in Loop: Header=BB6_13186 Depth=3
	s_or_b64 exec, exec, s[28:29]
	v_lshrrev_b64 v[0:1], 21, v[0:1]
	v_cmp_gt_i32_e32 vcc, 32, v2
	v_cndmask_b32_e32 v1, 0, v1, vcc
	v_cndmask_b32_e32 v0, 3, v0, vcc
	v_cmp_eq_u64_e64 s[28:29], 0, v[0:1]
	v_min_i32_e32 v1, 31, v2
	v_lshlrev_b32_e32 v1, 2, v1
	v_cmp_eq_u32_e32 vcc, 0, v2
	v_and_b32_e32 v1, 0xfc, v1
	v_and_or_b32 v0, v0, 3, v1
	s_and_b64 s[28:29], vcc, s[28:29]
	v_cndmask_b32_e64 v0, v0, 0, s[28:29]
	v_or_b32_e32 v54, v0, v3
.LBB6_13436:                            ;   in Loop: Header=BB6_13186 Depth=3
	s_or_b64 exec, exec, s[36:37]
                                        ; implicit-def: $vgpr3
.LBB6_13437:                            ;   in Loop: Header=BB6_13186 Depth=3
	s_andn2_saveexec_b64 s[28:29], s[34:35]
; %bb.13438:                            ;   in Loop: Header=BB6_13186 Depth=3
	v_or_b32_e32 v54, 0x7b, v3
; %bb.13439:                            ;   in Loop: Header=BB6_13186 Depth=3
	s_or_b64 exec, exec, s[28:29]
                                        ; implicit-def: $vgpr2
                                        ; implicit-def: $vgpr0_vgpr1
.LBB6_13440:                            ;   in Loop: Header=BB6_13186 Depth=3
	s_andn2_saveexec_b64 s[28:29], s[30:31]
	s_cbranch_execz .LBB6_13446
; %bb.13441:                            ;   in Loop: Header=BB6_13186 Depth=3
	v_cmp_ne_u64_e32 vcc, 0, v[0:1]
                                        ; implicit-def: $vgpr54
	s_and_saveexec_b64 s[62:63], vcc
	s_xor_b64 vcc, exec, s[62:63]
; %bb.13442:                            ;   in Loop: Header=BB6_13186 Depth=3
	v_or_b32_sdwa v54, v2, s44 dst_sel:DWORD dst_unused:UNUSED_PAD src0_sel:BYTE_3 src1_sel:DWORD
                                        ; implicit-def: $vgpr2
; %bb.13443:                            ;   in Loop: Header=BB6_13186 Depth=3
	s_andn2_saveexec_b64 s[30:31], vcc
; %bb.13444:                            ;   in Loop: Header=BB6_13186 Depth=3
	v_cmp_lt_i32_e32 vcc, -1, v2
	v_bfrev_b32_e32 v0, 0.5
	v_mov_b32_e32 v1, 0x7c
	v_cndmask_b32_e32 v54, v0, v1, vcc
; %bb.13445:                            ;   in Loop: Header=BB6_13186 Depth=3
	s_or_b64 exec, exec, s[30:31]
.LBB6_13446:                            ;   in Loop: Header=BB6_13186 Depth=3
	s_or_b64 exec, exec, s[28:29]
	v_lshrrev_b16_e32 v0, 8, v10
	v_cmp_ne_u16_e32 vcc, 0, v0
	v_mov_b32_e32 v1, 0
	s_and_saveexec_b64 s[28:29], vcc
	s_cbranch_execz .LBB6_13454
; %bb.13447:                            ;   in Loop: Header=BB6_13186 Depth=3
	v_cmp_ne_u16_e32 vcc, s97, v0
	v_bfrev_b32_e32 v1, 1
	s_and_saveexec_b64 s[30:31], vcc
	s_cbranch_execz .LBB6_13453
; %bb.13448:                            ;   in Loop: Header=BB6_13186 Depth=3
	v_and_b32_e32 v1, 0x7c, v0
	v_and_b32_e32 v2, 3, v0
	v_cmp_ne_u32_e32 vcc, s86, v1
                                        ; implicit-def: $vgpr1
	s_and_saveexec_b64 s[62:63], vcc
	s_xor_b64 s[34:35], exec, s[62:63]
	s_cbranch_execz .LBB6_13450
; %bb.13449:                            ;   in Loop: Header=BB6_13186 Depth=3
	v_ffbh_u32_e32 v6, v2
	v_min_u32_e32 v6, 32, v6
	v_mov_b32_e32 v1, v33
	v_subrev_u32_e32 v7, 29, v6
	v_bfe_u32 v3, v0, 2, 5
	v_lshlrev_b64 v[0:1], v7, v[0:1]
	v_cmp_eq_u32_e32 vcc, 0, v3
	v_and_b32_e32 v0, 3, v0
	v_sub_u32_e32 v1, 30, v6
	v_cndmask_b32_e32 v0, v2, v0, vcc
	v_lshlrev_b32_e32 v2, 16, v10
	v_cndmask_b32_e32 v1, v3, v1, vcc
	v_and_b32_e32 v2, 0x80000000, v2
	v_lshl_add_u32 v1, v1, 23, v2
	v_lshl_or_b32 v0, v0, 21, v1
	v_add_u32_e32 v1, 0x38000000, v0
                                        ; implicit-def: $vgpr2
.LBB6_13450:                            ;   in Loop: Header=BB6_13186 Depth=3
	s_andn2_saveexec_b64 s[34:35], s[34:35]
; %bb.13451:                            ;   in Loop: Header=BB6_13186 Depth=3
	v_cmp_lt_i16_e32 vcc, -1, v10
	v_mov_b32_e32 v0, 0xff800000
	v_mov_b32_e32 v1, 0x7f800000
	v_cndmask_b32_e32 v0, v0, v1, vcc
	v_cmp_eq_u32_e32 vcc, 0, v2
	v_mov_b32_e32 v1, 0x7f800001
	v_cndmask_b32_e32 v1, v1, v0, vcc
; %bb.13452:                            ;   in Loop: Header=BB6_13186 Depth=3
	s_or_b64 exec, exec, s[34:35]
.LBB6_13453:                            ;   in Loop: Header=BB6_13186 Depth=3
	s_or_b64 exec, exec, s[30:31]
.LBB6_13454:                            ;   in Loop: Header=BB6_13186 Depth=3
	s_or_b64 exec, exec, s[28:29]
	v_mul_f32_e32 v2, v12, v1
	v_and_b32_e32 v6, 0x7f800000, v2
	v_mov_b32_e32 v7, v33
	v_cmp_ne_u64_e32 vcc, s[76:77], v[6:7]
	v_and_b32_e32 v0, 0x7fffff, v2
	v_mov_b32_e32 v1, v33
                                        ; implicit-def: $vgpr35
	s_and_saveexec_b64 s[28:29], vcc
	s_xor_b64 s[30:31], exec, s[28:29]
	s_cbranch_execz .LBB6_13468
; %bb.13455:                            ;   in Loop: Header=BB6_13186 Depth=3
	v_and_b32_e32 v6, 0x7fffffff, v2
	v_mov_b32_e32 v7, v33
	v_cmp_gt_u64_e32 vcc, s[78:79], v[6:7]
	v_and_b32_sdwa v3, v2, s97 dst_sel:DWORD dst_unused:UNUSED_PAD src0_sel:BYTE_3 src1_sel:DWORD
                                        ; implicit-def: $vgpr35
	s_and_saveexec_b64 s[28:29], vcc
	s_xor_b64 s[34:35], exec, s[28:29]
	s_cbranch_execz .LBB6_13465
; %bb.13456:                            ;   in Loop: Header=BB6_13186 Depth=3
	v_mov_b32_e32 v35, 0
	v_cmp_ne_u32_e32 vcc, 0, v2
	s_and_saveexec_b64 s[36:37], vcc
	s_cbranch_execz .LBB6_13464
; %bb.13457:                            ;   in Loop: Header=BB6_13186 Depth=3
	v_bfe_u32 v6, v2, 23, 8
	v_cmp_gt_u32_e64 s[28:29], s47, v6
	v_sub_u32_e32 v2, 0x71, v6
	v_cmp_eq_u32_e32 vcc, 0, v6
	v_cndmask_b32_e64 v2, 0, v2, s[28:29]
	v_mov_b32_e32 v7, 0x70
	v_cndmask_b32_e32 v7, v2, v7, vcc
	v_or_b32_e32 v8, 0x800000, v0
	v_add_u32_e32 v2, 21, v7
	v_cndmask_b32_e32 v0, v8, v0, vcc
	v_lshlrev_b64 v[8:9], v2, -1
	v_add_u32_e32 v2, 20, v7
	v_bfi_b32 v8, v8, 0, v0
	v_lshlrev_b64 v[13:14], v2, 1
	v_lshrrev_b64 v[0:1], v7, v[0:1]
	v_bfi_b32 v9, v9, 0, 0
	v_cmp_eq_u64_e64 s[28:29], v[8:9], v[13:14]
	v_mov_b32_e32 v2, v1
	v_mov_b32_e32 v1, v0
	s_and_saveexec_b64 s[38:39], s[28:29]
; %bb.13458:                            ;   in Loop: Header=BB6_13186 Depth=3
	v_bfe_u32 v1, v0, 21, 1
	v_add_co_u32_e64 v1, s[28:29], v0, v1
	v_add_co_u32_e64 v1, s[28:29], -1, v1
; %bb.13459:                            ;   in Loop: Header=BB6_13186 Depth=3
	s_or_b64 exec, exec, s[38:39]
	v_add_u32_e32 v2, 0xffffff81, v6
	v_mov_b32_e32 v6, 0xffffff82
	v_cndmask_b32_e32 v2, v2, v6, vcc
	v_lshrrev_b32_e32 v6, 23, v0
	v_add3_u32 v7, v7, v2, v6
	v_add_u32_e32 v6, 14, v7
	v_and_b32_e32 v1, 0x1fffff, v1
	v_add_u32_e32 v0, v1, v0
	v_mov_b32_e32 v1, v33
	v_cmp_ne_u32_e32 vcc, 0, v6
                                        ; implicit-def: $vgpr2
	s_and_saveexec_b64 s[28:29], vcc
	s_xor_b64 s[28:29], exec, s[28:29]
; %bb.13460:                            ;   in Loop: Header=BB6_13186 Depth=3
	v_cmp_lt_u64_e32 vcc, s[88:89], v[0:1]
	v_add_u32_e32 v2, 15, v7
	v_cndmask_b32_e32 v2, v6, v2, vcc
	v_cndmask_b32_e64 v6, 0, 1, vcc
	v_lshrrev_b64 v[0:1], v6, v[0:1]
; %bb.13461:                            ;   in Loop: Header=BB6_13186 Depth=3
	s_andn2_saveexec_b64 s[28:29], s[28:29]
; %bb.13462:                            ;   in Loop: Header=BB6_13186 Depth=3
	v_bfe_u32 v2, v0, 23, 1
; %bb.13463:                            ;   in Loop: Header=BB6_13186 Depth=3
	s_or_b64 exec, exec, s[28:29]
	v_lshrrev_b64 v[0:1], 21, v[0:1]
	v_cmp_gt_i32_e32 vcc, 32, v2
	v_cndmask_b32_e32 v1, 0, v1, vcc
	v_cndmask_b32_e32 v0, 3, v0, vcc
	v_cmp_eq_u64_e64 s[28:29], 0, v[0:1]
	v_min_i32_e32 v1, 31, v2
	v_lshlrev_b32_e32 v1, 2, v1
	v_cmp_eq_u32_e32 vcc, 0, v2
	v_and_b32_e32 v1, 0xfc, v1
	v_and_or_b32 v0, v0, 3, v1
	s_and_b64 s[28:29], vcc, s[28:29]
	v_cndmask_b32_e64 v0, v0, 0, s[28:29]
	v_or_b32_e32 v35, v0, v3
.LBB6_13464:                            ;   in Loop: Header=BB6_13186 Depth=3
	s_or_b64 exec, exec, s[36:37]
                                        ; implicit-def: $vgpr3
.LBB6_13465:                            ;   in Loop: Header=BB6_13186 Depth=3
	s_andn2_saveexec_b64 s[28:29], s[34:35]
; %bb.13466:                            ;   in Loop: Header=BB6_13186 Depth=3
	v_or_b32_e32 v35, 0x7b, v3
; %bb.13467:                            ;   in Loop: Header=BB6_13186 Depth=3
	s_or_b64 exec, exec, s[28:29]
                                        ; implicit-def: $vgpr2
                                        ; implicit-def: $vgpr0_vgpr1
.LBB6_13468:                            ;   in Loop: Header=BB6_13186 Depth=3
	s_andn2_saveexec_b64 s[28:29], s[30:31]
	s_cbranch_execz .LBB6_13474
; %bb.13469:                            ;   in Loop: Header=BB6_13186 Depth=3
	v_cmp_ne_u64_e32 vcc, 0, v[0:1]
                                        ; implicit-def: $vgpr35
	s_and_saveexec_b64 s[62:63], vcc
	s_xor_b64 vcc, exec, s[62:63]
; %bb.13470:                            ;   in Loop: Header=BB6_13186 Depth=3
	v_or_b32_sdwa v35, v2, s44 dst_sel:DWORD dst_unused:UNUSED_PAD src0_sel:BYTE_3 src1_sel:DWORD
                                        ; implicit-def: $vgpr2
; %bb.13471:                            ;   in Loop: Header=BB6_13186 Depth=3
	s_andn2_saveexec_b64 s[30:31], vcc
; %bb.13472:                            ;   in Loop: Header=BB6_13186 Depth=3
	v_cmp_lt_i32_e32 vcc, -1, v2
	v_bfrev_b32_e32 v0, 0.5
	v_mov_b32_e32 v1, 0x7c
	v_cndmask_b32_e32 v35, v0, v1, vcc
; %bb.13473:                            ;   in Loop: Header=BB6_13186 Depth=3
	s_or_b64 exec, exec, s[30:31]
.LBB6_13474:                            ;   in Loop: Header=BB6_13186 Depth=3
	s_or_b64 exec, exec, s[28:29]
	v_lshrrev_b32_e32 v0, 16, v10
	v_cmp_ne_u16_sdwa s[62:63], v0, v33 src0_sel:BYTE_0 src1_sel:DWORD
	v_mov_b32_e32 v1, 0
	s_and_saveexec_b64 s[28:29], s[62:63]
	s_cbranch_execz .LBB6_13482
; %bb.13475:                            ;   in Loop: Header=BB6_13186 Depth=3
	v_cmp_ne_u16_sdwa s[62:63], v0, s97 src0_sel:BYTE_0 src1_sel:DWORD
	v_bfrev_b32_e32 v1, 1
	s_and_saveexec_b64 s[30:31], s[62:63]
	s_cbranch_execz .LBB6_13481
; %bb.13476:                            ;   in Loop: Header=BB6_13186 Depth=3
	v_and_b32_e32 v1, 0x7c0000, v10
	v_bfe_u32 v2, v10, 16, 2
	v_cmp_ne_u32_e32 vcc, s45, v1
                                        ; implicit-def: $vgpr1
	s_and_saveexec_b64 s[62:63], vcc
	s_xor_b64 s[34:35], exec, s[62:63]
	s_cbranch_execz .LBB6_13478
; %bb.13477:                            ;   in Loop: Header=BB6_13186 Depth=3
	v_ffbh_u32_e32 v1, v2
	v_min_u32_e32 v6, 32, v1
	v_subrev_u32_e32 v1, 29, v6
	v_lshlrev_b64 v[0:1], v1, v[0:1]
	v_bfe_u32 v3, v10, 18, 5
	v_and_b32_e32 v0, 3, v0
	v_cmp_eq_u32_e32 vcc, 0, v3
	v_sub_u32_e32 v1, 30, v6
	v_cndmask_b32_e32 v0, v2, v0, vcc
	v_lshlrev_b32_e32 v2, 8, v10
	v_cndmask_b32_e32 v1, v3, v1, vcc
	v_and_b32_e32 v2, 0x80000000, v2
	v_lshl_add_u32 v1, v1, 23, v2
	v_lshl_or_b32 v0, v0, 21, v1
	v_add_u32_e32 v1, 0x38000000, v0
                                        ; implicit-def: $vgpr2
                                        ; implicit-def: $vgpr0
.LBB6_13478:                            ;   in Loop: Header=BB6_13186 Depth=3
	s_andn2_saveexec_b64 s[34:35], s[34:35]
; %bb.13479:                            ;   in Loop: Header=BB6_13186 Depth=3
	v_mov_b32_e32 v1, -1
	v_cmp_gt_i16_sdwa vcc, sext(v0), v1 src0_sel:BYTE_0 src1_sel:DWORD
	v_mov_b32_e32 v0, 0xff800000
	v_mov_b32_e32 v1, 0x7f800000
	v_cndmask_b32_e32 v0, v0, v1, vcc
	v_cmp_eq_u32_e32 vcc, 0, v2
	v_mov_b32_e32 v1, 0x7f800001
	v_cndmask_b32_e32 v1, v1, v0, vcc
; %bb.13480:                            ;   in Loop: Header=BB6_13186 Depth=3
	s_or_b64 exec, exec, s[34:35]
.LBB6_13481:                            ;   in Loop: Header=BB6_13186 Depth=3
	s_or_b64 exec, exec, s[30:31]
.LBB6_13482:                            ;   in Loop: Header=BB6_13186 Depth=3
	s_or_b64 exec, exec, s[28:29]
	v_mul_f32_e32 v2, v12, v1
	v_and_b32_e32 v6, 0x7f800000, v2
	v_mov_b32_e32 v7, v33
	v_cmp_ne_u64_e32 vcc, s[76:77], v[6:7]
	v_and_b32_e32 v0, 0x7fffff, v2
	v_mov_b32_e32 v1, v33
                                        ; implicit-def: $vgpr51
	s_and_saveexec_b64 s[28:29], vcc
	s_xor_b64 s[30:31], exec, s[28:29]
	s_cbranch_execz .LBB6_13496
; %bb.13483:                            ;   in Loop: Header=BB6_13186 Depth=3
	v_and_b32_e32 v6, 0x7fffffff, v2
	v_mov_b32_e32 v7, v33
	v_cmp_gt_u64_e32 vcc, s[78:79], v[6:7]
	v_and_b32_sdwa v3, v2, s97 dst_sel:DWORD dst_unused:UNUSED_PAD src0_sel:BYTE_3 src1_sel:DWORD
                                        ; implicit-def: $vgpr51
	s_and_saveexec_b64 s[28:29], vcc
	s_xor_b64 s[34:35], exec, s[28:29]
	s_cbranch_execz .LBB6_13493
; %bb.13484:                            ;   in Loop: Header=BB6_13186 Depth=3
	v_mov_b32_e32 v51, 0
	v_cmp_ne_u32_e32 vcc, 0, v2
	s_and_saveexec_b64 s[36:37], vcc
	s_cbranch_execz .LBB6_13492
; %bb.13485:                            ;   in Loop: Header=BB6_13186 Depth=3
	v_bfe_u32 v6, v2, 23, 8
	v_cmp_gt_u32_e64 s[28:29], s47, v6
	v_sub_u32_e32 v2, 0x71, v6
	v_cmp_eq_u32_e32 vcc, 0, v6
	v_cndmask_b32_e64 v2, 0, v2, s[28:29]
	v_mov_b32_e32 v7, 0x70
	v_cndmask_b32_e32 v7, v2, v7, vcc
	v_or_b32_e32 v8, 0x800000, v0
	v_add_u32_e32 v2, 21, v7
	v_cndmask_b32_e32 v0, v8, v0, vcc
	v_lshlrev_b64 v[8:9], v2, -1
	v_add_u32_e32 v2, 20, v7
	v_bfi_b32 v8, v8, 0, v0
	v_lshlrev_b64 v[13:14], v2, 1
	v_lshrrev_b64 v[0:1], v7, v[0:1]
	v_bfi_b32 v9, v9, 0, 0
	v_cmp_eq_u64_e64 s[28:29], v[8:9], v[13:14]
	v_mov_b32_e32 v2, v1
	v_mov_b32_e32 v1, v0
	s_and_saveexec_b64 s[38:39], s[28:29]
; %bb.13486:                            ;   in Loop: Header=BB6_13186 Depth=3
	v_bfe_u32 v1, v0, 21, 1
	v_add_co_u32_e64 v1, s[28:29], v0, v1
	v_add_co_u32_e64 v1, s[28:29], -1, v1
; %bb.13487:                            ;   in Loop: Header=BB6_13186 Depth=3
	s_or_b64 exec, exec, s[38:39]
	v_add_u32_e32 v2, 0xffffff81, v6
	v_mov_b32_e32 v6, 0xffffff82
	v_cndmask_b32_e32 v2, v2, v6, vcc
	v_lshrrev_b32_e32 v6, 23, v0
	v_add3_u32 v7, v7, v2, v6
	v_add_u32_e32 v6, 14, v7
	v_and_b32_e32 v1, 0x1fffff, v1
	v_add_u32_e32 v0, v1, v0
	v_mov_b32_e32 v1, v33
	v_cmp_ne_u32_e32 vcc, 0, v6
                                        ; implicit-def: $vgpr2
	s_and_saveexec_b64 s[28:29], vcc
	s_xor_b64 s[28:29], exec, s[28:29]
; %bb.13488:                            ;   in Loop: Header=BB6_13186 Depth=3
	v_cmp_lt_u64_e32 vcc, s[88:89], v[0:1]
	v_add_u32_e32 v2, 15, v7
	v_cndmask_b32_e32 v2, v6, v2, vcc
	v_cndmask_b32_e64 v6, 0, 1, vcc
	v_lshrrev_b64 v[0:1], v6, v[0:1]
; %bb.13489:                            ;   in Loop: Header=BB6_13186 Depth=3
	s_andn2_saveexec_b64 s[28:29], s[28:29]
; %bb.13490:                            ;   in Loop: Header=BB6_13186 Depth=3
	v_bfe_u32 v2, v0, 23, 1
; %bb.13491:                            ;   in Loop: Header=BB6_13186 Depth=3
	s_or_b64 exec, exec, s[28:29]
	v_lshrrev_b64 v[0:1], 21, v[0:1]
	v_cmp_gt_i32_e32 vcc, 32, v2
	v_cndmask_b32_e32 v1, 0, v1, vcc
	v_cndmask_b32_e32 v0, 3, v0, vcc
	v_cmp_eq_u64_e64 s[28:29], 0, v[0:1]
	v_min_i32_e32 v1, 31, v2
	v_lshlrev_b32_e32 v1, 2, v1
	v_cmp_eq_u32_e32 vcc, 0, v2
	v_and_b32_e32 v1, 0xfc, v1
	v_and_or_b32 v0, v0, 3, v1
	s_and_b64 s[28:29], vcc, s[28:29]
	v_cndmask_b32_e64 v0, v0, 0, s[28:29]
	v_or_b32_e32 v51, v0, v3
.LBB6_13492:                            ;   in Loop: Header=BB6_13186 Depth=3
	s_or_b64 exec, exec, s[36:37]
                                        ; implicit-def: $vgpr3
.LBB6_13493:                            ;   in Loop: Header=BB6_13186 Depth=3
	s_andn2_saveexec_b64 s[28:29], s[34:35]
; %bb.13494:                            ;   in Loop: Header=BB6_13186 Depth=3
	v_or_b32_e32 v51, 0x7b, v3
; %bb.13495:                            ;   in Loop: Header=BB6_13186 Depth=3
	s_or_b64 exec, exec, s[28:29]
                                        ; implicit-def: $vgpr2
                                        ; implicit-def: $vgpr0_vgpr1
.LBB6_13496:                            ;   in Loop: Header=BB6_13186 Depth=3
	s_andn2_saveexec_b64 s[28:29], s[30:31]
	s_cbranch_execz .LBB6_13502
; %bb.13497:                            ;   in Loop: Header=BB6_13186 Depth=3
	v_cmp_ne_u64_e32 vcc, 0, v[0:1]
                                        ; implicit-def: $vgpr51
	s_and_saveexec_b64 s[62:63], vcc
	s_xor_b64 vcc, exec, s[62:63]
; %bb.13498:                            ;   in Loop: Header=BB6_13186 Depth=3
	v_or_b32_sdwa v51, v2, s44 dst_sel:DWORD dst_unused:UNUSED_PAD src0_sel:BYTE_3 src1_sel:DWORD
                                        ; implicit-def: $vgpr2
; %bb.13499:                            ;   in Loop: Header=BB6_13186 Depth=3
	s_andn2_saveexec_b64 s[30:31], vcc
; %bb.13500:                            ;   in Loop: Header=BB6_13186 Depth=3
	v_cmp_lt_i32_e32 vcc, -1, v2
	v_bfrev_b32_e32 v0, 0.5
	v_mov_b32_e32 v1, 0x7c
	v_cndmask_b32_e32 v51, v0, v1, vcc
; %bb.13501:                            ;   in Loop: Header=BB6_13186 Depth=3
	s_or_b64 exec, exec, s[30:31]
.LBB6_13502:                            ;   in Loop: Header=BB6_13186 Depth=3
	s_or_b64 exec, exec, s[28:29]
	v_cmp_lt_u32_e32 vcc, s57, v10
	v_mov_b32_e32 v1, 0
	s_and_saveexec_b64 s[28:29], vcc
	s_cbranch_execz .LBB6_13510
; %bb.13503:                            ;   in Loop: Header=BB6_13186 Depth=3
	v_lshrrev_b32_e32 v0, 24, v10
	v_cmp_ne_u32_e32 vcc, s97, v0
	v_bfrev_b32_e32 v1, 1
	s_and_saveexec_b64 s[30:31], vcc
	s_cbranch_execz .LBB6_13509
; %bb.13504:                            ;   in Loop: Header=BB6_13186 Depth=3
	v_and_b32_e32 v1, 0x7c000000, v10
	v_bfe_u32 v2, v10, 24, 2
	v_cmp_ne_u32_e32 vcc, s68, v1
                                        ; implicit-def: $vgpr1
	s_and_saveexec_b64 s[62:63], vcc
	s_xor_b64 s[34:35], exec, s[62:63]
	s_cbranch_execz .LBB6_13506
; %bb.13505:                            ;   in Loop: Header=BB6_13186 Depth=3
	v_ffbh_u32_e32 v1, v2
	v_min_u32_e32 v6, 32, v1
	v_subrev_u32_e32 v1, 29, v6
	v_lshlrev_b64 v[0:1], v1, v[0:1]
	v_bfe_u32 v3, v10, 26, 5
	v_sub_u32_e32 v1, 30, v6
	v_and_b32_e32 v0, 3, v0
	v_cmp_eq_u32_e32 vcc, 0, v3
	v_cndmask_b32_e32 v1, v3, v1, vcc
	v_cndmask_b32_e32 v0, v2, v0, vcc
	v_and_b32_e32 v2, 0x80000000, v10
	v_lshl_add_u32 v1, v1, 23, v2
	v_lshl_or_b32 v0, v0, 21, v1
	v_add_u32_e32 v1, 0x38000000, v0
                                        ; implicit-def: $vgpr2
.LBB6_13506:                            ;   in Loop: Header=BB6_13186 Depth=3
	s_andn2_saveexec_b64 s[34:35], s[34:35]
; %bb.13507:                            ;   in Loop: Header=BB6_13186 Depth=3
	v_cmp_lt_i32_e32 vcc, -1, v10
	v_mov_b32_e32 v0, 0xff800000
	v_mov_b32_e32 v1, 0x7f800000
	v_cndmask_b32_e32 v0, v0, v1, vcc
	v_cmp_eq_u32_e32 vcc, 0, v2
	v_mov_b32_e32 v1, 0x7f800001
	v_cndmask_b32_e32 v1, v1, v0, vcc
; %bb.13508:                            ;   in Loop: Header=BB6_13186 Depth=3
	s_or_b64 exec, exec, s[34:35]
.LBB6_13509:                            ;   in Loop: Header=BB6_13186 Depth=3
	s_or_b64 exec, exec, s[30:31]
.LBB6_13510:                            ;   in Loop: Header=BB6_13186 Depth=3
	s_or_b64 exec, exec, s[28:29]
	v_mul_f32_e32 v2, v12, v1
	v_and_b32_e32 v6, 0x7f800000, v2
	v_mov_b32_e32 v7, v33
	v_cmp_ne_u64_e32 vcc, s[76:77], v[6:7]
	v_and_b32_e32 v0, 0x7fffff, v2
	v_mov_b32_e32 v1, v33
                                        ; implicit-def: $vgpr53
	s_and_saveexec_b64 s[28:29], vcc
	s_xor_b64 s[30:31], exec, s[28:29]
	s_cbranch_execz .LBB6_13524
; %bb.13511:                            ;   in Loop: Header=BB6_13186 Depth=3
	v_and_b32_e32 v6, 0x7fffffff, v2
	v_mov_b32_e32 v7, v33
	v_cmp_gt_u64_e32 vcc, s[78:79], v[6:7]
	v_and_b32_sdwa v3, v2, s97 dst_sel:DWORD dst_unused:UNUSED_PAD src0_sel:BYTE_3 src1_sel:DWORD
                                        ; implicit-def: $vgpr53
	s_and_saveexec_b64 s[28:29], vcc
	s_xor_b64 s[34:35], exec, s[28:29]
	s_cbranch_execz .LBB6_13521
; %bb.13512:                            ;   in Loop: Header=BB6_13186 Depth=3
	v_mov_b32_e32 v53, 0
	v_cmp_ne_u32_e32 vcc, 0, v2
	s_and_saveexec_b64 s[36:37], vcc
	s_cbranch_execz .LBB6_13520
; %bb.13513:                            ;   in Loop: Header=BB6_13186 Depth=3
	v_bfe_u32 v6, v2, 23, 8
	v_cmp_gt_u32_e64 s[28:29], s47, v6
	v_sub_u32_e32 v2, 0x71, v6
	v_cmp_eq_u32_e32 vcc, 0, v6
	v_cndmask_b32_e64 v2, 0, v2, s[28:29]
	v_mov_b32_e32 v7, 0x70
	v_cndmask_b32_e32 v7, v2, v7, vcc
	v_or_b32_e32 v8, 0x800000, v0
	v_add_u32_e32 v2, 21, v7
	v_cndmask_b32_e32 v0, v8, v0, vcc
	v_lshlrev_b64 v[8:9], v2, -1
	v_add_u32_e32 v2, 20, v7
	v_bfi_b32 v8, v8, 0, v0
	v_lshlrev_b64 v[13:14], v2, 1
	v_lshrrev_b64 v[0:1], v7, v[0:1]
	v_bfi_b32 v9, v9, 0, 0
	v_cmp_eq_u64_e64 s[28:29], v[8:9], v[13:14]
	v_mov_b32_e32 v2, v1
	v_mov_b32_e32 v1, v0
	s_and_saveexec_b64 s[38:39], s[28:29]
; %bb.13514:                            ;   in Loop: Header=BB6_13186 Depth=3
	v_bfe_u32 v1, v0, 21, 1
	v_add_co_u32_e64 v1, s[28:29], v0, v1
	v_add_co_u32_e64 v1, s[28:29], -1, v1
; %bb.13515:                            ;   in Loop: Header=BB6_13186 Depth=3
	s_or_b64 exec, exec, s[38:39]
	v_add_u32_e32 v2, 0xffffff81, v6
	v_mov_b32_e32 v6, 0xffffff82
	v_cndmask_b32_e32 v2, v2, v6, vcc
	v_lshrrev_b32_e32 v6, 23, v0
	v_add3_u32 v7, v7, v2, v6
	v_add_u32_e32 v6, 14, v7
	v_and_b32_e32 v1, 0x1fffff, v1
	v_add_u32_e32 v0, v1, v0
	v_mov_b32_e32 v1, v33
	v_cmp_ne_u32_e32 vcc, 0, v6
                                        ; implicit-def: $vgpr2
	s_and_saveexec_b64 s[28:29], vcc
	s_xor_b64 s[28:29], exec, s[28:29]
; %bb.13516:                            ;   in Loop: Header=BB6_13186 Depth=3
	v_cmp_lt_u64_e32 vcc, s[88:89], v[0:1]
	v_add_u32_e32 v2, 15, v7
	v_cndmask_b32_e32 v2, v6, v2, vcc
	v_cndmask_b32_e64 v6, 0, 1, vcc
	v_lshrrev_b64 v[0:1], v6, v[0:1]
; %bb.13517:                            ;   in Loop: Header=BB6_13186 Depth=3
	s_andn2_saveexec_b64 s[28:29], s[28:29]
; %bb.13518:                            ;   in Loop: Header=BB6_13186 Depth=3
	v_bfe_u32 v2, v0, 23, 1
; %bb.13519:                            ;   in Loop: Header=BB6_13186 Depth=3
	s_or_b64 exec, exec, s[28:29]
	v_lshrrev_b64 v[0:1], 21, v[0:1]
	v_cmp_gt_i32_e32 vcc, 32, v2
	v_cndmask_b32_e32 v1, 0, v1, vcc
	v_cndmask_b32_e32 v0, 3, v0, vcc
	v_cmp_eq_u64_e64 s[28:29], 0, v[0:1]
	v_min_i32_e32 v1, 31, v2
	v_lshlrev_b32_e32 v1, 2, v1
	v_cmp_eq_u32_e32 vcc, 0, v2
	v_and_b32_e32 v1, 0xfc, v1
	v_and_or_b32 v0, v0, 3, v1
	s_and_b64 s[28:29], vcc, s[28:29]
	v_cndmask_b32_e64 v0, v0, 0, s[28:29]
	v_or_b32_e32 v53, v0, v3
.LBB6_13520:                            ;   in Loop: Header=BB6_13186 Depth=3
	s_or_b64 exec, exec, s[36:37]
                                        ; implicit-def: $vgpr3
.LBB6_13521:                            ;   in Loop: Header=BB6_13186 Depth=3
	s_andn2_saveexec_b64 s[28:29], s[34:35]
; %bb.13522:                            ;   in Loop: Header=BB6_13186 Depth=3
	v_or_b32_e32 v53, 0x7b, v3
; %bb.13523:                            ;   in Loop: Header=BB6_13186 Depth=3
	s_or_b64 exec, exec, s[28:29]
                                        ; implicit-def: $vgpr2
                                        ; implicit-def: $vgpr0_vgpr1
.LBB6_13524:                            ;   in Loop: Header=BB6_13186 Depth=3
	s_andn2_saveexec_b64 s[28:29], s[30:31]
	s_cbranch_execz .LBB6_13530
; %bb.13525:                            ;   in Loop: Header=BB6_13186 Depth=3
	v_cmp_ne_u64_e32 vcc, 0, v[0:1]
                                        ; implicit-def: $vgpr53
	s_and_saveexec_b64 s[62:63], vcc
	s_xor_b64 vcc, exec, s[62:63]
; %bb.13526:                            ;   in Loop: Header=BB6_13186 Depth=3
	v_or_b32_sdwa v53, v2, s44 dst_sel:DWORD dst_unused:UNUSED_PAD src0_sel:BYTE_3 src1_sel:DWORD
                                        ; implicit-def: $vgpr2
; %bb.13527:                            ;   in Loop: Header=BB6_13186 Depth=3
	s_andn2_saveexec_b64 s[30:31], vcc
; %bb.13528:                            ;   in Loop: Header=BB6_13186 Depth=3
	v_cmp_lt_i32_e32 vcc, -1, v2
	v_bfrev_b32_e32 v0, 0.5
	v_mov_b32_e32 v1, 0x7c
	v_cndmask_b32_e32 v53, v0, v1, vcc
; %bb.13529:                            ;   in Loop: Header=BB6_13186 Depth=3
	s_or_b64 exec, exec, s[30:31]
.LBB6_13530:                            ;   in Loop: Header=BB6_13186 Depth=3
	s_or_b64 exec, exec, s[28:29]
	v_mov_b32_e32 v0, v11
	v_mov_b32_e32 v1, v33
	v_cmp_ne_u16_sdwa s[62:63], v11, v33 src0_sel:BYTE_0 src1_sel:DWORD
	v_mov_b32_e32 v2, 0
	s_and_saveexec_b64 s[28:29], s[62:63]
	s_cbranch_execz .LBB6_13538
; %bb.13531:                            ;   in Loop: Header=BB6_13186 Depth=3
	v_cmp_ne_u16_sdwa s[62:63], v11, s97 src0_sel:BYTE_0 src1_sel:DWORD
	v_bfrev_b32_e32 v2, 1
	s_and_saveexec_b64 s[30:31], s[62:63]
	s_cbranch_execz .LBB6_13537
; %bb.13532:                            ;   in Loop: Header=BB6_13186 Depth=3
	v_and_b32_e32 v2, 0x7c, v11
	v_and_b32_e32 v3, 3, v11
	v_cmp_ne_u32_e32 vcc, s86, v2
                                        ; implicit-def: $vgpr2
	s_and_saveexec_b64 s[62:63], vcc
	s_xor_b64 s[34:35], exec, s[62:63]
	s_cbranch_execz .LBB6_13534
; %bb.13533:                            ;   in Loop: Header=BB6_13186 Depth=3
	v_ffbh_u32_e32 v2, v3
	v_min_u32_e32 v7, 32, v2
	v_subrev_u32_e32 v2, 29, v7
	v_lshlrev_b64 v[1:2], v2, v[0:1]
	v_bfe_u32 v6, v11, 2, 5
	v_and_b32_e32 v1, 3, v1
	v_cmp_eq_u32_e32 vcc, 0, v6
	v_sub_u32_e32 v2, 30, v7
	v_cndmask_b32_e32 v1, v3, v1, vcc
	v_lshlrev_b32_e32 v3, 24, v11
	v_cndmask_b32_e32 v2, v6, v2, vcc
	v_and_b32_e32 v3, 0x80000000, v3
	v_lshl_add_u32 v2, v2, 23, v3
	v_lshl_or_b32 v1, v1, 21, v2
	v_add_u32_e32 v2, 0x38000000, v1
                                        ; implicit-def: $vgpr3
.LBB6_13534:                            ;   in Loop: Header=BB6_13186 Depth=3
	s_andn2_saveexec_b64 s[34:35], s[34:35]
; %bb.13535:                            ;   in Loop: Header=BB6_13186 Depth=3
	v_mov_b32_e32 v1, -1
	v_cmp_gt_i16_sdwa vcc, sext(v11), v1 src0_sel:BYTE_0 src1_sel:DWORD
	v_mov_b32_e32 v1, 0xff800000
	v_mov_b32_e32 v2, 0x7f800000
	v_cndmask_b32_e32 v1, v1, v2, vcc
	v_cmp_eq_u32_e32 vcc, 0, v3
	v_mov_b32_e32 v2, 0x7f800001
	v_cndmask_b32_e32 v2, v2, v1, vcc
; %bb.13536:                            ;   in Loop: Header=BB6_13186 Depth=3
	s_or_b64 exec, exec, s[34:35]
.LBB6_13537:                            ;   in Loop: Header=BB6_13186 Depth=3
	s_or_b64 exec, exec, s[30:31]
.LBB6_13538:                            ;   in Loop: Header=BB6_13186 Depth=3
	s_or_b64 exec, exec, s[28:29]
	v_mul_f32_e32 v3, v12, v2
	v_and_b32_e32 v6, 0x7f800000, v3
	v_mov_b32_e32 v7, v33
	v_cmp_ne_u64_e32 vcc, s[76:77], v[6:7]
	v_and_b32_e32 v1, 0x7fffff, v3
	v_mov_b32_e32 v2, v33
                                        ; implicit-def: $vgpr56
	s_and_saveexec_b64 s[28:29], vcc
	s_xor_b64 s[30:31], exec, s[28:29]
	s_cbranch_execz .LBB6_13552
; %bb.13539:                            ;   in Loop: Header=BB6_13186 Depth=3
	v_and_b32_e32 v6, 0x7fffffff, v3
	v_mov_b32_e32 v7, v33
	v_cmp_gt_u64_e32 vcc, s[78:79], v[6:7]
	v_and_b32_sdwa v6, v3, s97 dst_sel:DWORD dst_unused:UNUSED_PAD src0_sel:BYTE_3 src1_sel:DWORD
                                        ; implicit-def: $vgpr56
	s_and_saveexec_b64 s[28:29], vcc
	s_xor_b64 s[34:35], exec, s[28:29]
	s_cbranch_execz .LBB6_13549
; %bb.13540:                            ;   in Loop: Header=BB6_13186 Depth=3
	v_mov_b32_e32 v56, 0
	v_cmp_ne_u32_e32 vcc, 0, v3
	s_and_saveexec_b64 s[36:37], vcc
	s_cbranch_execz .LBB6_13548
; %bb.13541:                            ;   in Loop: Header=BB6_13186 Depth=3
	v_bfe_u32 v7, v3, 23, 8
	v_cmp_gt_u32_e64 s[28:29], s47, v7
	v_sub_u32_e32 v3, 0x71, v7
	v_cmp_eq_u32_e32 vcc, 0, v7
	v_cndmask_b32_e64 v3, 0, v3, s[28:29]
	v_mov_b32_e32 v8, 0x70
	v_cndmask_b32_e32 v8, v3, v8, vcc
	v_add_u32_e32 v3, 21, v8
	v_or_b32_e32 v9, 0x800000, v1
	v_lshlrev_b64 v[13:14], v3, -1
	v_cndmask_b32_e32 v1, v9, v1, vcc
	v_add_u32_e32 v3, 20, v8
	v_bfi_b32 v13, v13, 0, v1
	v_lshlrev_b64 v[15:16], v3, 1
	v_lshrrev_b64 v[1:2], v8, v[1:2]
	v_bfi_b32 v14, v14, 0, 0
	v_cmp_eq_u64_e64 s[28:29], v[13:14], v[15:16]
	v_mov_b32_e32 v3, v2
	v_mov_b32_e32 v2, v1
	s_and_saveexec_b64 s[38:39], s[28:29]
; %bb.13542:                            ;   in Loop: Header=BB6_13186 Depth=3
	v_bfe_u32 v2, v1, 21, 1
	v_add_co_u32_e64 v2, s[28:29], v1, v2
	v_add_co_u32_e64 v2, s[28:29], -1, v2
; %bb.13543:                            ;   in Loop: Header=BB6_13186 Depth=3
	s_or_b64 exec, exec, s[38:39]
	v_add_u32_e32 v3, 0xffffff81, v7
	v_mov_b32_e32 v7, 0xffffff82
	v_cndmask_b32_e32 v3, v3, v7, vcc
	v_lshrrev_b32_e32 v7, 23, v1
	v_add3_u32 v8, v8, v3, v7
	v_add_u32_e32 v7, 14, v8
	v_and_b32_e32 v2, 0x1fffff, v2
	v_add_u32_e32 v1, v2, v1
	v_mov_b32_e32 v2, v33
	v_cmp_ne_u32_e32 vcc, 0, v7
                                        ; implicit-def: $vgpr3
	s_and_saveexec_b64 s[28:29], vcc
	s_xor_b64 s[28:29], exec, s[28:29]
; %bb.13544:                            ;   in Loop: Header=BB6_13186 Depth=3
	v_cmp_lt_u64_e32 vcc, s[88:89], v[1:2]
	v_add_u32_e32 v3, 15, v8
	v_cndmask_b32_e32 v3, v7, v3, vcc
	v_cndmask_b32_e64 v7, 0, 1, vcc
	v_lshrrev_b64 v[1:2], v7, v[1:2]
; %bb.13545:                            ;   in Loop: Header=BB6_13186 Depth=3
	s_andn2_saveexec_b64 s[28:29], s[28:29]
; %bb.13546:                            ;   in Loop: Header=BB6_13186 Depth=3
	v_bfe_u32 v3, v1, 23, 1
; %bb.13547:                            ;   in Loop: Header=BB6_13186 Depth=3
	s_or_b64 exec, exec, s[28:29]
	v_lshrrev_b64 v[1:2], 21, v[1:2]
	v_cmp_gt_i32_e32 vcc, 32, v3
	v_cndmask_b32_e32 v2, 0, v2, vcc
	v_cndmask_b32_e32 v1, 3, v1, vcc
	v_cmp_eq_u64_e64 s[28:29], 0, v[1:2]
	v_min_i32_e32 v2, 31, v3
	v_lshlrev_b32_e32 v2, 2, v2
	v_cmp_eq_u32_e32 vcc, 0, v3
	v_and_b32_e32 v2, 0xfc, v2
	v_and_or_b32 v1, v1, 3, v2
	s_and_b64 s[28:29], vcc, s[28:29]
	v_cndmask_b32_e64 v1, v1, 0, s[28:29]
	v_or_b32_e32 v56, v1, v6
.LBB6_13548:                            ;   in Loop: Header=BB6_13186 Depth=3
	s_or_b64 exec, exec, s[36:37]
                                        ; implicit-def: $vgpr6
.LBB6_13549:                            ;   in Loop: Header=BB6_13186 Depth=3
	s_andn2_saveexec_b64 s[28:29], s[34:35]
; %bb.13550:                            ;   in Loop: Header=BB6_13186 Depth=3
	v_or_b32_e32 v56, 0x7b, v6
; %bb.13551:                            ;   in Loop: Header=BB6_13186 Depth=3
	s_or_b64 exec, exec, s[28:29]
                                        ; implicit-def: $vgpr3
                                        ; implicit-def: $vgpr1_vgpr2
.LBB6_13552:                            ;   in Loop: Header=BB6_13186 Depth=3
	s_andn2_saveexec_b64 s[28:29], s[30:31]
	s_cbranch_execz .LBB6_13558
; %bb.13553:                            ;   in Loop: Header=BB6_13186 Depth=3
	v_cmp_ne_u64_e32 vcc, 0, v[1:2]
                                        ; implicit-def: $vgpr56
	s_and_saveexec_b64 s[62:63], vcc
	s_xor_b64 vcc, exec, s[62:63]
; %bb.13554:                            ;   in Loop: Header=BB6_13186 Depth=3
	v_or_b32_sdwa v56, v3, s44 dst_sel:DWORD dst_unused:UNUSED_PAD src0_sel:BYTE_3 src1_sel:DWORD
                                        ; implicit-def: $vgpr3
; %bb.13555:                            ;   in Loop: Header=BB6_13186 Depth=3
	s_andn2_saveexec_b64 s[30:31], vcc
; %bb.13556:                            ;   in Loop: Header=BB6_13186 Depth=3
	v_cmp_lt_i32_e32 vcc, -1, v3
	v_bfrev_b32_e32 v1, 0.5
	v_mov_b32_e32 v2, 0x7c
	v_cndmask_b32_e32 v56, v1, v2, vcc
; %bb.13557:                            ;   in Loop: Header=BB6_13186 Depth=3
	s_or_b64 exec, exec, s[30:31]
.LBB6_13558:                            ;   in Loop: Header=BB6_13186 Depth=3
	s_or_b64 exec, exec, s[28:29]
	v_lshrrev_b16_e32 v1, 8, v0
	v_cmp_ne_u16_e32 vcc, 0, v1
	v_mov_b32_e32 v2, 0
	s_and_saveexec_b64 s[28:29], vcc
	s_cbranch_execz .LBB6_13566
; %bb.13559:                            ;   in Loop: Header=BB6_13186 Depth=3
	v_cmp_ne_u16_e32 vcc, s97, v1
	v_bfrev_b32_e32 v2, 1
	s_and_saveexec_b64 s[30:31], vcc
	s_cbranch_execz .LBB6_13565
; %bb.13560:                            ;   in Loop: Header=BB6_13186 Depth=3
	v_and_b32_e32 v2, 0x7c, v1
	v_and_b32_e32 v3, 3, v1
	v_cmp_ne_u32_e32 vcc, s86, v2
                                        ; implicit-def: $vgpr2
	s_and_saveexec_b64 s[62:63], vcc
	s_xor_b64 s[34:35], exec, s[62:63]
	s_cbranch_execz .LBB6_13562
; %bb.13561:                            ;   in Loop: Header=BB6_13186 Depth=3
	v_ffbh_u32_e32 v7, v3
	v_min_u32_e32 v7, 32, v7
	v_mov_b32_e32 v2, v33
	v_subrev_u32_e32 v8, 29, v7
	v_bfe_u32 v6, v1, 2, 5
	v_lshlrev_b64 v[1:2], v8, v[1:2]
	v_sub_u32_e32 v2, 30, v7
	v_cmp_eq_u32_e32 vcc, 0, v6
	v_lshlrev_b32_e32 v0, 16, v0
	v_and_b32_e32 v1, 3, v1
	v_cndmask_b32_e32 v2, v6, v2, vcc
	v_and_b32_e32 v0, 0x80000000, v0
	v_cndmask_b32_e32 v1, v3, v1, vcc
	v_lshl_add_u32 v0, v2, 23, v0
	v_lshl_or_b32 v0, v1, 21, v0
	v_add_u32_e32 v2, 0x38000000, v0
                                        ; implicit-def: $vgpr3
                                        ; implicit-def: $vgpr0_vgpr1
.LBB6_13562:                            ;   in Loop: Header=BB6_13186 Depth=3
	s_andn2_saveexec_b64 s[34:35], s[34:35]
; %bb.13563:                            ;   in Loop: Header=BB6_13186 Depth=3
	v_cmp_lt_i16_e32 vcc, -1, v0
	v_mov_b32_e32 v0, 0xff800000
	v_mov_b32_e32 v1, 0x7f800000
	v_cndmask_b32_e32 v0, v0, v1, vcc
	v_cmp_eq_u32_e32 vcc, 0, v3
	v_mov_b32_e32 v1, 0x7f800001
	v_cndmask_b32_e32 v2, v1, v0, vcc
; %bb.13564:                            ;   in Loop: Header=BB6_13186 Depth=3
	s_or_b64 exec, exec, s[34:35]
.LBB6_13565:                            ;   in Loop: Header=BB6_13186 Depth=3
	s_or_b64 exec, exec, s[30:31]
.LBB6_13566:                            ;   in Loop: Header=BB6_13186 Depth=3
	s_or_b64 exec, exec, s[28:29]
	v_mul_f32_e32 v2, v12, v2
	v_and_b32_e32 v6, 0x7f800000, v2
	v_mov_b32_e32 v7, v33
	v_cmp_ne_u64_e32 vcc, s[76:77], v[6:7]
	v_and_b32_e32 v0, 0x7fffff, v2
	v_mov_b32_e32 v1, v33
                                        ; implicit-def: $vgpr3
                                        ; kill: killed $vgpr3
	s_and_saveexec_b64 s[28:29], vcc
	s_xor_b64 s[30:31], exec, s[28:29]
	s_cbranch_execz .LBB6_13580
; %bb.13567:                            ;   in Loop: Header=BB6_13186 Depth=3
	v_and_b32_e32 v6, 0x7fffffff, v2
	v_mov_b32_e32 v7, v33
	v_cmp_gt_u64_e32 vcc, s[78:79], v[6:7]
	v_and_b32_sdwa v3, v2, s97 dst_sel:DWORD dst_unused:UNUSED_PAD src0_sel:BYTE_3 src1_sel:DWORD
                                        ; implicit-def: $vgpr6
                                        ; kill: killed $vgpr6
	s_and_saveexec_b64 s[28:29], vcc
	s_xor_b64 s[34:35], exec, s[28:29]
	s_cbranch_execz .LBB6_13577
; %bb.13568:                            ;   in Loop: Header=BB6_13186 Depth=3
	v_mov_b32_e32 v6, 0
	v_cmp_ne_u32_e32 vcc, 0, v2
	buffer_store_dword v6, off, s[0:3], s33 offset:380 ; 4-byte Folded Spill
	s_and_saveexec_b64 s[36:37], vcc
	s_cbranch_execz .LBB6_13576
; %bb.13569:                            ;   in Loop: Header=BB6_13186 Depth=3
	v_bfe_u32 v6, v2, 23, 8
	v_cmp_gt_u32_e64 s[28:29], s47, v6
	v_sub_u32_e32 v2, 0x71, v6
	v_cmp_eq_u32_e32 vcc, 0, v6
	v_cndmask_b32_e64 v2, 0, v2, s[28:29]
	v_mov_b32_e32 v7, 0x70
	v_cndmask_b32_e32 v7, v2, v7, vcc
	v_or_b32_e32 v8, 0x800000, v0
	v_add_u32_e32 v2, 21, v7
	v_cndmask_b32_e32 v0, v8, v0, vcc
	v_lshlrev_b64 v[8:9], v2, -1
	v_add_u32_e32 v2, 20, v7
	v_bfi_b32 v8, v8, 0, v0
	v_lshlrev_b64 v[13:14], v2, 1
	v_lshrrev_b64 v[0:1], v7, v[0:1]
	v_bfi_b32 v9, v9, 0, 0
	v_cmp_eq_u64_e64 s[28:29], v[8:9], v[13:14]
	v_mov_b32_e32 v2, v1
	v_mov_b32_e32 v1, v0
	s_and_saveexec_b64 s[38:39], s[28:29]
; %bb.13570:                            ;   in Loop: Header=BB6_13186 Depth=3
	v_bfe_u32 v1, v0, 21, 1
	v_add_co_u32_e64 v1, s[28:29], v0, v1
	v_add_co_u32_e64 v1, s[28:29], -1, v1
; %bb.13571:                            ;   in Loop: Header=BB6_13186 Depth=3
	s_or_b64 exec, exec, s[38:39]
	v_add_u32_e32 v2, 0xffffff81, v6
	v_mov_b32_e32 v6, 0xffffff82
	v_cndmask_b32_e32 v2, v2, v6, vcc
	v_lshrrev_b32_e32 v6, 23, v0
	v_add3_u32 v7, v7, v2, v6
	v_add_u32_e32 v6, 14, v7
	v_and_b32_e32 v1, 0x1fffff, v1
	v_add_u32_e32 v0, v1, v0
	v_mov_b32_e32 v1, v33
	v_cmp_ne_u32_e32 vcc, 0, v6
                                        ; implicit-def: $vgpr2
	s_and_saveexec_b64 s[28:29], vcc
	s_xor_b64 s[28:29], exec, s[28:29]
; %bb.13572:                            ;   in Loop: Header=BB6_13186 Depth=3
	v_cmp_lt_u64_e32 vcc, s[88:89], v[0:1]
	v_add_u32_e32 v2, 15, v7
	v_cndmask_b32_e32 v2, v6, v2, vcc
	v_cndmask_b32_e64 v6, 0, 1, vcc
	v_lshrrev_b64 v[0:1], v6, v[0:1]
; %bb.13573:                            ;   in Loop: Header=BB6_13186 Depth=3
	s_andn2_saveexec_b64 s[28:29], s[28:29]
; %bb.13574:                            ;   in Loop: Header=BB6_13186 Depth=3
	v_bfe_u32 v2, v0, 23, 1
; %bb.13575:                            ;   in Loop: Header=BB6_13186 Depth=3
	s_or_b64 exec, exec, s[28:29]
	v_lshrrev_b64 v[0:1], 21, v[0:1]
	v_cmp_gt_i32_e32 vcc, 32, v2
	v_cndmask_b32_e32 v1, 0, v1, vcc
	v_cndmask_b32_e32 v0, 3, v0, vcc
	v_cmp_eq_u64_e64 s[28:29], 0, v[0:1]
	v_min_i32_e32 v1, 31, v2
	v_lshlrev_b32_e32 v1, 2, v1
	v_cmp_eq_u32_e32 vcc, 0, v2
	v_and_b32_e32 v1, 0xfc, v1
	v_and_or_b32 v0, v0, 3, v1
	s_and_b64 s[28:29], vcc, s[28:29]
	v_cndmask_b32_e64 v0, v0, 0, s[28:29]
	v_or_b32_e32 v0, v0, v3
	buffer_store_dword v0, off, s[0:3], s33 offset:380 ; 4-byte Folded Spill
.LBB6_13576:                            ;   in Loop: Header=BB6_13186 Depth=3
	s_or_b64 exec, exec, s[36:37]
                                        ; implicit-def: $vgpr3
.LBB6_13577:                            ;   in Loop: Header=BB6_13186 Depth=3
	s_andn2_saveexec_b64 s[28:29], s[34:35]
	s_cbranch_execz .LBB6_13579
; %bb.13578:                            ;   in Loop: Header=BB6_13186 Depth=3
	v_or_b32_e32 v0, 0x7b, v3
	buffer_store_dword v0, off, s[0:3], s33 offset:380 ; 4-byte Folded Spill
.LBB6_13579:                            ;   in Loop: Header=BB6_13186 Depth=3
	s_or_b64 exec, exec, s[28:29]
                                        ; implicit-def: $vgpr2
                                        ; implicit-def: $vgpr0_vgpr1
.LBB6_13580:                            ;   in Loop: Header=BB6_13186 Depth=3
	s_andn2_saveexec_b64 s[28:29], s[30:31]
	s_cbranch_execz .LBB6_13586
; %bb.13581:                            ;   in Loop: Header=BB6_13186 Depth=3
	v_cmp_ne_u64_e32 vcc, 0, v[0:1]
                                        ; implicit-def: $vgpr0
                                        ; kill: killed $vgpr0
	s_and_saveexec_b64 s[62:63], vcc
	s_xor_b64 vcc, exec, s[62:63]
	s_cbranch_execz .LBB6_13583
; %bb.13582:                            ;   in Loop: Header=BB6_13186 Depth=3
	v_or_b32_sdwa v0, v2, s44 dst_sel:DWORD dst_unused:UNUSED_PAD src0_sel:BYTE_3 src1_sel:DWORD
	buffer_store_dword v0, off, s[0:3], s33 offset:380 ; 4-byte Folded Spill
                                        ; implicit-def: $vgpr2
.LBB6_13583:                            ;   in Loop: Header=BB6_13186 Depth=3
	s_andn2_saveexec_b64 s[30:31], vcc
	s_cbranch_execz .LBB6_13585
; %bb.13584:                            ;   in Loop: Header=BB6_13186 Depth=3
	v_cmp_lt_i32_e32 vcc, -1, v2
	v_bfrev_b32_e32 v0, 0.5
	v_mov_b32_e32 v1, 0x7c
	v_cndmask_b32_e32 v0, v0, v1, vcc
	buffer_store_dword v0, off, s[0:3], s33 offset:380 ; 4-byte Folded Spill
.LBB6_13585:                            ;   in Loop: Header=BB6_13186 Depth=3
	s_or_b64 exec, exec, s[30:31]
.LBB6_13586:                            ;   in Loop: Header=BB6_13186 Depth=3
	s_or_b64 exec, exec, s[28:29]
	v_lshrrev_b32_e32 v0, 16, v11
	v_cmp_ne_u16_sdwa s[62:63], v0, v33 src0_sel:BYTE_0 src1_sel:DWORD
	v_mov_b32_e32 v1, 0
	s_and_saveexec_b64 s[28:29], s[62:63]
	s_cbranch_execz .LBB6_13594
; %bb.13587:                            ;   in Loop: Header=BB6_13186 Depth=3
	v_cmp_ne_u16_sdwa s[62:63], v0, s97 src0_sel:BYTE_0 src1_sel:DWORD
	v_bfrev_b32_e32 v1, 1
	s_and_saveexec_b64 s[30:31], s[62:63]
	s_cbranch_execz .LBB6_13593
; %bb.13588:                            ;   in Loop: Header=BB6_13186 Depth=3
	v_and_b32_e32 v1, 0x7c0000, v11
	v_bfe_u32 v2, v11, 16, 2
	v_cmp_ne_u32_e32 vcc, s45, v1
                                        ; implicit-def: $vgpr1
	s_and_saveexec_b64 s[62:63], vcc
	s_xor_b64 s[34:35], exec, s[62:63]
	s_cbranch_execz .LBB6_13590
; %bb.13589:                            ;   in Loop: Header=BB6_13186 Depth=3
	v_ffbh_u32_e32 v1, v2
	v_min_u32_e32 v6, 32, v1
	v_subrev_u32_e32 v1, 29, v6
	v_lshlrev_b64 v[0:1], v1, v[0:1]
	v_bfe_u32 v3, v11, 18, 5
	v_and_b32_e32 v0, 3, v0
	v_cmp_eq_u32_e32 vcc, 0, v3
	v_sub_u32_e32 v1, 30, v6
	v_cndmask_b32_e32 v0, v2, v0, vcc
	v_lshlrev_b32_e32 v2, 8, v11
	v_cndmask_b32_e32 v1, v3, v1, vcc
	v_and_b32_e32 v2, 0x80000000, v2
	v_lshl_add_u32 v1, v1, 23, v2
	v_lshl_or_b32 v0, v0, 21, v1
	v_add_u32_e32 v1, 0x38000000, v0
                                        ; implicit-def: $vgpr2
                                        ; implicit-def: $vgpr0
.LBB6_13590:                            ;   in Loop: Header=BB6_13186 Depth=3
	s_andn2_saveexec_b64 s[34:35], s[34:35]
; %bb.13591:                            ;   in Loop: Header=BB6_13186 Depth=3
	v_mov_b32_e32 v1, -1
	v_cmp_gt_i16_sdwa vcc, sext(v0), v1 src0_sel:BYTE_0 src1_sel:DWORD
	v_mov_b32_e32 v0, 0xff800000
	v_mov_b32_e32 v1, 0x7f800000
	v_cndmask_b32_e32 v0, v0, v1, vcc
	v_cmp_eq_u32_e32 vcc, 0, v2
	v_mov_b32_e32 v1, 0x7f800001
	v_cndmask_b32_e32 v1, v1, v0, vcc
; %bb.13592:                            ;   in Loop: Header=BB6_13186 Depth=3
	s_or_b64 exec, exec, s[34:35]
.LBB6_13593:                            ;   in Loop: Header=BB6_13186 Depth=3
	s_or_b64 exec, exec, s[30:31]
.LBB6_13594:                            ;   in Loop: Header=BB6_13186 Depth=3
	s_or_b64 exec, exec, s[28:29]
	v_mul_f32_e32 v2, v12, v1
	v_and_b32_e32 v6, 0x7f800000, v2
	v_mov_b32_e32 v7, v33
	v_cmp_ne_u64_e32 vcc, s[76:77], v[6:7]
	v_and_b32_e32 v0, 0x7fffff, v2
	v_mov_b32_e32 v1, v33
                                        ; implicit-def: $vgpr38
	s_and_saveexec_b64 s[28:29], vcc
	s_xor_b64 s[30:31], exec, s[28:29]
	s_cbranch_execz .LBB6_13608
; %bb.13595:                            ;   in Loop: Header=BB6_13186 Depth=3
	v_and_b32_e32 v6, 0x7fffffff, v2
	v_mov_b32_e32 v7, v33
	v_cmp_gt_u64_e32 vcc, s[78:79], v[6:7]
	v_and_b32_sdwa v3, v2, s97 dst_sel:DWORD dst_unused:UNUSED_PAD src0_sel:BYTE_3 src1_sel:DWORD
                                        ; implicit-def: $vgpr38
	s_and_saveexec_b64 s[28:29], vcc
	s_xor_b64 s[34:35], exec, s[28:29]
	s_cbranch_execz .LBB6_13605
; %bb.13596:                            ;   in Loop: Header=BB6_13186 Depth=3
	v_mov_b32_e32 v38, 0
	v_cmp_ne_u32_e32 vcc, 0, v2
	s_and_saveexec_b64 s[36:37], vcc
	s_cbranch_execz .LBB6_13604
; %bb.13597:                            ;   in Loop: Header=BB6_13186 Depth=3
	v_bfe_u32 v6, v2, 23, 8
	v_cmp_gt_u32_e64 s[28:29], s47, v6
	v_sub_u32_e32 v2, 0x71, v6
	v_cmp_eq_u32_e32 vcc, 0, v6
	v_cndmask_b32_e64 v2, 0, v2, s[28:29]
	v_mov_b32_e32 v7, 0x70
	v_cndmask_b32_e32 v7, v2, v7, vcc
	v_or_b32_e32 v8, 0x800000, v0
	v_add_u32_e32 v2, 21, v7
	v_cndmask_b32_e32 v0, v8, v0, vcc
	v_lshlrev_b64 v[8:9], v2, -1
	v_add_u32_e32 v2, 20, v7
	v_bfi_b32 v8, v8, 0, v0
	v_lshlrev_b64 v[13:14], v2, 1
	v_lshrrev_b64 v[0:1], v7, v[0:1]
	v_bfi_b32 v9, v9, 0, 0
	v_cmp_eq_u64_e64 s[28:29], v[8:9], v[13:14]
	v_mov_b32_e32 v2, v1
	v_mov_b32_e32 v1, v0
	s_and_saveexec_b64 s[38:39], s[28:29]
; %bb.13598:                            ;   in Loop: Header=BB6_13186 Depth=3
	v_bfe_u32 v1, v0, 21, 1
	v_add_co_u32_e64 v1, s[28:29], v0, v1
	v_add_co_u32_e64 v1, s[28:29], -1, v1
; %bb.13599:                            ;   in Loop: Header=BB6_13186 Depth=3
	s_or_b64 exec, exec, s[38:39]
	v_add_u32_e32 v2, 0xffffff81, v6
	v_mov_b32_e32 v6, 0xffffff82
	v_cndmask_b32_e32 v2, v2, v6, vcc
	v_lshrrev_b32_e32 v6, 23, v0
	v_add3_u32 v7, v7, v2, v6
	v_add_u32_e32 v6, 14, v7
	v_and_b32_e32 v1, 0x1fffff, v1
	v_add_u32_e32 v0, v1, v0
	v_mov_b32_e32 v1, v33
	v_cmp_ne_u32_e32 vcc, 0, v6
                                        ; implicit-def: $vgpr2
	s_and_saveexec_b64 s[28:29], vcc
	s_xor_b64 s[28:29], exec, s[28:29]
; %bb.13600:                            ;   in Loop: Header=BB6_13186 Depth=3
	v_cmp_lt_u64_e32 vcc, s[88:89], v[0:1]
	v_add_u32_e32 v2, 15, v7
	v_cndmask_b32_e32 v2, v6, v2, vcc
	v_cndmask_b32_e64 v6, 0, 1, vcc
	v_lshrrev_b64 v[0:1], v6, v[0:1]
; %bb.13601:                            ;   in Loop: Header=BB6_13186 Depth=3
	s_andn2_saveexec_b64 s[28:29], s[28:29]
; %bb.13602:                            ;   in Loop: Header=BB6_13186 Depth=3
	v_bfe_u32 v2, v0, 23, 1
; %bb.13603:                            ;   in Loop: Header=BB6_13186 Depth=3
	s_or_b64 exec, exec, s[28:29]
	v_lshrrev_b64 v[0:1], 21, v[0:1]
	v_cmp_gt_i32_e32 vcc, 32, v2
	v_cndmask_b32_e32 v1, 0, v1, vcc
	v_cndmask_b32_e32 v0, 3, v0, vcc
	v_cmp_eq_u64_e64 s[28:29], 0, v[0:1]
	v_min_i32_e32 v1, 31, v2
	v_lshlrev_b32_e32 v1, 2, v1
	v_cmp_eq_u32_e32 vcc, 0, v2
	v_and_b32_e32 v1, 0xfc, v1
	v_and_or_b32 v0, v0, 3, v1
	s_and_b64 s[28:29], vcc, s[28:29]
	v_cndmask_b32_e64 v0, v0, 0, s[28:29]
	v_or_b32_e32 v38, v0, v3
.LBB6_13604:                            ;   in Loop: Header=BB6_13186 Depth=3
	s_or_b64 exec, exec, s[36:37]
                                        ; implicit-def: $vgpr3
.LBB6_13605:                            ;   in Loop: Header=BB6_13186 Depth=3
	s_andn2_saveexec_b64 s[28:29], s[34:35]
; %bb.13606:                            ;   in Loop: Header=BB6_13186 Depth=3
	v_or_b32_e32 v38, 0x7b, v3
; %bb.13607:                            ;   in Loop: Header=BB6_13186 Depth=3
	s_or_b64 exec, exec, s[28:29]
                                        ; implicit-def: $vgpr2
                                        ; implicit-def: $vgpr0_vgpr1
.LBB6_13608:                            ;   in Loop: Header=BB6_13186 Depth=3
	s_andn2_saveexec_b64 s[28:29], s[30:31]
	s_cbranch_execz .LBB6_13614
; %bb.13609:                            ;   in Loop: Header=BB6_13186 Depth=3
	v_cmp_ne_u64_e32 vcc, 0, v[0:1]
                                        ; implicit-def: $vgpr38
	s_and_saveexec_b64 s[62:63], vcc
	s_xor_b64 vcc, exec, s[62:63]
; %bb.13610:                            ;   in Loop: Header=BB6_13186 Depth=3
	v_or_b32_sdwa v38, v2, s44 dst_sel:DWORD dst_unused:UNUSED_PAD src0_sel:BYTE_3 src1_sel:DWORD
                                        ; implicit-def: $vgpr2
; %bb.13611:                            ;   in Loop: Header=BB6_13186 Depth=3
	s_andn2_saveexec_b64 s[30:31], vcc
; %bb.13612:                            ;   in Loop: Header=BB6_13186 Depth=3
	v_cmp_lt_i32_e32 vcc, -1, v2
	v_bfrev_b32_e32 v0, 0.5
	v_mov_b32_e32 v1, 0x7c
	v_cndmask_b32_e32 v38, v0, v1, vcc
; %bb.13613:                            ;   in Loop: Header=BB6_13186 Depth=3
	s_or_b64 exec, exec, s[30:31]
.LBB6_13614:                            ;   in Loop: Header=BB6_13186 Depth=3
	s_or_b64 exec, exec, s[28:29]
	v_cmp_lt_u64_e32 vcc, s[56:57], v[10:11]
	v_mov_b32_e32 v1, 0
	s_and_saveexec_b64 s[28:29], vcc
	s_cbranch_execz .LBB6_13622
; %bb.13615:                            ;   in Loop: Header=BB6_13186 Depth=3
	v_lshrrev_b32_e32 v0, 24, v11
	v_cmp_ne_u32_e32 vcc, s97, v0
	v_bfrev_b32_e32 v1, 1
	s_and_saveexec_b64 s[30:31], vcc
	s_cbranch_execz .LBB6_13621
; %bb.13616:                            ;   in Loop: Header=BB6_13186 Depth=3
	v_and_b32_e32 v1, 0x7c000000, v11
	v_bfe_u32 v2, v11, 24, 2
	v_cmp_ne_u32_e32 vcc, s68, v1
                                        ; implicit-def: $vgpr1
	s_and_saveexec_b64 s[62:63], vcc
	s_xor_b64 s[34:35], exec, s[62:63]
	s_cbranch_execz .LBB6_13618
; %bb.13617:                            ;   in Loop: Header=BB6_13186 Depth=3
	v_ffbh_u32_e32 v1, v2
	v_min_u32_e32 v6, 32, v1
	v_subrev_u32_e32 v1, 29, v6
	v_lshlrev_b64 v[0:1], v1, v[0:1]
	v_bfe_u32 v3, v11, 26, 5
	v_sub_u32_e32 v1, 30, v6
	v_and_b32_e32 v0, 3, v0
	v_cmp_eq_u32_e32 vcc, 0, v3
	v_cndmask_b32_e32 v1, v3, v1, vcc
	v_cndmask_b32_e32 v0, v2, v0, vcc
	v_and_b32_e32 v2, 0x80000000, v11
	v_lshl_add_u32 v1, v1, 23, v2
	v_lshl_or_b32 v0, v0, 21, v1
	v_add_u32_e32 v1, 0x38000000, v0
                                        ; implicit-def: $vgpr2
                                        ; implicit-def: $vgpr10_vgpr11
.LBB6_13618:                            ;   in Loop: Header=BB6_13186 Depth=3
	s_andn2_saveexec_b64 s[34:35], s[34:35]
; %bb.13619:                            ;   in Loop: Header=BB6_13186 Depth=3
	v_cmp_lt_i64_e32 vcc, -1, v[10:11]
	v_mov_b32_e32 v0, 0xff800000
	v_mov_b32_e32 v1, 0x7f800000
	v_cndmask_b32_e32 v0, v0, v1, vcc
	v_cmp_eq_u32_e32 vcc, 0, v2
	v_mov_b32_e32 v1, 0x7f800001
	v_cndmask_b32_e32 v1, v1, v0, vcc
; %bb.13620:                            ;   in Loop: Header=BB6_13186 Depth=3
	s_or_b64 exec, exec, s[34:35]
.LBB6_13621:                            ;   in Loop: Header=BB6_13186 Depth=3
	s_or_b64 exec, exec, s[30:31]
.LBB6_13622:                            ;   in Loop: Header=BB6_13186 Depth=3
	s_or_b64 exec, exec, s[28:29]
	v_mul_f32_e32 v2, v12, v1
	v_and_b32_e32 v6, 0x7f800000, v2
	v_mov_b32_e32 v7, v33
	v_cmp_ne_u64_e32 vcc, s[76:77], v[6:7]
	v_and_b32_e32 v0, 0x7fffff, v2
	v_mov_b32_e32 v1, v33
                                        ; implicit-def: $vgpr48
	s_and_saveexec_b64 s[28:29], vcc
	s_xor_b64 s[30:31], exec, s[28:29]
	s_cbranch_execz .LBB6_13636
; %bb.13623:                            ;   in Loop: Header=BB6_13186 Depth=3
	v_and_b32_e32 v6, 0x7fffffff, v2
	v_mov_b32_e32 v7, v33
	v_cmp_gt_u64_e32 vcc, s[78:79], v[6:7]
	v_and_b32_sdwa v3, v2, s97 dst_sel:DWORD dst_unused:UNUSED_PAD src0_sel:BYTE_3 src1_sel:DWORD
                                        ; implicit-def: $vgpr48
	s_and_saveexec_b64 s[28:29], vcc
	s_xor_b64 s[34:35], exec, s[28:29]
	s_cbranch_execz .LBB6_13633
; %bb.13624:                            ;   in Loop: Header=BB6_13186 Depth=3
	v_mov_b32_e32 v48, 0
	v_cmp_ne_u32_e32 vcc, 0, v2
	s_and_saveexec_b64 s[36:37], vcc
	s_cbranch_execz .LBB6_13632
; %bb.13625:                            ;   in Loop: Header=BB6_13186 Depth=3
	v_bfe_u32 v6, v2, 23, 8
	v_cmp_gt_u32_e64 s[28:29], s47, v6
	v_sub_u32_e32 v2, 0x71, v6
	v_cmp_eq_u32_e32 vcc, 0, v6
	v_cndmask_b32_e64 v2, 0, v2, s[28:29]
	v_mov_b32_e32 v7, 0x70
	v_cndmask_b32_e32 v7, v2, v7, vcc
	v_or_b32_e32 v8, 0x800000, v0
	v_add_u32_e32 v2, 21, v7
	v_cndmask_b32_e32 v0, v8, v0, vcc
	v_lshlrev_b64 v[8:9], v2, -1
	v_add_u32_e32 v2, 20, v7
	v_bfi_b32 v8, v8, 0, v0
	v_lshlrev_b64 v[10:11], v2, 1
	v_lshrrev_b64 v[0:1], v7, v[0:1]
	v_bfi_b32 v9, v9, 0, 0
	v_cmp_eq_u64_e64 s[28:29], v[8:9], v[10:11]
	v_mov_b32_e32 v2, v1
	v_mov_b32_e32 v1, v0
	s_and_saveexec_b64 s[38:39], s[28:29]
; %bb.13626:                            ;   in Loop: Header=BB6_13186 Depth=3
	v_bfe_u32 v1, v0, 21, 1
	v_add_co_u32_e64 v1, s[28:29], v0, v1
	v_add_co_u32_e64 v1, s[28:29], -1, v1
; %bb.13627:                            ;   in Loop: Header=BB6_13186 Depth=3
	s_or_b64 exec, exec, s[38:39]
	v_add_u32_e32 v2, 0xffffff81, v6
	v_mov_b32_e32 v6, 0xffffff82
	v_cndmask_b32_e32 v2, v2, v6, vcc
	v_lshrrev_b32_e32 v6, 23, v0
	v_add3_u32 v7, v7, v2, v6
	v_add_u32_e32 v6, 14, v7
	v_and_b32_e32 v1, 0x1fffff, v1
	v_add_u32_e32 v0, v1, v0
	v_mov_b32_e32 v1, v33
	v_cmp_ne_u32_e32 vcc, 0, v6
                                        ; implicit-def: $vgpr2
	s_and_saveexec_b64 s[28:29], vcc
	s_xor_b64 s[28:29], exec, s[28:29]
; %bb.13628:                            ;   in Loop: Header=BB6_13186 Depth=3
	v_cmp_lt_u64_e32 vcc, s[88:89], v[0:1]
	v_add_u32_e32 v2, 15, v7
	v_cndmask_b32_e32 v2, v6, v2, vcc
	v_cndmask_b32_e64 v6, 0, 1, vcc
	v_lshrrev_b64 v[0:1], v6, v[0:1]
; %bb.13629:                            ;   in Loop: Header=BB6_13186 Depth=3
	s_andn2_saveexec_b64 s[28:29], s[28:29]
; %bb.13630:                            ;   in Loop: Header=BB6_13186 Depth=3
	v_bfe_u32 v2, v0, 23, 1
; %bb.13631:                            ;   in Loop: Header=BB6_13186 Depth=3
	s_or_b64 exec, exec, s[28:29]
	v_lshrrev_b64 v[0:1], 21, v[0:1]
	v_cmp_gt_i32_e32 vcc, 32, v2
	v_cndmask_b32_e32 v1, 0, v1, vcc
	v_cndmask_b32_e32 v0, 3, v0, vcc
	v_cmp_eq_u64_e64 s[28:29], 0, v[0:1]
	v_min_i32_e32 v1, 31, v2
	v_lshlrev_b32_e32 v1, 2, v1
	v_cmp_eq_u32_e32 vcc, 0, v2
	v_and_b32_e32 v1, 0xfc, v1
	v_and_or_b32 v0, v0, 3, v1
	s_and_b64 s[28:29], vcc, s[28:29]
	v_cndmask_b32_e64 v0, v0, 0, s[28:29]
	v_or_b32_e32 v48, v0, v3
.LBB6_13632:                            ;   in Loop: Header=BB6_13186 Depth=3
	s_or_b64 exec, exec, s[36:37]
                                        ; implicit-def: $vgpr3
.LBB6_13633:                            ;   in Loop: Header=BB6_13186 Depth=3
	s_andn2_saveexec_b64 s[28:29], s[34:35]
; %bb.13634:                            ;   in Loop: Header=BB6_13186 Depth=3
	v_or_b32_e32 v48, 0x7b, v3
; %bb.13635:                            ;   in Loop: Header=BB6_13186 Depth=3
	s_or_b64 exec, exec, s[28:29]
                                        ; implicit-def: $vgpr2
                                        ; implicit-def: $vgpr0_vgpr1
.LBB6_13636:                            ;   in Loop: Header=BB6_13186 Depth=3
	s_andn2_saveexec_b64 s[28:29], s[30:31]
	s_cbranch_execz .LBB6_13642
; %bb.13637:                            ;   in Loop: Header=BB6_13186 Depth=3
	v_cmp_ne_u64_e32 vcc, 0, v[0:1]
                                        ; implicit-def: $vgpr48
	s_and_saveexec_b64 s[62:63], vcc
	s_xor_b64 vcc, exec, s[62:63]
; %bb.13638:                            ;   in Loop: Header=BB6_13186 Depth=3
	v_or_b32_sdwa v48, v2, s44 dst_sel:DWORD dst_unused:UNUSED_PAD src0_sel:BYTE_3 src1_sel:DWORD
                                        ; implicit-def: $vgpr2
; %bb.13639:                            ;   in Loop: Header=BB6_13186 Depth=3
	s_andn2_saveexec_b64 s[30:31], vcc
; %bb.13640:                            ;   in Loop: Header=BB6_13186 Depth=3
	v_cmp_lt_i32_e32 vcc, -1, v2
	v_bfrev_b32_e32 v0, 0.5
	v_mov_b32_e32 v1, 0x7c
	v_cndmask_b32_e32 v48, v0, v1, vcc
; %bb.13641:                            ;   in Loop: Header=BB6_13186 Depth=3
	s_or_b64 exec, exec, s[30:31]
.LBB6_13642:                            ;   in Loop: Header=BB6_13186 Depth=3
	s_or_b64 exec, exec, s[28:29]
	global_load_dwordx4 v[8:11], v[60:61], off offset:1024 glc slc
	v_mov_b32_e32 v0, 0
	s_waitcnt vmcnt(0)
	v_cmp_ne_u16_sdwa s[62:63], v8, v33 src0_sel:BYTE_0 src1_sel:DWORD
	s_and_saveexec_b64 s[28:29], s[62:63]
	s_cbranch_execz .LBB6_13650
; %bb.13643:                            ;   in Loop: Header=BB6_13186 Depth=3
	v_cmp_ne_u16_sdwa s[62:63], sext(v8), s46 src0_sel:BYTE_0 src1_sel:DWORD
	v_bfrev_b32_e32 v0, 1
	s_and_saveexec_b64 s[30:31], s[62:63]
	s_cbranch_execz .LBB6_13649
; %bb.13644:                            ;   in Loop: Header=BB6_13186 Depth=3
	v_and_b32_e32 v0, 0x7c, v8
	v_and_b32_e32 v1, 3, v8
	v_cmp_ne_u32_e32 vcc, s86, v0
                                        ; implicit-def: $vgpr0
	s_and_saveexec_b64 s[62:63], vcc
	s_xor_b64 s[34:35], exec, s[62:63]
	s_cbranch_execz .LBB6_13646
; %bb.13645:                            ;   in Loop: Header=BB6_13186 Depth=3
	v_ffbh_u32_e32 v2, v1
	v_min_u32_e32 v6, 32, v2
	v_subrev_u32_e32 v2, 29, v6
	v_lshlrev_b64 v[2:3], v2, v[8:9]
	v_bfe_u32 v0, v8, 2, 5
	v_and_b32_e32 v2, 3, v2
	v_cmp_eq_u32_e32 vcc, 0, v0
	v_sub_u32_e32 v3, 30, v6
	v_cndmask_b32_e32 v1, v1, v2, vcc
	v_lshlrev_b32_e32 v2, 24, v8
	v_cndmask_b32_e32 v0, v0, v3, vcc
	v_and_b32_e32 v2, 0x80000000, v2
	v_lshl_add_u32 v0, v0, 23, v2
	v_lshl_or_b32 v0, v1, 21, v0
	v_add_u32_e32 v0, 0x38000000, v0
                                        ; implicit-def: $vgpr1
.LBB6_13646:                            ;   in Loop: Header=BB6_13186 Depth=3
	s_andn2_saveexec_b64 s[34:35], s[34:35]
; %bb.13647:                            ;   in Loop: Header=BB6_13186 Depth=3
	v_mov_b32_e32 v0, -1
	v_cmp_gt_i16_sdwa vcc, sext(v8), v0 src0_sel:BYTE_0 src1_sel:DWORD
	v_mov_b32_e32 v0, 0xff800000
	v_mov_b32_e32 v2, 0x7f800000
	v_cndmask_b32_e32 v0, v0, v2, vcc
	v_cmp_eq_u32_e32 vcc, 0, v1
	v_mov_b32_e32 v1, 0x7f800001
	v_cndmask_b32_e32 v0, v1, v0, vcc
; %bb.13648:                            ;   in Loop: Header=BB6_13186 Depth=3
	s_or_b64 exec, exec, s[34:35]
.LBB6_13649:                            ;   in Loop: Header=BB6_13186 Depth=3
	s_or_b64 exec, exec, s[30:31]
.LBB6_13650:                            ;   in Loop: Header=BB6_13186 Depth=3
	s_or_b64 exec, exec, s[28:29]
	v_mul_f32_e32 v2, v12, v0
	v_and_b32_e32 v6, 0x7f800000, v2
	v_mov_b32_e32 v7, v33
	v_cmp_ne_u64_e32 vcc, s[76:77], v[6:7]
	v_and_b32_e32 v0, 0x7fffff, v2
	v_mov_b32_e32 v1, v33
                                        ; implicit-def: $vgpr40
	s_and_saveexec_b64 s[28:29], vcc
	s_xor_b64 s[30:31], exec, s[28:29]
	s_cbranch_execz .LBB6_13664
; %bb.13651:                            ;   in Loop: Header=BB6_13186 Depth=3
	v_and_b32_e32 v6, 0x7fffffff, v2
	v_mov_b32_e32 v7, v33
	v_cmp_gt_u64_e32 vcc, s[78:79], v[6:7]
	v_and_b32_sdwa v3, v2, s97 dst_sel:DWORD dst_unused:UNUSED_PAD src0_sel:BYTE_3 src1_sel:DWORD
                                        ; implicit-def: $vgpr40
	s_and_saveexec_b64 s[28:29], vcc
	s_xor_b64 s[34:35], exec, s[28:29]
	s_cbranch_execz .LBB6_13661
; %bb.13652:                            ;   in Loop: Header=BB6_13186 Depth=3
	v_mov_b32_e32 v40, 0
	v_cmp_ne_u32_e32 vcc, 0, v2
	s_and_saveexec_b64 s[36:37], vcc
	s_cbranch_execz .LBB6_13660
; %bb.13653:                            ;   in Loop: Header=BB6_13186 Depth=3
	v_bfe_u32 v6, v2, 23, 8
	v_cmp_gt_u32_e64 s[28:29], s47, v6
	v_sub_u32_e32 v2, 0x71, v6
	v_cmp_eq_u32_e32 vcc, 0, v6
	v_cndmask_b32_e64 v2, 0, v2, s[28:29]
	v_mov_b32_e32 v7, 0x70
	v_cndmask_b32_e32 v7, v2, v7, vcc
	v_or_b32_e32 v13, 0x800000, v0
	v_add_u32_e32 v2, 21, v7
	v_cndmask_b32_e32 v0, v13, v0, vcc
	v_lshlrev_b64 v[13:14], v2, -1
	v_add_u32_e32 v2, 20, v7
	v_bfi_b32 v13, v13, 0, v0
	v_lshlrev_b64 v[15:16], v2, 1
	v_lshrrev_b64 v[0:1], v7, v[0:1]
	v_bfi_b32 v14, v14, 0, 0
	v_cmp_eq_u64_e64 s[28:29], v[13:14], v[15:16]
	v_mov_b32_e32 v2, v1
	v_mov_b32_e32 v1, v0
	s_and_saveexec_b64 s[38:39], s[28:29]
; %bb.13654:                            ;   in Loop: Header=BB6_13186 Depth=3
	v_bfe_u32 v1, v0, 21, 1
	v_add_co_u32_e64 v1, s[28:29], v0, v1
	v_add_co_u32_e64 v1, s[28:29], -1, v1
; %bb.13655:                            ;   in Loop: Header=BB6_13186 Depth=3
	s_or_b64 exec, exec, s[38:39]
	v_add_u32_e32 v2, 0xffffff81, v6
	v_mov_b32_e32 v6, 0xffffff82
	v_cndmask_b32_e32 v2, v2, v6, vcc
	v_lshrrev_b32_e32 v6, 23, v0
	v_add3_u32 v7, v7, v2, v6
	v_add_u32_e32 v6, 14, v7
	v_and_b32_e32 v1, 0x1fffff, v1
	v_add_u32_e32 v0, v1, v0
	v_mov_b32_e32 v1, v33
	v_cmp_ne_u32_e32 vcc, 0, v6
                                        ; implicit-def: $vgpr2
	s_and_saveexec_b64 s[28:29], vcc
	s_xor_b64 s[28:29], exec, s[28:29]
; %bb.13656:                            ;   in Loop: Header=BB6_13186 Depth=3
	v_cmp_lt_u64_e32 vcc, s[88:89], v[0:1]
	v_add_u32_e32 v2, 15, v7
	v_cndmask_b32_e32 v2, v6, v2, vcc
	v_cndmask_b32_e64 v6, 0, 1, vcc
	v_lshrrev_b64 v[0:1], v6, v[0:1]
; %bb.13657:                            ;   in Loop: Header=BB6_13186 Depth=3
	s_andn2_saveexec_b64 s[28:29], s[28:29]
; %bb.13658:                            ;   in Loop: Header=BB6_13186 Depth=3
	v_bfe_u32 v2, v0, 23, 1
; %bb.13659:                            ;   in Loop: Header=BB6_13186 Depth=3
	s_or_b64 exec, exec, s[28:29]
	v_lshrrev_b64 v[0:1], 21, v[0:1]
	v_cmp_gt_i32_e32 vcc, 32, v2
	v_cndmask_b32_e32 v1, 0, v1, vcc
	v_cndmask_b32_e32 v0, 3, v0, vcc
	v_cmp_eq_u64_e64 s[28:29], 0, v[0:1]
	v_min_i32_e32 v1, 31, v2
	v_lshlrev_b32_e32 v1, 2, v1
	v_cmp_eq_u32_e32 vcc, 0, v2
	v_and_b32_e32 v1, 0xfc, v1
	v_and_or_b32 v0, v0, 3, v1
	s_and_b64 s[28:29], vcc, s[28:29]
	v_cndmask_b32_e64 v0, v0, 0, s[28:29]
	v_or_b32_e32 v40, v0, v3
.LBB6_13660:                            ;   in Loop: Header=BB6_13186 Depth=3
	s_or_b64 exec, exec, s[36:37]
                                        ; implicit-def: $vgpr3
.LBB6_13661:                            ;   in Loop: Header=BB6_13186 Depth=3
	s_andn2_saveexec_b64 s[28:29], s[34:35]
; %bb.13662:                            ;   in Loop: Header=BB6_13186 Depth=3
	v_or_b32_e32 v40, 0x7b, v3
; %bb.13663:                            ;   in Loop: Header=BB6_13186 Depth=3
	s_or_b64 exec, exec, s[28:29]
                                        ; implicit-def: $vgpr2
                                        ; implicit-def: $vgpr0_vgpr1
.LBB6_13664:                            ;   in Loop: Header=BB6_13186 Depth=3
	s_andn2_saveexec_b64 s[28:29], s[30:31]
	s_cbranch_execz .LBB6_13670
; %bb.13665:                            ;   in Loop: Header=BB6_13186 Depth=3
	v_cmp_ne_u64_e32 vcc, 0, v[0:1]
                                        ; implicit-def: $vgpr40
	s_and_saveexec_b64 s[62:63], vcc
	s_xor_b64 vcc, exec, s[62:63]
; %bb.13666:                            ;   in Loop: Header=BB6_13186 Depth=3
	v_or_b32_sdwa v40, v2, s44 dst_sel:DWORD dst_unused:UNUSED_PAD src0_sel:BYTE_3 src1_sel:DWORD
                                        ; implicit-def: $vgpr2
; %bb.13667:                            ;   in Loop: Header=BB6_13186 Depth=3
	s_andn2_saveexec_b64 s[30:31], vcc
; %bb.13668:                            ;   in Loop: Header=BB6_13186 Depth=3
	v_cmp_lt_i32_e32 vcc, -1, v2
	v_bfrev_b32_e32 v0, 0.5
	v_mov_b32_e32 v1, 0x7c
	v_cndmask_b32_e32 v40, v0, v1, vcc
; %bb.13669:                            ;   in Loop: Header=BB6_13186 Depth=3
	s_or_b64 exec, exec, s[30:31]
.LBB6_13670:                            ;   in Loop: Header=BB6_13186 Depth=3
	s_or_b64 exec, exec, s[28:29]
	v_lshrrev_b16_e32 v0, 8, v8
	v_cmp_ne_u16_e32 vcc, 0, v0
	v_mov_b32_e32 v1, 0
	s_and_saveexec_b64 s[28:29], vcc
	s_cbranch_execz .LBB6_13678
; %bb.13671:                            ;   in Loop: Header=BB6_13186 Depth=3
	v_cmp_ne_u16_e32 vcc, s97, v0
	v_bfrev_b32_e32 v1, 1
	s_and_saveexec_b64 s[30:31], vcc
	s_cbranch_execz .LBB6_13677
; %bb.13672:                            ;   in Loop: Header=BB6_13186 Depth=3
	v_and_b32_e32 v1, 0x7c, v0
	v_and_b32_e32 v2, 3, v0
	v_cmp_ne_u32_e32 vcc, s86, v1
                                        ; implicit-def: $vgpr1
	s_and_saveexec_b64 s[62:63], vcc
	s_xor_b64 s[34:35], exec, s[62:63]
	s_cbranch_execz .LBB6_13674
; %bb.13673:                            ;   in Loop: Header=BB6_13186 Depth=3
	v_ffbh_u32_e32 v6, v2
	v_min_u32_e32 v6, 32, v6
	v_mov_b32_e32 v1, v33
	v_subrev_u32_e32 v7, 29, v6
	v_bfe_u32 v3, v0, 2, 5
	v_lshlrev_b64 v[0:1], v7, v[0:1]
	v_cmp_eq_u32_e32 vcc, 0, v3
	v_and_b32_e32 v0, 3, v0
	v_sub_u32_e32 v1, 30, v6
	v_cndmask_b32_e32 v0, v2, v0, vcc
	v_lshlrev_b32_e32 v2, 16, v8
	v_cndmask_b32_e32 v1, v3, v1, vcc
	v_and_b32_e32 v2, 0x80000000, v2
	v_lshl_add_u32 v1, v1, 23, v2
	v_lshl_or_b32 v0, v0, 21, v1
	v_add_u32_e32 v1, 0x38000000, v0
                                        ; implicit-def: $vgpr2
.LBB6_13674:                            ;   in Loop: Header=BB6_13186 Depth=3
	s_andn2_saveexec_b64 s[34:35], s[34:35]
; %bb.13675:                            ;   in Loop: Header=BB6_13186 Depth=3
	v_cmp_lt_i16_e32 vcc, -1, v8
	v_mov_b32_e32 v0, 0xff800000
	v_mov_b32_e32 v1, 0x7f800000
	v_cndmask_b32_e32 v0, v0, v1, vcc
	v_cmp_eq_u32_e32 vcc, 0, v2
	v_mov_b32_e32 v1, 0x7f800001
	v_cndmask_b32_e32 v1, v1, v0, vcc
; %bb.13676:                            ;   in Loop: Header=BB6_13186 Depth=3
	s_or_b64 exec, exec, s[34:35]
.LBB6_13677:                            ;   in Loop: Header=BB6_13186 Depth=3
	s_or_b64 exec, exec, s[30:31]
.LBB6_13678:                            ;   in Loop: Header=BB6_13186 Depth=3
	s_or_b64 exec, exec, s[28:29]
	v_mul_f32_e32 v2, v12, v1
	v_and_b32_e32 v6, 0x7f800000, v2
	v_mov_b32_e32 v7, v33
	v_cmp_ne_u64_e32 vcc, s[76:77], v[6:7]
	v_and_b32_e32 v0, 0x7fffff, v2
	v_mov_b32_e32 v1, v33
                                        ; implicit-def: $vgpr3
                                        ; kill: killed $vgpr3
	s_and_saveexec_b64 s[28:29], vcc
	s_xor_b64 s[30:31], exec, s[28:29]
	s_cbranch_execz .LBB6_13692
; %bb.13679:                            ;   in Loop: Header=BB6_13186 Depth=3
	v_and_b32_e32 v6, 0x7fffffff, v2
	v_mov_b32_e32 v7, v33
	v_cmp_gt_u64_e32 vcc, s[78:79], v[6:7]
	v_and_b32_sdwa v3, v2, s97 dst_sel:DWORD dst_unused:UNUSED_PAD src0_sel:BYTE_3 src1_sel:DWORD
                                        ; implicit-def: $vgpr6
                                        ; kill: killed $vgpr6
	s_and_saveexec_b64 s[28:29], vcc
	s_xor_b64 s[34:35], exec, s[28:29]
	s_cbranch_execz .LBB6_13689
; %bb.13680:                            ;   in Loop: Header=BB6_13186 Depth=3
	v_mov_b32_e32 v6, 0
	v_cmp_ne_u32_e32 vcc, 0, v2
	buffer_store_dword v6, off, s[0:3], s33 offset:364 ; 4-byte Folded Spill
	s_and_saveexec_b64 s[36:37], vcc
	s_cbranch_execz .LBB6_13688
; %bb.13681:                            ;   in Loop: Header=BB6_13186 Depth=3
	v_bfe_u32 v6, v2, 23, 8
	v_cmp_gt_u32_e64 s[28:29], s47, v6
	v_sub_u32_e32 v2, 0x71, v6
	v_cmp_eq_u32_e32 vcc, 0, v6
	v_cndmask_b32_e64 v2, 0, v2, s[28:29]
	v_mov_b32_e32 v7, 0x70
	v_cndmask_b32_e32 v7, v2, v7, vcc
	v_or_b32_e32 v13, 0x800000, v0
	v_add_u32_e32 v2, 21, v7
	v_cndmask_b32_e32 v0, v13, v0, vcc
	v_lshlrev_b64 v[13:14], v2, -1
	v_add_u32_e32 v2, 20, v7
	v_bfi_b32 v13, v13, 0, v0
	v_lshlrev_b64 v[15:16], v2, 1
	v_lshrrev_b64 v[0:1], v7, v[0:1]
	v_bfi_b32 v14, v14, 0, 0
	v_cmp_eq_u64_e64 s[28:29], v[13:14], v[15:16]
	v_mov_b32_e32 v2, v1
	v_mov_b32_e32 v1, v0
	s_and_saveexec_b64 s[38:39], s[28:29]
; %bb.13682:                            ;   in Loop: Header=BB6_13186 Depth=3
	v_bfe_u32 v1, v0, 21, 1
	v_add_co_u32_e64 v1, s[28:29], v0, v1
	v_add_co_u32_e64 v1, s[28:29], -1, v1
; %bb.13683:                            ;   in Loop: Header=BB6_13186 Depth=3
	s_or_b64 exec, exec, s[38:39]
	v_add_u32_e32 v2, 0xffffff81, v6
	v_mov_b32_e32 v6, 0xffffff82
	v_cndmask_b32_e32 v2, v2, v6, vcc
	v_lshrrev_b32_e32 v6, 23, v0
	v_add3_u32 v7, v7, v2, v6
	v_add_u32_e32 v6, 14, v7
	v_and_b32_e32 v1, 0x1fffff, v1
	v_add_u32_e32 v0, v1, v0
	v_mov_b32_e32 v1, v33
	v_cmp_ne_u32_e32 vcc, 0, v6
                                        ; implicit-def: $vgpr2
	s_and_saveexec_b64 s[28:29], vcc
	s_xor_b64 s[28:29], exec, s[28:29]
; %bb.13684:                            ;   in Loop: Header=BB6_13186 Depth=3
	v_cmp_lt_u64_e32 vcc, s[88:89], v[0:1]
	v_add_u32_e32 v2, 15, v7
	v_cndmask_b32_e32 v2, v6, v2, vcc
	v_cndmask_b32_e64 v6, 0, 1, vcc
	v_lshrrev_b64 v[0:1], v6, v[0:1]
; %bb.13685:                            ;   in Loop: Header=BB6_13186 Depth=3
	s_andn2_saveexec_b64 s[28:29], s[28:29]
; %bb.13686:                            ;   in Loop: Header=BB6_13186 Depth=3
	v_bfe_u32 v2, v0, 23, 1
; %bb.13687:                            ;   in Loop: Header=BB6_13186 Depth=3
	s_or_b64 exec, exec, s[28:29]
	v_lshrrev_b64 v[0:1], 21, v[0:1]
	v_cmp_gt_i32_e32 vcc, 32, v2
	v_cndmask_b32_e32 v1, 0, v1, vcc
	v_cndmask_b32_e32 v0, 3, v0, vcc
	v_cmp_eq_u64_e64 s[28:29], 0, v[0:1]
	v_min_i32_e32 v1, 31, v2
	v_lshlrev_b32_e32 v1, 2, v1
	v_cmp_eq_u32_e32 vcc, 0, v2
	v_and_b32_e32 v1, 0xfc, v1
	v_and_or_b32 v0, v0, 3, v1
	s_and_b64 s[28:29], vcc, s[28:29]
	v_cndmask_b32_e64 v0, v0, 0, s[28:29]
	v_or_b32_e32 v0, v0, v3
	buffer_store_dword v0, off, s[0:3], s33 offset:364 ; 4-byte Folded Spill
.LBB6_13688:                            ;   in Loop: Header=BB6_13186 Depth=3
	s_or_b64 exec, exec, s[36:37]
                                        ; implicit-def: $vgpr3
.LBB6_13689:                            ;   in Loop: Header=BB6_13186 Depth=3
	s_andn2_saveexec_b64 s[28:29], s[34:35]
	s_cbranch_execz .LBB6_13691
; %bb.13690:                            ;   in Loop: Header=BB6_13186 Depth=3
	v_or_b32_e32 v0, 0x7b, v3
	buffer_store_dword v0, off, s[0:3], s33 offset:364 ; 4-byte Folded Spill
.LBB6_13691:                            ;   in Loop: Header=BB6_13186 Depth=3
	s_or_b64 exec, exec, s[28:29]
                                        ; implicit-def: $vgpr2
                                        ; implicit-def: $vgpr0_vgpr1
.LBB6_13692:                            ;   in Loop: Header=BB6_13186 Depth=3
	s_andn2_saveexec_b64 s[28:29], s[30:31]
	s_cbranch_execz .LBB6_13698
; %bb.13693:                            ;   in Loop: Header=BB6_13186 Depth=3
	v_cmp_ne_u64_e32 vcc, 0, v[0:1]
                                        ; implicit-def: $vgpr0
                                        ; kill: killed $vgpr0
	s_and_saveexec_b64 s[62:63], vcc
	s_xor_b64 vcc, exec, s[62:63]
	s_cbranch_execz .LBB6_13695
; %bb.13694:                            ;   in Loop: Header=BB6_13186 Depth=3
	v_or_b32_sdwa v0, v2, s44 dst_sel:DWORD dst_unused:UNUSED_PAD src0_sel:BYTE_3 src1_sel:DWORD
	buffer_store_dword v0, off, s[0:3], s33 offset:364 ; 4-byte Folded Spill
                                        ; implicit-def: $vgpr2
.LBB6_13695:                            ;   in Loop: Header=BB6_13186 Depth=3
	s_andn2_saveexec_b64 s[30:31], vcc
	s_cbranch_execz .LBB6_13697
; %bb.13696:                            ;   in Loop: Header=BB6_13186 Depth=3
	v_cmp_lt_i32_e32 vcc, -1, v2
	v_bfrev_b32_e32 v0, 0.5
	v_mov_b32_e32 v1, 0x7c
	v_cndmask_b32_e32 v0, v0, v1, vcc
	buffer_store_dword v0, off, s[0:3], s33 offset:364 ; 4-byte Folded Spill
.LBB6_13697:                            ;   in Loop: Header=BB6_13186 Depth=3
	s_or_b64 exec, exec, s[30:31]
.LBB6_13698:                            ;   in Loop: Header=BB6_13186 Depth=3
	s_or_b64 exec, exec, s[28:29]
	v_lshrrev_b32_e32 v0, 16, v8
	v_cmp_ne_u16_sdwa s[62:63], v0, v33 src0_sel:BYTE_0 src1_sel:DWORD
	v_mov_b32_e32 v1, 0
	s_and_saveexec_b64 s[28:29], s[62:63]
	s_cbranch_execz .LBB6_13706
; %bb.13699:                            ;   in Loop: Header=BB6_13186 Depth=3
	v_cmp_ne_u16_sdwa s[62:63], v0, s97 src0_sel:BYTE_0 src1_sel:DWORD
	v_bfrev_b32_e32 v1, 1
	s_and_saveexec_b64 s[30:31], s[62:63]
	s_cbranch_execz .LBB6_13705
; %bb.13700:                            ;   in Loop: Header=BB6_13186 Depth=3
	v_and_b32_e32 v1, 0x7c0000, v8
	v_bfe_u32 v2, v8, 16, 2
	v_cmp_ne_u32_e32 vcc, s45, v1
                                        ; implicit-def: $vgpr1
	s_and_saveexec_b64 s[62:63], vcc
	s_xor_b64 s[34:35], exec, s[62:63]
	s_cbranch_execz .LBB6_13702
; %bb.13701:                            ;   in Loop: Header=BB6_13186 Depth=3
	v_ffbh_u32_e32 v1, v2
	v_min_u32_e32 v6, 32, v1
	v_subrev_u32_e32 v1, 29, v6
	v_lshlrev_b64 v[0:1], v1, v[0:1]
	v_bfe_u32 v3, v8, 18, 5
	v_and_b32_e32 v0, 3, v0
	v_cmp_eq_u32_e32 vcc, 0, v3
	v_sub_u32_e32 v1, 30, v6
	v_cndmask_b32_e32 v0, v2, v0, vcc
	v_lshlrev_b32_e32 v2, 8, v8
	v_cndmask_b32_e32 v1, v3, v1, vcc
	v_and_b32_e32 v2, 0x80000000, v2
	v_lshl_add_u32 v1, v1, 23, v2
	v_lshl_or_b32 v0, v0, 21, v1
	v_add_u32_e32 v1, 0x38000000, v0
                                        ; implicit-def: $vgpr2
                                        ; implicit-def: $vgpr0
.LBB6_13702:                            ;   in Loop: Header=BB6_13186 Depth=3
	s_andn2_saveexec_b64 s[34:35], s[34:35]
; %bb.13703:                            ;   in Loop: Header=BB6_13186 Depth=3
	v_mov_b32_e32 v1, -1
	v_cmp_gt_i16_sdwa vcc, sext(v0), v1 src0_sel:BYTE_0 src1_sel:DWORD
	v_mov_b32_e32 v0, 0xff800000
	v_mov_b32_e32 v1, 0x7f800000
	v_cndmask_b32_e32 v0, v0, v1, vcc
	v_cmp_eq_u32_e32 vcc, 0, v2
	v_mov_b32_e32 v1, 0x7f800001
	v_cndmask_b32_e32 v1, v1, v0, vcc
; %bb.13704:                            ;   in Loop: Header=BB6_13186 Depth=3
	s_or_b64 exec, exec, s[34:35]
.LBB6_13705:                            ;   in Loop: Header=BB6_13186 Depth=3
	s_or_b64 exec, exec, s[30:31]
.LBB6_13706:                            ;   in Loop: Header=BB6_13186 Depth=3
	s_or_b64 exec, exec, s[28:29]
	v_mul_f32_e32 v2, v12, v1
	v_and_b32_e32 v6, 0x7f800000, v2
	v_mov_b32_e32 v7, v33
	v_cmp_ne_u64_e32 vcc, s[76:77], v[6:7]
	v_and_b32_e32 v0, 0x7fffff, v2
	v_mov_b32_e32 v1, v33
                                        ; implicit-def: $vgpr3
                                        ; kill: killed $vgpr3
	s_and_saveexec_b64 s[28:29], vcc
	s_xor_b64 s[30:31], exec, s[28:29]
	s_cbranch_execz .LBB6_13720
; %bb.13707:                            ;   in Loop: Header=BB6_13186 Depth=3
	v_and_b32_e32 v6, 0x7fffffff, v2
	v_mov_b32_e32 v7, v33
	v_cmp_gt_u64_e32 vcc, s[78:79], v[6:7]
	v_and_b32_sdwa v3, v2, s97 dst_sel:DWORD dst_unused:UNUSED_PAD src0_sel:BYTE_3 src1_sel:DWORD
                                        ; implicit-def: $vgpr6
                                        ; kill: killed $vgpr6
	s_and_saveexec_b64 s[28:29], vcc
	s_xor_b64 s[34:35], exec, s[28:29]
	s_cbranch_execz .LBB6_13717
; %bb.13708:                            ;   in Loop: Header=BB6_13186 Depth=3
	v_mov_b32_e32 v6, 0
	v_cmp_ne_u32_e32 vcc, 0, v2
	buffer_store_dword v6, off, s[0:3], s33 offset:376 ; 4-byte Folded Spill
	s_and_saveexec_b64 s[36:37], vcc
	s_cbranch_execz .LBB6_13716
; %bb.13709:                            ;   in Loop: Header=BB6_13186 Depth=3
	v_bfe_u32 v6, v2, 23, 8
	v_cmp_gt_u32_e64 s[28:29], s47, v6
	v_sub_u32_e32 v2, 0x71, v6
	v_cmp_eq_u32_e32 vcc, 0, v6
	v_cndmask_b32_e64 v2, 0, v2, s[28:29]
	v_mov_b32_e32 v7, 0x70
	v_cndmask_b32_e32 v7, v2, v7, vcc
	v_or_b32_e32 v13, 0x800000, v0
	v_add_u32_e32 v2, 21, v7
	v_cndmask_b32_e32 v0, v13, v0, vcc
	v_lshlrev_b64 v[13:14], v2, -1
	v_add_u32_e32 v2, 20, v7
	v_bfi_b32 v13, v13, 0, v0
	v_lshlrev_b64 v[15:16], v2, 1
	v_lshrrev_b64 v[0:1], v7, v[0:1]
	v_bfi_b32 v14, v14, 0, 0
	v_cmp_eq_u64_e64 s[28:29], v[13:14], v[15:16]
	v_mov_b32_e32 v2, v1
	v_mov_b32_e32 v1, v0
	s_and_saveexec_b64 s[38:39], s[28:29]
; %bb.13710:                            ;   in Loop: Header=BB6_13186 Depth=3
	v_bfe_u32 v1, v0, 21, 1
	v_add_co_u32_e64 v1, s[28:29], v0, v1
	v_add_co_u32_e64 v1, s[28:29], -1, v1
; %bb.13711:                            ;   in Loop: Header=BB6_13186 Depth=3
	s_or_b64 exec, exec, s[38:39]
	v_add_u32_e32 v2, 0xffffff81, v6
	v_mov_b32_e32 v6, 0xffffff82
	v_cndmask_b32_e32 v2, v2, v6, vcc
	v_lshrrev_b32_e32 v6, 23, v0
	v_add3_u32 v7, v7, v2, v6
	v_add_u32_e32 v6, 14, v7
	v_and_b32_e32 v1, 0x1fffff, v1
	v_add_u32_e32 v0, v1, v0
	v_mov_b32_e32 v1, v33
	v_cmp_ne_u32_e32 vcc, 0, v6
                                        ; implicit-def: $vgpr2
	s_and_saveexec_b64 s[28:29], vcc
	s_xor_b64 s[28:29], exec, s[28:29]
; %bb.13712:                            ;   in Loop: Header=BB6_13186 Depth=3
	v_cmp_lt_u64_e32 vcc, s[88:89], v[0:1]
	v_add_u32_e32 v2, 15, v7
	v_cndmask_b32_e32 v2, v6, v2, vcc
	v_cndmask_b32_e64 v6, 0, 1, vcc
	v_lshrrev_b64 v[0:1], v6, v[0:1]
; %bb.13713:                            ;   in Loop: Header=BB6_13186 Depth=3
	s_andn2_saveexec_b64 s[28:29], s[28:29]
; %bb.13714:                            ;   in Loop: Header=BB6_13186 Depth=3
	v_bfe_u32 v2, v0, 23, 1
; %bb.13715:                            ;   in Loop: Header=BB6_13186 Depth=3
	s_or_b64 exec, exec, s[28:29]
	v_lshrrev_b64 v[0:1], 21, v[0:1]
	v_cmp_gt_i32_e32 vcc, 32, v2
	v_cndmask_b32_e32 v1, 0, v1, vcc
	v_cndmask_b32_e32 v0, 3, v0, vcc
	v_cmp_eq_u64_e64 s[28:29], 0, v[0:1]
	v_min_i32_e32 v1, 31, v2
	v_lshlrev_b32_e32 v1, 2, v1
	v_cmp_eq_u32_e32 vcc, 0, v2
	v_and_b32_e32 v1, 0xfc, v1
	v_and_or_b32 v0, v0, 3, v1
	s_and_b64 s[28:29], vcc, s[28:29]
	v_cndmask_b32_e64 v0, v0, 0, s[28:29]
	v_or_b32_e32 v0, v0, v3
	buffer_store_dword v0, off, s[0:3], s33 offset:376 ; 4-byte Folded Spill
.LBB6_13716:                            ;   in Loop: Header=BB6_13186 Depth=3
	s_or_b64 exec, exec, s[36:37]
                                        ; implicit-def: $vgpr3
.LBB6_13717:                            ;   in Loop: Header=BB6_13186 Depth=3
	s_andn2_saveexec_b64 s[28:29], s[34:35]
	s_cbranch_execz .LBB6_13719
; %bb.13718:                            ;   in Loop: Header=BB6_13186 Depth=3
	v_or_b32_e32 v0, 0x7b, v3
	buffer_store_dword v0, off, s[0:3], s33 offset:376 ; 4-byte Folded Spill
.LBB6_13719:                            ;   in Loop: Header=BB6_13186 Depth=3
	s_or_b64 exec, exec, s[28:29]
                                        ; implicit-def: $vgpr2
                                        ; implicit-def: $vgpr0_vgpr1
.LBB6_13720:                            ;   in Loop: Header=BB6_13186 Depth=3
	s_andn2_saveexec_b64 s[28:29], s[30:31]
	s_cbranch_execz .LBB6_13726
; %bb.13721:                            ;   in Loop: Header=BB6_13186 Depth=3
	v_cmp_ne_u64_e32 vcc, 0, v[0:1]
                                        ; implicit-def: $vgpr0
                                        ; kill: killed $vgpr0
	s_and_saveexec_b64 s[62:63], vcc
	s_xor_b64 vcc, exec, s[62:63]
	s_cbranch_execz .LBB6_13723
; %bb.13722:                            ;   in Loop: Header=BB6_13186 Depth=3
	v_or_b32_sdwa v0, v2, s44 dst_sel:DWORD dst_unused:UNUSED_PAD src0_sel:BYTE_3 src1_sel:DWORD
	buffer_store_dword v0, off, s[0:3], s33 offset:376 ; 4-byte Folded Spill
                                        ; implicit-def: $vgpr2
.LBB6_13723:                            ;   in Loop: Header=BB6_13186 Depth=3
	s_andn2_saveexec_b64 s[30:31], vcc
	s_cbranch_execz .LBB6_13725
; %bb.13724:                            ;   in Loop: Header=BB6_13186 Depth=3
	v_cmp_lt_i32_e32 vcc, -1, v2
	v_bfrev_b32_e32 v0, 0.5
	v_mov_b32_e32 v1, 0x7c
	v_cndmask_b32_e32 v0, v0, v1, vcc
	buffer_store_dword v0, off, s[0:3], s33 offset:376 ; 4-byte Folded Spill
.LBB6_13725:                            ;   in Loop: Header=BB6_13186 Depth=3
	s_or_b64 exec, exec, s[30:31]
.LBB6_13726:                            ;   in Loop: Header=BB6_13186 Depth=3
	s_or_b64 exec, exec, s[28:29]
	v_cmp_lt_u32_e32 vcc, s57, v8
	v_mov_b32_e32 v1, 0
	s_and_saveexec_b64 s[28:29], vcc
	s_cbranch_execz .LBB6_13734
; %bb.13727:                            ;   in Loop: Header=BB6_13186 Depth=3
	v_lshrrev_b32_e32 v0, 24, v8
	v_cmp_ne_u32_e32 vcc, s97, v0
	v_bfrev_b32_e32 v1, 1
	s_and_saveexec_b64 s[30:31], vcc
	s_cbranch_execz .LBB6_13733
; %bb.13728:                            ;   in Loop: Header=BB6_13186 Depth=3
	v_and_b32_e32 v1, 0x7c000000, v8
	v_bfe_u32 v2, v8, 24, 2
	v_cmp_ne_u32_e32 vcc, s68, v1
                                        ; implicit-def: $vgpr1
	s_and_saveexec_b64 s[62:63], vcc
	s_xor_b64 s[34:35], exec, s[62:63]
	s_cbranch_execz .LBB6_13730
; %bb.13729:                            ;   in Loop: Header=BB6_13186 Depth=3
	v_ffbh_u32_e32 v1, v2
	v_min_u32_e32 v6, 32, v1
	v_subrev_u32_e32 v1, 29, v6
	v_lshlrev_b64 v[0:1], v1, v[0:1]
	v_bfe_u32 v3, v8, 26, 5
	v_sub_u32_e32 v1, 30, v6
	v_and_b32_e32 v0, 3, v0
	v_cmp_eq_u32_e32 vcc, 0, v3
	v_cndmask_b32_e32 v1, v3, v1, vcc
	v_cndmask_b32_e32 v0, v2, v0, vcc
	v_and_b32_e32 v2, 0x80000000, v8
	v_lshl_add_u32 v1, v1, 23, v2
	v_lshl_or_b32 v0, v0, 21, v1
	v_add_u32_e32 v1, 0x38000000, v0
                                        ; implicit-def: $vgpr2
.LBB6_13730:                            ;   in Loop: Header=BB6_13186 Depth=3
	s_andn2_saveexec_b64 s[34:35], s[34:35]
; %bb.13731:                            ;   in Loop: Header=BB6_13186 Depth=3
	v_cmp_lt_i32_e32 vcc, -1, v8
	v_mov_b32_e32 v0, 0xff800000
	v_mov_b32_e32 v1, 0x7f800000
	v_cndmask_b32_e32 v0, v0, v1, vcc
	v_cmp_eq_u32_e32 vcc, 0, v2
	v_mov_b32_e32 v1, 0x7f800001
	v_cndmask_b32_e32 v1, v1, v0, vcc
; %bb.13732:                            ;   in Loop: Header=BB6_13186 Depth=3
	s_or_b64 exec, exec, s[34:35]
.LBB6_13733:                            ;   in Loop: Header=BB6_13186 Depth=3
	s_or_b64 exec, exec, s[30:31]
.LBB6_13734:                            ;   in Loop: Header=BB6_13186 Depth=3
	s_or_b64 exec, exec, s[28:29]
	v_mul_f32_e32 v2, v12, v1
	v_and_b32_e32 v6, 0x7f800000, v2
	v_mov_b32_e32 v7, v33
	v_cmp_ne_u64_e32 vcc, s[76:77], v[6:7]
	v_and_b32_e32 v0, 0x7fffff, v2
	v_mov_b32_e32 v1, v33
                                        ; implicit-def: $vgpr3
                                        ; kill: killed $vgpr3
	s_and_saveexec_b64 s[28:29], vcc
	s_xor_b64 s[30:31], exec, s[28:29]
	s_cbranch_execz .LBB6_13748
; %bb.13735:                            ;   in Loop: Header=BB6_13186 Depth=3
	v_and_b32_e32 v6, 0x7fffffff, v2
	v_mov_b32_e32 v7, v33
	v_cmp_gt_u64_e32 vcc, s[78:79], v[6:7]
	v_and_b32_sdwa v3, v2, s97 dst_sel:DWORD dst_unused:UNUSED_PAD src0_sel:BYTE_3 src1_sel:DWORD
                                        ; implicit-def: $vgpr6
                                        ; kill: killed $vgpr6
	s_and_saveexec_b64 s[28:29], vcc
	s_xor_b64 s[34:35], exec, s[28:29]
	s_cbranch_execz .LBB6_13745
; %bb.13736:                            ;   in Loop: Header=BB6_13186 Depth=3
	v_mov_b32_e32 v6, 0
	v_cmp_ne_u32_e32 vcc, 0, v2
	buffer_store_dword v6, off, s[0:3], s33 offset:384 ; 4-byte Folded Spill
	s_and_saveexec_b64 s[36:37], vcc
	s_cbranch_execz .LBB6_13744
; %bb.13737:                            ;   in Loop: Header=BB6_13186 Depth=3
	v_bfe_u32 v6, v2, 23, 8
	v_cmp_gt_u32_e64 s[28:29], s47, v6
	v_sub_u32_e32 v2, 0x71, v6
	v_cmp_eq_u32_e32 vcc, 0, v6
	v_cndmask_b32_e64 v2, 0, v2, s[28:29]
	v_mov_b32_e32 v7, 0x70
	v_cndmask_b32_e32 v7, v2, v7, vcc
	v_or_b32_e32 v13, 0x800000, v0
	v_add_u32_e32 v2, 21, v7
	v_cndmask_b32_e32 v0, v13, v0, vcc
	v_lshlrev_b64 v[13:14], v2, -1
	v_add_u32_e32 v2, 20, v7
	v_bfi_b32 v13, v13, 0, v0
	v_lshlrev_b64 v[15:16], v2, 1
	v_lshrrev_b64 v[0:1], v7, v[0:1]
	v_bfi_b32 v14, v14, 0, 0
	v_cmp_eq_u64_e64 s[28:29], v[13:14], v[15:16]
	v_mov_b32_e32 v2, v1
	v_mov_b32_e32 v1, v0
	s_and_saveexec_b64 s[38:39], s[28:29]
; %bb.13738:                            ;   in Loop: Header=BB6_13186 Depth=3
	v_bfe_u32 v1, v0, 21, 1
	v_add_co_u32_e64 v1, s[28:29], v0, v1
	v_add_co_u32_e64 v1, s[28:29], -1, v1
; %bb.13739:                            ;   in Loop: Header=BB6_13186 Depth=3
	s_or_b64 exec, exec, s[38:39]
	v_add_u32_e32 v2, 0xffffff81, v6
	v_mov_b32_e32 v6, 0xffffff82
	v_cndmask_b32_e32 v2, v2, v6, vcc
	v_lshrrev_b32_e32 v6, 23, v0
	v_add3_u32 v7, v7, v2, v6
	v_add_u32_e32 v6, 14, v7
	v_and_b32_e32 v1, 0x1fffff, v1
	v_add_u32_e32 v0, v1, v0
	v_mov_b32_e32 v1, v33
	v_cmp_ne_u32_e32 vcc, 0, v6
                                        ; implicit-def: $vgpr2
	s_and_saveexec_b64 s[28:29], vcc
	s_xor_b64 s[28:29], exec, s[28:29]
; %bb.13740:                            ;   in Loop: Header=BB6_13186 Depth=3
	v_cmp_lt_u64_e32 vcc, s[88:89], v[0:1]
	v_add_u32_e32 v2, 15, v7
	v_cndmask_b32_e32 v2, v6, v2, vcc
	v_cndmask_b32_e64 v6, 0, 1, vcc
	v_lshrrev_b64 v[0:1], v6, v[0:1]
; %bb.13741:                            ;   in Loop: Header=BB6_13186 Depth=3
	s_andn2_saveexec_b64 s[28:29], s[28:29]
; %bb.13742:                            ;   in Loop: Header=BB6_13186 Depth=3
	v_bfe_u32 v2, v0, 23, 1
; %bb.13743:                            ;   in Loop: Header=BB6_13186 Depth=3
	s_or_b64 exec, exec, s[28:29]
	v_lshrrev_b64 v[0:1], 21, v[0:1]
	v_cmp_gt_i32_e32 vcc, 32, v2
	v_cndmask_b32_e32 v1, 0, v1, vcc
	v_cndmask_b32_e32 v0, 3, v0, vcc
	v_cmp_eq_u64_e64 s[28:29], 0, v[0:1]
	v_min_i32_e32 v1, 31, v2
	v_lshlrev_b32_e32 v1, 2, v1
	v_cmp_eq_u32_e32 vcc, 0, v2
	v_and_b32_e32 v1, 0xfc, v1
	v_and_or_b32 v0, v0, 3, v1
	s_and_b64 s[28:29], vcc, s[28:29]
	v_cndmask_b32_e64 v0, v0, 0, s[28:29]
	v_or_b32_e32 v0, v0, v3
	buffer_store_dword v0, off, s[0:3], s33 offset:384 ; 4-byte Folded Spill
.LBB6_13744:                            ;   in Loop: Header=BB6_13186 Depth=3
	s_or_b64 exec, exec, s[36:37]
                                        ; implicit-def: $vgpr3
.LBB6_13745:                            ;   in Loop: Header=BB6_13186 Depth=3
	s_andn2_saveexec_b64 s[28:29], s[34:35]
	s_cbranch_execz .LBB6_13747
; %bb.13746:                            ;   in Loop: Header=BB6_13186 Depth=3
	v_or_b32_e32 v0, 0x7b, v3
	buffer_store_dword v0, off, s[0:3], s33 offset:384 ; 4-byte Folded Spill
.LBB6_13747:                            ;   in Loop: Header=BB6_13186 Depth=3
	s_or_b64 exec, exec, s[28:29]
                                        ; implicit-def: $vgpr2
                                        ; implicit-def: $vgpr0_vgpr1
.LBB6_13748:                            ;   in Loop: Header=BB6_13186 Depth=3
	s_andn2_saveexec_b64 s[28:29], s[30:31]
	s_cbranch_execz .LBB6_13754
; %bb.13749:                            ;   in Loop: Header=BB6_13186 Depth=3
	v_cmp_ne_u64_e32 vcc, 0, v[0:1]
                                        ; implicit-def: $vgpr0
                                        ; kill: killed $vgpr0
	s_and_saveexec_b64 s[62:63], vcc
	s_xor_b64 vcc, exec, s[62:63]
	s_cbranch_execz .LBB6_13751
; %bb.13750:                            ;   in Loop: Header=BB6_13186 Depth=3
	v_or_b32_sdwa v0, v2, s44 dst_sel:DWORD dst_unused:UNUSED_PAD src0_sel:BYTE_3 src1_sel:DWORD
	buffer_store_dword v0, off, s[0:3], s33 offset:384 ; 4-byte Folded Spill
                                        ; implicit-def: $vgpr2
.LBB6_13751:                            ;   in Loop: Header=BB6_13186 Depth=3
	s_andn2_saveexec_b64 s[30:31], vcc
	s_cbranch_execz .LBB6_13753
; %bb.13752:                            ;   in Loop: Header=BB6_13186 Depth=3
	v_cmp_lt_i32_e32 vcc, -1, v2
	v_bfrev_b32_e32 v0, 0.5
	v_mov_b32_e32 v1, 0x7c
	v_cndmask_b32_e32 v0, v0, v1, vcc
	buffer_store_dword v0, off, s[0:3], s33 offset:384 ; 4-byte Folded Spill
.LBB6_13753:                            ;   in Loop: Header=BB6_13186 Depth=3
	s_or_b64 exec, exec, s[30:31]
.LBB6_13754:                            ;   in Loop: Header=BB6_13186 Depth=3
	s_or_b64 exec, exec, s[28:29]
	v_mov_b32_e32 v0, v9
	v_mov_b32_e32 v1, v33
	v_cmp_ne_u16_sdwa s[62:63], v9, v33 src0_sel:BYTE_0 src1_sel:DWORD
	v_mov_b32_e32 v2, 0
	s_and_saveexec_b64 s[28:29], s[62:63]
	s_cbranch_execz .LBB6_13762
; %bb.13755:                            ;   in Loop: Header=BB6_13186 Depth=3
	v_cmp_ne_u16_sdwa s[62:63], v9, s97 src0_sel:BYTE_0 src1_sel:DWORD
	v_bfrev_b32_e32 v2, 1
	s_and_saveexec_b64 s[30:31], s[62:63]
	s_cbranch_execz .LBB6_13761
; %bb.13756:                            ;   in Loop: Header=BB6_13186 Depth=3
	v_and_b32_e32 v2, 0x7c, v9
	v_and_b32_e32 v3, 3, v9
	v_cmp_ne_u32_e32 vcc, s86, v2
                                        ; implicit-def: $vgpr2
	s_and_saveexec_b64 s[62:63], vcc
	s_xor_b64 s[34:35], exec, s[62:63]
	s_cbranch_execz .LBB6_13758
; %bb.13757:                            ;   in Loop: Header=BB6_13186 Depth=3
	v_ffbh_u32_e32 v2, v3
	v_min_u32_e32 v7, 32, v2
	v_subrev_u32_e32 v2, 29, v7
	v_lshlrev_b64 v[1:2], v2, v[0:1]
	v_bfe_u32 v6, v9, 2, 5
	v_and_b32_e32 v1, 3, v1
	v_cmp_eq_u32_e32 vcc, 0, v6
	v_sub_u32_e32 v2, 30, v7
	v_cndmask_b32_e32 v1, v3, v1, vcc
	v_lshlrev_b32_e32 v3, 24, v9
	v_cndmask_b32_e32 v2, v6, v2, vcc
	v_and_b32_e32 v3, 0x80000000, v3
	v_lshl_add_u32 v2, v2, 23, v3
	v_lshl_or_b32 v1, v1, 21, v2
	v_add_u32_e32 v2, 0x38000000, v1
                                        ; implicit-def: $vgpr3
.LBB6_13758:                            ;   in Loop: Header=BB6_13186 Depth=3
	s_andn2_saveexec_b64 s[34:35], s[34:35]
; %bb.13759:                            ;   in Loop: Header=BB6_13186 Depth=3
	v_mov_b32_e32 v1, -1
	v_cmp_gt_i16_sdwa vcc, sext(v9), v1 src0_sel:BYTE_0 src1_sel:DWORD
	v_mov_b32_e32 v1, 0xff800000
	v_mov_b32_e32 v2, 0x7f800000
	v_cndmask_b32_e32 v1, v1, v2, vcc
	v_cmp_eq_u32_e32 vcc, 0, v3
	v_mov_b32_e32 v2, 0x7f800001
	v_cndmask_b32_e32 v2, v2, v1, vcc
; %bb.13760:                            ;   in Loop: Header=BB6_13186 Depth=3
	s_or_b64 exec, exec, s[34:35]
.LBB6_13761:                            ;   in Loop: Header=BB6_13186 Depth=3
	s_or_b64 exec, exec, s[30:31]
.LBB6_13762:                            ;   in Loop: Header=BB6_13186 Depth=3
	s_or_b64 exec, exec, s[28:29]
	v_mul_f32_e32 v3, v12, v2
	v_and_b32_e32 v6, 0x7f800000, v3
	v_mov_b32_e32 v7, v33
	v_cmp_ne_u64_e32 vcc, s[76:77], v[6:7]
	v_and_b32_e32 v1, 0x7fffff, v3
	v_mov_b32_e32 v2, v33
                                        ; implicit-def: $vgpr49
	s_and_saveexec_b64 s[28:29], vcc
	s_xor_b64 s[30:31], exec, s[28:29]
	s_cbranch_execz .LBB6_13776
; %bb.13763:                            ;   in Loop: Header=BB6_13186 Depth=3
	v_and_b32_e32 v6, 0x7fffffff, v3
	v_mov_b32_e32 v7, v33
	v_cmp_gt_u64_e32 vcc, s[78:79], v[6:7]
	v_and_b32_sdwa v6, v3, s97 dst_sel:DWORD dst_unused:UNUSED_PAD src0_sel:BYTE_3 src1_sel:DWORD
                                        ; implicit-def: $vgpr49
	s_and_saveexec_b64 s[28:29], vcc
	s_xor_b64 s[34:35], exec, s[28:29]
	s_cbranch_execz .LBB6_13773
; %bb.13764:                            ;   in Loop: Header=BB6_13186 Depth=3
	v_mov_b32_e32 v49, 0
	v_cmp_ne_u32_e32 vcc, 0, v3
	s_and_saveexec_b64 s[36:37], vcc
	s_cbranch_execz .LBB6_13772
; %bb.13765:                            ;   in Loop: Header=BB6_13186 Depth=3
	v_bfe_u32 v7, v3, 23, 8
	v_cmp_gt_u32_e64 s[28:29], s47, v7
	v_sub_u32_e32 v3, 0x71, v7
	v_cmp_eq_u32_e32 vcc, 0, v7
	v_cndmask_b32_e64 v3, 0, v3, s[28:29]
	v_mov_b32_e32 v13, 0x70
	v_cndmask_b32_e32 v13, v3, v13, vcc
	v_or_b32_e32 v14, 0x800000, v1
	v_add_u32_e32 v3, 21, v13
	v_cndmask_b32_e32 v1, v14, v1, vcc
	v_lshlrev_b64 v[14:15], v3, -1
	v_add_u32_e32 v3, 20, v13
	v_bfi_b32 v14, v14, 0, v1
	v_lshlrev_b64 v[16:17], v3, 1
	v_lshrrev_b64 v[1:2], v13, v[1:2]
	v_bfi_b32 v15, v15, 0, 0
	v_cmp_eq_u64_e64 s[28:29], v[14:15], v[16:17]
	v_mov_b32_e32 v3, v2
	v_mov_b32_e32 v2, v1
	s_and_saveexec_b64 s[38:39], s[28:29]
; %bb.13766:                            ;   in Loop: Header=BB6_13186 Depth=3
	v_bfe_u32 v2, v1, 21, 1
	v_add_co_u32_e64 v2, s[28:29], v1, v2
	v_add_co_u32_e64 v2, s[28:29], -1, v2
; %bb.13767:                            ;   in Loop: Header=BB6_13186 Depth=3
	s_or_b64 exec, exec, s[38:39]
	v_add_u32_e32 v3, 0xffffff81, v7
	v_mov_b32_e32 v7, 0xffffff82
	v_cndmask_b32_e32 v3, v3, v7, vcc
	v_lshrrev_b32_e32 v7, 23, v1
	v_add3_u32 v13, v13, v3, v7
	v_add_u32_e32 v7, 14, v13
	v_and_b32_e32 v2, 0x1fffff, v2
	v_add_u32_e32 v1, v2, v1
	v_mov_b32_e32 v2, v33
	v_cmp_ne_u32_e32 vcc, 0, v7
                                        ; implicit-def: $vgpr3
	s_and_saveexec_b64 s[28:29], vcc
	s_xor_b64 s[28:29], exec, s[28:29]
; %bb.13768:                            ;   in Loop: Header=BB6_13186 Depth=3
	v_cmp_lt_u64_e32 vcc, s[88:89], v[1:2]
	v_add_u32_e32 v3, 15, v13
	v_cndmask_b32_e32 v3, v7, v3, vcc
	v_cndmask_b32_e64 v7, 0, 1, vcc
	v_lshrrev_b64 v[1:2], v7, v[1:2]
; %bb.13769:                            ;   in Loop: Header=BB6_13186 Depth=3
	s_andn2_saveexec_b64 s[28:29], s[28:29]
; %bb.13770:                            ;   in Loop: Header=BB6_13186 Depth=3
	v_bfe_u32 v3, v1, 23, 1
; %bb.13771:                            ;   in Loop: Header=BB6_13186 Depth=3
	s_or_b64 exec, exec, s[28:29]
	v_lshrrev_b64 v[1:2], 21, v[1:2]
	v_cmp_gt_i32_e32 vcc, 32, v3
	v_cndmask_b32_e32 v2, 0, v2, vcc
	v_cndmask_b32_e32 v1, 3, v1, vcc
	v_cmp_eq_u64_e64 s[28:29], 0, v[1:2]
	v_min_i32_e32 v2, 31, v3
	v_lshlrev_b32_e32 v2, 2, v2
	v_cmp_eq_u32_e32 vcc, 0, v3
	v_and_b32_e32 v2, 0xfc, v2
	v_and_or_b32 v1, v1, 3, v2
	s_and_b64 s[28:29], vcc, s[28:29]
	v_cndmask_b32_e64 v1, v1, 0, s[28:29]
	v_or_b32_e32 v49, v1, v6
.LBB6_13772:                            ;   in Loop: Header=BB6_13186 Depth=3
	s_or_b64 exec, exec, s[36:37]
                                        ; implicit-def: $vgpr6
.LBB6_13773:                            ;   in Loop: Header=BB6_13186 Depth=3
	s_andn2_saveexec_b64 s[28:29], s[34:35]
; %bb.13774:                            ;   in Loop: Header=BB6_13186 Depth=3
	v_or_b32_e32 v49, 0x7b, v6
; %bb.13775:                            ;   in Loop: Header=BB6_13186 Depth=3
	s_or_b64 exec, exec, s[28:29]
                                        ; implicit-def: $vgpr3
                                        ; implicit-def: $vgpr1_vgpr2
.LBB6_13776:                            ;   in Loop: Header=BB6_13186 Depth=3
	s_andn2_saveexec_b64 s[28:29], s[30:31]
	s_cbranch_execz .LBB6_13782
; %bb.13777:                            ;   in Loop: Header=BB6_13186 Depth=3
	v_cmp_ne_u64_e32 vcc, 0, v[1:2]
                                        ; implicit-def: $vgpr49
	s_and_saveexec_b64 s[62:63], vcc
	s_xor_b64 vcc, exec, s[62:63]
; %bb.13778:                            ;   in Loop: Header=BB6_13186 Depth=3
	v_or_b32_sdwa v49, v3, s44 dst_sel:DWORD dst_unused:UNUSED_PAD src0_sel:BYTE_3 src1_sel:DWORD
                                        ; implicit-def: $vgpr3
; %bb.13779:                            ;   in Loop: Header=BB6_13186 Depth=3
	s_andn2_saveexec_b64 s[30:31], vcc
; %bb.13780:                            ;   in Loop: Header=BB6_13186 Depth=3
	v_cmp_lt_i32_e32 vcc, -1, v3
	v_bfrev_b32_e32 v1, 0.5
	v_mov_b32_e32 v2, 0x7c
	v_cndmask_b32_e32 v49, v1, v2, vcc
; %bb.13781:                            ;   in Loop: Header=BB6_13186 Depth=3
	s_or_b64 exec, exec, s[30:31]
.LBB6_13782:                            ;   in Loop: Header=BB6_13186 Depth=3
	s_or_b64 exec, exec, s[28:29]
	v_lshrrev_b16_e32 v1, 8, v0
	v_cmp_ne_u16_e32 vcc, 0, v1
	v_mov_b32_e32 v2, 0
	s_and_saveexec_b64 s[28:29], vcc
	s_cbranch_execz .LBB6_13790
; %bb.13783:                            ;   in Loop: Header=BB6_13186 Depth=3
	v_cmp_ne_u16_e32 vcc, s97, v1
	v_bfrev_b32_e32 v2, 1
	s_and_saveexec_b64 s[30:31], vcc
	s_cbranch_execz .LBB6_13789
; %bb.13784:                            ;   in Loop: Header=BB6_13186 Depth=3
	v_and_b32_e32 v2, 0x7c, v1
	v_and_b32_e32 v3, 3, v1
	v_cmp_ne_u32_e32 vcc, s86, v2
                                        ; implicit-def: $vgpr2
	s_and_saveexec_b64 s[62:63], vcc
	s_xor_b64 s[34:35], exec, s[62:63]
	s_cbranch_execz .LBB6_13786
; %bb.13785:                            ;   in Loop: Header=BB6_13186 Depth=3
	v_ffbh_u32_e32 v7, v3
	v_min_u32_e32 v7, 32, v7
	v_mov_b32_e32 v2, v33
	v_subrev_u32_e32 v13, 29, v7
	v_bfe_u32 v6, v1, 2, 5
	v_lshlrev_b64 v[1:2], v13, v[1:2]
	v_sub_u32_e32 v2, 30, v7
	v_cmp_eq_u32_e32 vcc, 0, v6
	v_lshlrev_b32_e32 v0, 16, v0
	v_and_b32_e32 v1, 3, v1
	v_cndmask_b32_e32 v2, v6, v2, vcc
	v_and_b32_e32 v0, 0x80000000, v0
	v_cndmask_b32_e32 v1, v3, v1, vcc
	v_lshl_add_u32 v0, v2, 23, v0
	v_lshl_or_b32 v0, v1, 21, v0
	v_add_u32_e32 v2, 0x38000000, v0
                                        ; implicit-def: $vgpr3
                                        ; implicit-def: $vgpr0_vgpr1
.LBB6_13786:                            ;   in Loop: Header=BB6_13186 Depth=3
	s_andn2_saveexec_b64 s[34:35], s[34:35]
; %bb.13787:                            ;   in Loop: Header=BB6_13186 Depth=3
	v_cmp_lt_i16_e32 vcc, -1, v0
	v_mov_b32_e32 v0, 0xff800000
	v_mov_b32_e32 v1, 0x7f800000
	v_cndmask_b32_e32 v0, v0, v1, vcc
	v_cmp_eq_u32_e32 vcc, 0, v3
	v_mov_b32_e32 v1, 0x7f800001
	v_cndmask_b32_e32 v2, v1, v0, vcc
; %bb.13788:                            ;   in Loop: Header=BB6_13186 Depth=3
	s_or_b64 exec, exec, s[34:35]
.LBB6_13789:                            ;   in Loop: Header=BB6_13186 Depth=3
	s_or_b64 exec, exec, s[30:31]
.LBB6_13790:                            ;   in Loop: Header=BB6_13186 Depth=3
	s_or_b64 exec, exec, s[28:29]
	v_mul_f32_e32 v2, v12, v2
	v_and_b32_e32 v6, 0x7f800000, v2
	v_mov_b32_e32 v7, v33
	v_cmp_ne_u64_e32 vcc, s[76:77], v[6:7]
	v_and_b32_e32 v0, 0x7fffff, v2
	v_mov_b32_e32 v1, v33
                                        ; implicit-def: $vgpr3
                                        ; kill: killed $vgpr3
	s_and_saveexec_b64 s[28:29], vcc
	s_xor_b64 s[30:31], exec, s[28:29]
	s_cbranch_execz .LBB6_13804
; %bb.13791:                            ;   in Loop: Header=BB6_13186 Depth=3
	v_and_b32_e32 v6, 0x7fffffff, v2
	v_mov_b32_e32 v7, v33
	v_cmp_gt_u64_e32 vcc, s[78:79], v[6:7]
	v_and_b32_sdwa v3, v2, s97 dst_sel:DWORD dst_unused:UNUSED_PAD src0_sel:BYTE_3 src1_sel:DWORD
                                        ; implicit-def: $vgpr6
                                        ; kill: killed $vgpr6
	s_and_saveexec_b64 s[28:29], vcc
	s_xor_b64 s[34:35], exec, s[28:29]
	s_cbranch_execz .LBB6_13801
; %bb.13792:                            ;   in Loop: Header=BB6_13186 Depth=3
	v_mov_b32_e32 v6, 0
	v_cmp_ne_u32_e32 vcc, 0, v2
	buffer_store_dword v6, off, s[0:3], s33 offset:348 ; 4-byte Folded Spill
	s_and_saveexec_b64 s[36:37], vcc
	s_cbranch_execz .LBB6_13800
; %bb.13793:                            ;   in Loop: Header=BB6_13186 Depth=3
	v_bfe_u32 v6, v2, 23, 8
	v_cmp_gt_u32_e64 s[28:29], s47, v6
	v_sub_u32_e32 v2, 0x71, v6
	v_cmp_eq_u32_e32 vcc, 0, v6
	v_cndmask_b32_e64 v2, 0, v2, s[28:29]
	v_mov_b32_e32 v7, 0x70
	v_cndmask_b32_e32 v7, v2, v7, vcc
	v_or_b32_e32 v13, 0x800000, v0
	v_add_u32_e32 v2, 21, v7
	v_cndmask_b32_e32 v0, v13, v0, vcc
	v_lshlrev_b64 v[13:14], v2, -1
	v_add_u32_e32 v2, 20, v7
	v_bfi_b32 v13, v13, 0, v0
	v_lshlrev_b64 v[15:16], v2, 1
	v_lshrrev_b64 v[0:1], v7, v[0:1]
	v_bfi_b32 v14, v14, 0, 0
	v_cmp_eq_u64_e64 s[28:29], v[13:14], v[15:16]
	v_mov_b32_e32 v2, v1
	v_mov_b32_e32 v1, v0
	s_and_saveexec_b64 s[38:39], s[28:29]
; %bb.13794:                            ;   in Loop: Header=BB6_13186 Depth=3
	v_bfe_u32 v1, v0, 21, 1
	v_add_co_u32_e64 v1, s[28:29], v0, v1
	v_add_co_u32_e64 v1, s[28:29], -1, v1
; %bb.13795:                            ;   in Loop: Header=BB6_13186 Depth=3
	s_or_b64 exec, exec, s[38:39]
	v_add_u32_e32 v2, 0xffffff81, v6
	v_mov_b32_e32 v6, 0xffffff82
	v_cndmask_b32_e32 v2, v2, v6, vcc
	v_lshrrev_b32_e32 v6, 23, v0
	v_add3_u32 v7, v7, v2, v6
	v_add_u32_e32 v6, 14, v7
	v_and_b32_e32 v1, 0x1fffff, v1
	v_add_u32_e32 v0, v1, v0
	v_mov_b32_e32 v1, v33
	v_cmp_ne_u32_e32 vcc, 0, v6
                                        ; implicit-def: $vgpr2
	s_and_saveexec_b64 s[28:29], vcc
	s_xor_b64 s[28:29], exec, s[28:29]
; %bb.13796:                            ;   in Loop: Header=BB6_13186 Depth=3
	v_cmp_lt_u64_e32 vcc, s[88:89], v[0:1]
	v_add_u32_e32 v2, 15, v7
	v_cndmask_b32_e32 v2, v6, v2, vcc
	v_cndmask_b32_e64 v6, 0, 1, vcc
	v_lshrrev_b64 v[0:1], v6, v[0:1]
; %bb.13797:                            ;   in Loop: Header=BB6_13186 Depth=3
	s_andn2_saveexec_b64 s[28:29], s[28:29]
; %bb.13798:                            ;   in Loop: Header=BB6_13186 Depth=3
	v_bfe_u32 v2, v0, 23, 1
; %bb.13799:                            ;   in Loop: Header=BB6_13186 Depth=3
	s_or_b64 exec, exec, s[28:29]
	v_lshrrev_b64 v[0:1], 21, v[0:1]
	v_cmp_gt_i32_e32 vcc, 32, v2
	v_cndmask_b32_e32 v1, 0, v1, vcc
	v_cndmask_b32_e32 v0, 3, v0, vcc
	v_cmp_eq_u64_e64 s[28:29], 0, v[0:1]
	v_min_i32_e32 v1, 31, v2
	v_lshlrev_b32_e32 v1, 2, v1
	v_cmp_eq_u32_e32 vcc, 0, v2
	v_and_b32_e32 v1, 0xfc, v1
	v_and_or_b32 v0, v0, 3, v1
	s_and_b64 s[28:29], vcc, s[28:29]
	v_cndmask_b32_e64 v0, v0, 0, s[28:29]
	v_or_b32_e32 v0, v0, v3
	buffer_store_dword v0, off, s[0:3], s33 offset:348 ; 4-byte Folded Spill
.LBB6_13800:                            ;   in Loop: Header=BB6_13186 Depth=3
	s_or_b64 exec, exec, s[36:37]
                                        ; implicit-def: $vgpr3
.LBB6_13801:                            ;   in Loop: Header=BB6_13186 Depth=3
	s_andn2_saveexec_b64 s[28:29], s[34:35]
	s_cbranch_execz .LBB6_13803
; %bb.13802:                            ;   in Loop: Header=BB6_13186 Depth=3
	v_or_b32_e32 v0, 0x7b, v3
	buffer_store_dword v0, off, s[0:3], s33 offset:348 ; 4-byte Folded Spill
.LBB6_13803:                            ;   in Loop: Header=BB6_13186 Depth=3
	s_or_b64 exec, exec, s[28:29]
                                        ; implicit-def: $vgpr2
                                        ; implicit-def: $vgpr0_vgpr1
.LBB6_13804:                            ;   in Loop: Header=BB6_13186 Depth=3
	s_andn2_saveexec_b64 s[28:29], s[30:31]
	s_cbranch_execz .LBB6_13810
; %bb.13805:                            ;   in Loop: Header=BB6_13186 Depth=3
	v_cmp_ne_u64_e32 vcc, 0, v[0:1]
                                        ; implicit-def: $vgpr0
                                        ; kill: killed $vgpr0
	s_and_saveexec_b64 s[62:63], vcc
	s_xor_b64 vcc, exec, s[62:63]
	s_cbranch_execz .LBB6_13807
; %bb.13806:                            ;   in Loop: Header=BB6_13186 Depth=3
	v_or_b32_sdwa v0, v2, s44 dst_sel:DWORD dst_unused:UNUSED_PAD src0_sel:BYTE_3 src1_sel:DWORD
	buffer_store_dword v0, off, s[0:3], s33 offset:348 ; 4-byte Folded Spill
                                        ; implicit-def: $vgpr2
.LBB6_13807:                            ;   in Loop: Header=BB6_13186 Depth=3
	s_andn2_saveexec_b64 s[30:31], vcc
	s_cbranch_execz .LBB6_13809
; %bb.13808:                            ;   in Loop: Header=BB6_13186 Depth=3
	v_cmp_lt_i32_e32 vcc, -1, v2
	v_bfrev_b32_e32 v0, 0.5
	v_mov_b32_e32 v1, 0x7c
	v_cndmask_b32_e32 v0, v0, v1, vcc
	buffer_store_dword v0, off, s[0:3], s33 offset:348 ; 4-byte Folded Spill
.LBB6_13809:                            ;   in Loop: Header=BB6_13186 Depth=3
	s_or_b64 exec, exec, s[30:31]
.LBB6_13810:                            ;   in Loop: Header=BB6_13186 Depth=3
	s_or_b64 exec, exec, s[28:29]
	v_lshrrev_b32_e32 v0, 16, v9
	v_cmp_ne_u16_sdwa s[62:63], v0, v33 src0_sel:BYTE_0 src1_sel:DWORD
	v_mov_b32_e32 v1, 0
	s_and_saveexec_b64 s[28:29], s[62:63]
	s_cbranch_execz .LBB6_13818
; %bb.13811:                            ;   in Loop: Header=BB6_13186 Depth=3
	v_cmp_ne_u16_sdwa s[62:63], v0, s97 src0_sel:BYTE_0 src1_sel:DWORD
	v_bfrev_b32_e32 v1, 1
	s_and_saveexec_b64 s[30:31], s[62:63]
	s_cbranch_execz .LBB6_13817
; %bb.13812:                            ;   in Loop: Header=BB6_13186 Depth=3
	v_and_b32_e32 v1, 0x7c0000, v9
	v_bfe_u32 v2, v9, 16, 2
	v_cmp_ne_u32_e32 vcc, s45, v1
                                        ; implicit-def: $vgpr1
	s_and_saveexec_b64 s[62:63], vcc
	s_xor_b64 s[34:35], exec, s[62:63]
	s_cbranch_execz .LBB6_13814
; %bb.13813:                            ;   in Loop: Header=BB6_13186 Depth=3
	v_ffbh_u32_e32 v1, v2
	v_min_u32_e32 v6, 32, v1
	v_subrev_u32_e32 v1, 29, v6
	v_lshlrev_b64 v[0:1], v1, v[0:1]
	v_bfe_u32 v3, v9, 18, 5
	v_and_b32_e32 v0, 3, v0
	v_cmp_eq_u32_e32 vcc, 0, v3
	v_sub_u32_e32 v1, 30, v6
	v_cndmask_b32_e32 v0, v2, v0, vcc
	v_lshlrev_b32_e32 v2, 8, v9
	v_cndmask_b32_e32 v1, v3, v1, vcc
	v_and_b32_e32 v2, 0x80000000, v2
	v_lshl_add_u32 v1, v1, 23, v2
	v_lshl_or_b32 v0, v0, 21, v1
	v_add_u32_e32 v1, 0x38000000, v0
                                        ; implicit-def: $vgpr2
                                        ; implicit-def: $vgpr0
.LBB6_13814:                            ;   in Loop: Header=BB6_13186 Depth=3
	s_andn2_saveexec_b64 s[34:35], s[34:35]
; %bb.13815:                            ;   in Loop: Header=BB6_13186 Depth=3
	v_mov_b32_e32 v1, -1
	v_cmp_gt_i16_sdwa vcc, sext(v0), v1 src0_sel:BYTE_0 src1_sel:DWORD
	v_mov_b32_e32 v0, 0xff800000
	v_mov_b32_e32 v1, 0x7f800000
	v_cndmask_b32_e32 v0, v0, v1, vcc
	v_cmp_eq_u32_e32 vcc, 0, v2
	v_mov_b32_e32 v1, 0x7f800001
	v_cndmask_b32_e32 v1, v1, v0, vcc
; %bb.13816:                            ;   in Loop: Header=BB6_13186 Depth=3
	s_or_b64 exec, exec, s[34:35]
.LBB6_13817:                            ;   in Loop: Header=BB6_13186 Depth=3
	s_or_b64 exec, exec, s[30:31]
.LBB6_13818:                            ;   in Loop: Header=BB6_13186 Depth=3
	s_or_b64 exec, exec, s[28:29]
	v_mul_f32_e32 v2, v12, v1
	v_and_b32_e32 v6, 0x7f800000, v2
	v_mov_b32_e32 v7, v33
	v_cmp_ne_u64_e32 vcc, s[76:77], v[6:7]
	v_and_b32_e32 v0, 0x7fffff, v2
	v_mov_b32_e32 v1, v33
                                        ; implicit-def: $vgpr3
                                        ; kill: killed $vgpr3
	s_and_saveexec_b64 s[28:29], vcc
	s_xor_b64 s[30:31], exec, s[28:29]
	s_cbranch_execz .LBB6_13832
; %bb.13819:                            ;   in Loop: Header=BB6_13186 Depth=3
	v_and_b32_e32 v6, 0x7fffffff, v2
	v_mov_b32_e32 v7, v33
	v_cmp_gt_u64_e32 vcc, s[78:79], v[6:7]
	v_and_b32_sdwa v3, v2, s97 dst_sel:DWORD dst_unused:UNUSED_PAD src0_sel:BYTE_3 src1_sel:DWORD
                                        ; implicit-def: $vgpr6
                                        ; kill: killed $vgpr6
	s_and_saveexec_b64 s[28:29], vcc
	s_xor_b64 s[34:35], exec, s[28:29]
	s_cbranch_execz .LBB6_13829
; %bb.13820:                            ;   in Loop: Header=BB6_13186 Depth=3
	v_mov_b32_e32 v6, 0
	v_cmp_ne_u32_e32 vcc, 0, v2
	buffer_store_dword v6, off, s[0:3], s33 offset:360 ; 4-byte Folded Spill
	s_and_saveexec_b64 s[36:37], vcc
	s_cbranch_execz .LBB6_13828
; %bb.13821:                            ;   in Loop: Header=BB6_13186 Depth=3
	v_bfe_u32 v6, v2, 23, 8
	v_cmp_gt_u32_e64 s[28:29], s47, v6
	v_sub_u32_e32 v2, 0x71, v6
	v_cmp_eq_u32_e32 vcc, 0, v6
	v_cndmask_b32_e64 v2, 0, v2, s[28:29]
	v_mov_b32_e32 v7, 0x70
	v_cndmask_b32_e32 v7, v2, v7, vcc
	v_or_b32_e32 v13, 0x800000, v0
	v_add_u32_e32 v2, 21, v7
	v_cndmask_b32_e32 v0, v13, v0, vcc
	v_lshlrev_b64 v[13:14], v2, -1
	v_add_u32_e32 v2, 20, v7
	v_bfi_b32 v13, v13, 0, v0
	v_lshlrev_b64 v[15:16], v2, 1
	v_lshrrev_b64 v[0:1], v7, v[0:1]
	v_bfi_b32 v14, v14, 0, 0
	v_cmp_eq_u64_e64 s[28:29], v[13:14], v[15:16]
	v_mov_b32_e32 v2, v1
	v_mov_b32_e32 v1, v0
	s_and_saveexec_b64 s[38:39], s[28:29]
; %bb.13822:                            ;   in Loop: Header=BB6_13186 Depth=3
	v_bfe_u32 v1, v0, 21, 1
	v_add_co_u32_e64 v1, s[28:29], v0, v1
	v_add_co_u32_e64 v1, s[28:29], -1, v1
; %bb.13823:                            ;   in Loop: Header=BB6_13186 Depth=3
	s_or_b64 exec, exec, s[38:39]
	v_add_u32_e32 v2, 0xffffff81, v6
	v_mov_b32_e32 v6, 0xffffff82
	v_cndmask_b32_e32 v2, v2, v6, vcc
	v_lshrrev_b32_e32 v6, 23, v0
	v_add3_u32 v7, v7, v2, v6
	v_add_u32_e32 v6, 14, v7
	v_and_b32_e32 v1, 0x1fffff, v1
	v_add_u32_e32 v0, v1, v0
	v_mov_b32_e32 v1, v33
	v_cmp_ne_u32_e32 vcc, 0, v6
                                        ; implicit-def: $vgpr2
	s_and_saveexec_b64 s[28:29], vcc
	s_xor_b64 s[28:29], exec, s[28:29]
; %bb.13824:                            ;   in Loop: Header=BB6_13186 Depth=3
	v_cmp_lt_u64_e32 vcc, s[88:89], v[0:1]
	v_add_u32_e32 v2, 15, v7
	v_cndmask_b32_e32 v2, v6, v2, vcc
	v_cndmask_b32_e64 v6, 0, 1, vcc
	v_lshrrev_b64 v[0:1], v6, v[0:1]
; %bb.13825:                            ;   in Loop: Header=BB6_13186 Depth=3
	s_andn2_saveexec_b64 s[28:29], s[28:29]
; %bb.13826:                            ;   in Loop: Header=BB6_13186 Depth=3
	v_bfe_u32 v2, v0, 23, 1
; %bb.13827:                            ;   in Loop: Header=BB6_13186 Depth=3
	s_or_b64 exec, exec, s[28:29]
	v_lshrrev_b64 v[0:1], 21, v[0:1]
	v_cmp_gt_i32_e32 vcc, 32, v2
	v_cndmask_b32_e32 v1, 0, v1, vcc
	v_cndmask_b32_e32 v0, 3, v0, vcc
	v_cmp_eq_u64_e64 s[28:29], 0, v[0:1]
	v_min_i32_e32 v1, 31, v2
	v_lshlrev_b32_e32 v1, 2, v1
	v_cmp_eq_u32_e32 vcc, 0, v2
	v_and_b32_e32 v1, 0xfc, v1
	v_and_or_b32 v0, v0, 3, v1
	s_and_b64 s[28:29], vcc, s[28:29]
	v_cndmask_b32_e64 v0, v0, 0, s[28:29]
	v_or_b32_e32 v0, v0, v3
	buffer_store_dword v0, off, s[0:3], s33 offset:360 ; 4-byte Folded Spill
.LBB6_13828:                            ;   in Loop: Header=BB6_13186 Depth=3
	s_or_b64 exec, exec, s[36:37]
                                        ; implicit-def: $vgpr3
.LBB6_13829:                            ;   in Loop: Header=BB6_13186 Depth=3
	s_andn2_saveexec_b64 s[28:29], s[34:35]
	s_cbranch_execz .LBB6_13831
; %bb.13830:                            ;   in Loop: Header=BB6_13186 Depth=3
	v_or_b32_e32 v0, 0x7b, v3
	buffer_store_dword v0, off, s[0:3], s33 offset:360 ; 4-byte Folded Spill
.LBB6_13831:                            ;   in Loop: Header=BB6_13186 Depth=3
	s_or_b64 exec, exec, s[28:29]
                                        ; implicit-def: $vgpr2
                                        ; implicit-def: $vgpr0_vgpr1
.LBB6_13832:                            ;   in Loop: Header=BB6_13186 Depth=3
	s_andn2_saveexec_b64 s[28:29], s[30:31]
	s_cbranch_execz .LBB6_13838
; %bb.13833:                            ;   in Loop: Header=BB6_13186 Depth=3
	v_cmp_ne_u64_e32 vcc, 0, v[0:1]
                                        ; implicit-def: $vgpr0
                                        ; kill: killed $vgpr0
	s_and_saveexec_b64 s[62:63], vcc
	s_xor_b64 vcc, exec, s[62:63]
	s_cbranch_execz .LBB6_13835
; %bb.13834:                            ;   in Loop: Header=BB6_13186 Depth=3
	v_or_b32_sdwa v0, v2, s44 dst_sel:DWORD dst_unused:UNUSED_PAD src0_sel:BYTE_3 src1_sel:DWORD
	buffer_store_dword v0, off, s[0:3], s33 offset:360 ; 4-byte Folded Spill
                                        ; implicit-def: $vgpr2
.LBB6_13835:                            ;   in Loop: Header=BB6_13186 Depth=3
	s_andn2_saveexec_b64 s[30:31], vcc
	s_cbranch_execz .LBB6_13837
; %bb.13836:                            ;   in Loop: Header=BB6_13186 Depth=3
	v_cmp_lt_i32_e32 vcc, -1, v2
	v_bfrev_b32_e32 v0, 0.5
	v_mov_b32_e32 v1, 0x7c
	v_cndmask_b32_e32 v0, v0, v1, vcc
	buffer_store_dword v0, off, s[0:3], s33 offset:360 ; 4-byte Folded Spill
.LBB6_13837:                            ;   in Loop: Header=BB6_13186 Depth=3
	s_or_b64 exec, exec, s[30:31]
.LBB6_13838:                            ;   in Loop: Header=BB6_13186 Depth=3
	s_or_b64 exec, exec, s[28:29]
	v_cmp_lt_u64_e32 vcc, s[56:57], v[8:9]
	v_mov_b32_e32 v1, 0
	s_and_saveexec_b64 s[28:29], vcc
	s_cbranch_execz .LBB6_13846
; %bb.13839:                            ;   in Loop: Header=BB6_13186 Depth=3
	v_lshrrev_b32_e32 v0, 24, v9
	v_cmp_ne_u32_e32 vcc, s97, v0
	v_bfrev_b32_e32 v1, 1
	s_and_saveexec_b64 s[30:31], vcc
	s_cbranch_execz .LBB6_13845
; %bb.13840:                            ;   in Loop: Header=BB6_13186 Depth=3
	v_and_b32_e32 v1, 0x7c000000, v9
	v_bfe_u32 v2, v9, 24, 2
	v_cmp_ne_u32_e32 vcc, s68, v1
                                        ; implicit-def: $vgpr1
	s_and_saveexec_b64 s[62:63], vcc
	s_xor_b64 s[34:35], exec, s[62:63]
	s_cbranch_execz .LBB6_13842
; %bb.13841:                            ;   in Loop: Header=BB6_13186 Depth=3
	v_ffbh_u32_e32 v1, v2
	v_min_u32_e32 v6, 32, v1
	v_subrev_u32_e32 v1, 29, v6
	v_lshlrev_b64 v[0:1], v1, v[0:1]
	v_bfe_u32 v3, v9, 26, 5
	v_sub_u32_e32 v1, 30, v6
	v_and_b32_e32 v0, 3, v0
	v_cmp_eq_u32_e32 vcc, 0, v3
	v_cndmask_b32_e32 v1, v3, v1, vcc
	v_cndmask_b32_e32 v0, v2, v0, vcc
	v_and_b32_e32 v2, 0x80000000, v9
	v_lshl_add_u32 v1, v1, 23, v2
	v_lshl_or_b32 v0, v0, 21, v1
	v_add_u32_e32 v1, 0x38000000, v0
                                        ; implicit-def: $vgpr2
.LBB6_13842:                            ;   in Loop: Header=BB6_13186 Depth=3
	s_andn2_saveexec_b64 s[34:35], s[34:35]
; %bb.13843:                            ;   in Loop: Header=BB6_13186 Depth=3
	v_cmp_lt_i64_e32 vcc, -1, v[8:9]
	v_mov_b32_e32 v0, 0xff800000
	v_mov_b32_e32 v1, 0x7f800000
	v_cndmask_b32_e32 v0, v0, v1, vcc
	v_cmp_eq_u32_e32 vcc, 0, v2
	v_mov_b32_e32 v1, 0x7f800001
	v_cndmask_b32_e32 v1, v1, v0, vcc
; %bb.13844:                            ;   in Loop: Header=BB6_13186 Depth=3
	s_or_b64 exec, exec, s[34:35]
.LBB6_13845:                            ;   in Loop: Header=BB6_13186 Depth=3
	s_or_b64 exec, exec, s[30:31]
.LBB6_13846:                            ;   in Loop: Header=BB6_13186 Depth=3
	s_or_b64 exec, exec, s[28:29]
	v_mul_f32_e32 v2, v12, v1
	v_and_b32_e32 v6, 0x7f800000, v2
	v_mov_b32_e32 v7, v33
	v_cmp_ne_u64_e32 vcc, s[76:77], v[6:7]
	v_and_b32_e32 v0, 0x7fffff, v2
	v_mov_b32_e32 v1, v33
                                        ; implicit-def: $vgpr3
                                        ; kill: killed $vgpr3
	s_and_saveexec_b64 s[28:29], vcc
	s_xor_b64 s[30:31], exec, s[28:29]
	s_cbranch_execz .LBB6_13860
; %bb.13847:                            ;   in Loop: Header=BB6_13186 Depth=3
	v_and_b32_e32 v6, 0x7fffffff, v2
	v_mov_b32_e32 v7, v33
	v_cmp_gt_u64_e32 vcc, s[78:79], v[6:7]
	v_and_b32_sdwa v3, v2, s97 dst_sel:DWORD dst_unused:UNUSED_PAD src0_sel:BYTE_3 src1_sel:DWORD
                                        ; implicit-def: $vgpr6
                                        ; kill: killed $vgpr6
	s_and_saveexec_b64 s[28:29], vcc
	s_xor_b64 s[34:35], exec, s[28:29]
	s_cbranch_execz .LBB6_13857
; %bb.13848:                            ;   in Loop: Header=BB6_13186 Depth=3
	v_mov_b32_e32 v6, 0
	v_cmp_ne_u32_e32 vcc, 0, v2
	buffer_store_dword v6, off, s[0:3], s33 offset:372 ; 4-byte Folded Spill
	s_and_saveexec_b64 s[36:37], vcc
	s_cbranch_execz .LBB6_13856
; %bb.13849:                            ;   in Loop: Header=BB6_13186 Depth=3
	v_bfe_u32 v6, v2, 23, 8
	v_cmp_gt_u32_e64 s[28:29], s47, v6
	v_sub_u32_e32 v2, 0x71, v6
	v_cmp_eq_u32_e32 vcc, 0, v6
	v_cndmask_b32_e64 v2, 0, v2, s[28:29]
	v_mov_b32_e32 v7, 0x70
	v_cndmask_b32_e32 v7, v2, v7, vcc
	v_or_b32_e32 v8, 0x800000, v0
	v_add_u32_e32 v2, 21, v7
	v_cndmask_b32_e32 v0, v8, v0, vcc
	v_lshlrev_b64 v[8:9], v2, -1
	v_add_u32_e32 v2, 20, v7
	v_bfi_b32 v8, v8, 0, v0
	v_lshlrev_b64 v[13:14], v2, 1
	v_lshrrev_b64 v[0:1], v7, v[0:1]
	v_bfi_b32 v9, v9, 0, 0
	v_cmp_eq_u64_e64 s[28:29], v[8:9], v[13:14]
	v_mov_b32_e32 v2, v1
	v_mov_b32_e32 v1, v0
	s_and_saveexec_b64 s[38:39], s[28:29]
; %bb.13850:                            ;   in Loop: Header=BB6_13186 Depth=3
	v_bfe_u32 v1, v0, 21, 1
	v_add_co_u32_e64 v1, s[28:29], v0, v1
	v_add_co_u32_e64 v1, s[28:29], -1, v1
; %bb.13851:                            ;   in Loop: Header=BB6_13186 Depth=3
	s_or_b64 exec, exec, s[38:39]
	v_add_u32_e32 v2, 0xffffff81, v6
	v_mov_b32_e32 v6, 0xffffff82
	v_cndmask_b32_e32 v2, v2, v6, vcc
	v_lshrrev_b32_e32 v6, 23, v0
	v_add3_u32 v7, v7, v2, v6
	v_add_u32_e32 v6, 14, v7
	v_and_b32_e32 v1, 0x1fffff, v1
	v_add_u32_e32 v0, v1, v0
	v_mov_b32_e32 v1, v33
	v_cmp_ne_u32_e32 vcc, 0, v6
                                        ; implicit-def: $vgpr2
	s_and_saveexec_b64 s[28:29], vcc
	s_xor_b64 s[28:29], exec, s[28:29]
; %bb.13852:                            ;   in Loop: Header=BB6_13186 Depth=3
	v_cmp_lt_u64_e32 vcc, s[88:89], v[0:1]
	v_add_u32_e32 v2, 15, v7
	v_cndmask_b32_e32 v2, v6, v2, vcc
	v_cndmask_b32_e64 v6, 0, 1, vcc
	v_lshrrev_b64 v[0:1], v6, v[0:1]
; %bb.13853:                            ;   in Loop: Header=BB6_13186 Depth=3
	s_andn2_saveexec_b64 s[28:29], s[28:29]
; %bb.13854:                            ;   in Loop: Header=BB6_13186 Depth=3
	v_bfe_u32 v2, v0, 23, 1
; %bb.13855:                            ;   in Loop: Header=BB6_13186 Depth=3
	s_or_b64 exec, exec, s[28:29]
	v_lshrrev_b64 v[0:1], 21, v[0:1]
	v_cmp_gt_i32_e32 vcc, 32, v2
	v_cndmask_b32_e32 v1, 0, v1, vcc
	v_cndmask_b32_e32 v0, 3, v0, vcc
	v_cmp_eq_u64_e64 s[28:29], 0, v[0:1]
	v_min_i32_e32 v1, 31, v2
	v_lshlrev_b32_e32 v1, 2, v1
	v_cmp_eq_u32_e32 vcc, 0, v2
	v_and_b32_e32 v1, 0xfc, v1
	v_and_or_b32 v0, v0, 3, v1
	s_and_b64 s[28:29], vcc, s[28:29]
	v_cndmask_b32_e64 v0, v0, 0, s[28:29]
	v_or_b32_e32 v0, v0, v3
	buffer_store_dword v0, off, s[0:3], s33 offset:372 ; 4-byte Folded Spill
.LBB6_13856:                            ;   in Loop: Header=BB6_13186 Depth=3
	s_or_b64 exec, exec, s[36:37]
                                        ; implicit-def: $vgpr3
.LBB6_13857:                            ;   in Loop: Header=BB6_13186 Depth=3
	s_andn2_saveexec_b64 s[28:29], s[34:35]
	s_cbranch_execz .LBB6_13859
; %bb.13858:                            ;   in Loop: Header=BB6_13186 Depth=3
	v_or_b32_e32 v0, 0x7b, v3
	buffer_store_dword v0, off, s[0:3], s33 offset:372 ; 4-byte Folded Spill
.LBB6_13859:                            ;   in Loop: Header=BB6_13186 Depth=3
	s_or_b64 exec, exec, s[28:29]
                                        ; implicit-def: $vgpr2
                                        ; implicit-def: $vgpr0_vgpr1
.LBB6_13860:                            ;   in Loop: Header=BB6_13186 Depth=3
	s_andn2_saveexec_b64 s[28:29], s[30:31]
	s_cbranch_execz .LBB6_13866
; %bb.13861:                            ;   in Loop: Header=BB6_13186 Depth=3
	v_cmp_ne_u64_e32 vcc, 0, v[0:1]
                                        ; implicit-def: $vgpr0
                                        ; kill: killed $vgpr0
	s_and_saveexec_b64 s[62:63], vcc
	s_xor_b64 vcc, exec, s[62:63]
	s_cbranch_execz .LBB6_13863
; %bb.13862:                            ;   in Loop: Header=BB6_13186 Depth=3
	v_or_b32_sdwa v0, v2, s44 dst_sel:DWORD dst_unused:UNUSED_PAD src0_sel:BYTE_3 src1_sel:DWORD
	buffer_store_dword v0, off, s[0:3], s33 offset:372 ; 4-byte Folded Spill
                                        ; implicit-def: $vgpr2
.LBB6_13863:                            ;   in Loop: Header=BB6_13186 Depth=3
	s_andn2_saveexec_b64 s[30:31], vcc
	s_cbranch_execz .LBB6_13865
; %bb.13864:                            ;   in Loop: Header=BB6_13186 Depth=3
	v_cmp_lt_i32_e32 vcc, -1, v2
	v_bfrev_b32_e32 v0, 0.5
	v_mov_b32_e32 v1, 0x7c
	v_cndmask_b32_e32 v0, v0, v1, vcc
	buffer_store_dword v0, off, s[0:3], s33 offset:372 ; 4-byte Folded Spill
.LBB6_13865:                            ;   in Loop: Header=BB6_13186 Depth=3
	s_or_b64 exec, exec, s[30:31]
.LBB6_13866:                            ;   in Loop: Header=BB6_13186 Depth=3
	s_or_b64 exec, exec, s[28:29]
	v_cmp_ne_u16_sdwa s[62:63], v10, v33 src0_sel:BYTE_0 src1_sel:DWORD
	v_mov_b32_e32 v0, 0
	s_and_saveexec_b64 s[28:29], s[62:63]
	s_cbranch_execz .LBB6_13874
; %bb.13867:                            ;   in Loop: Header=BB6_13186 Depth=3
	v_cmp_ne_u16_sdwa s[62:63], sext(v10), s46 src0_sel:BYTE_0 src1_sel:DWORD
	v_bfrev_b32_e32 v0, 1
	s_and_saveexec_b64 s[30:31], s[62:63]
	s_cbranch_execz .LBB6_13873
; %bb.13868:                            ;   in Loop: Header=BB6_13186 Depth=3
	v_and_b32_e32 v0, 0x7c, v10
	v_and_b32_e32 v1, 3, v10
	v_cmp_ne_u32_e32 vcc, s86, v0
                                        ; implicit-def: $vgpr0
	s_and_saveexec_b64 s[62:63], vcc
	s_xor_b64 s[34:35], exec, s[62:63]
	s_cbranch_execz .LBB6_13870
; %bb.13869:                            ;   in Loop: Header=BB6_13186 Depth=3
	v_ffbh_u32_e32 v2, v1
	v_min_u32_e32 v6, 32, v2
	v_subrev_u32_e32 v2, 29, v6
	v_lshlrev_b64 v[2:3], v2, v[10:11]
	v_bfe_u32 v0, v10, 2, 5
	v_and_b32_e32 v2, 3, v2
	v_cmp_eq_u32_e32 vcc, 0, v0
	v_sub_u32_e32 v3, 30, v6
	v_cndmask_b32_e32 v1, v1, v2, vcc
	v_lshlrev_b32_e32 v2, 24, v10
	v_cndmask_b32_e32 v0, v0, v3, vcc
	v_and_b32_e32 v2, 0x80000000, v2
	v_lshl_add_u32 v0, v0, 23, v2
	v_lshl_or_b32 v0, v1, 21, v0
	v_add_u32_e32 v0, 0x38000000, v0
                                        ; implicit-def: $vgpr1
.LBB6_13870:                            ;   in Loop: Header=BB6_13186 Depth=3
	s_andn2_saveexec_b64 s[34:35], s[34:35]
; %bb.13871:                            ;   in Loop: Header=BB6_13186 Depth=3
	v_mov_b32_e32 v0, -1
	v_cmp_gt_i16_sdwa vcc, sext(v10), v0 src0_sel:BYTE_0 src1_sel:DWORD
	v_mov_b32_e32 v0, 0xff800000
	v_mov_b32_e32 v2, 0x7f800000
	v_cndmask_b32_e32 v0, v0, v2, vcc
	v_cmp_eq_u32_e32 vcc, 0, v1
	v_mov_b32_e32 v1, 0x7f800001
	v_cndmask_b32_e32 v0, v1, v0, vcc
; %bb.13872:                            ;   in Loop: Header=BB6_13186 Depth=3
	s_or_b64 exec, exec, s[34:35]
.LBB6_13873:                            ;   in Loop: Header=BB6_13186 Depth=3
	s_or_b64 exec, exec, s[30:31]
.LBB6_13874:                            ;   in Loop: Header=BB6_13186 Depth=3
	s_or_b64 exec, exec, s[28:29]
	v_mul_f32_e32 v2, v12, v0
	v_and_b32_e32 v8, 0x7f800000, v2
	v_mov_b32_e32 v9, v33
	v_cmp_ne_u64_e32 vcc, s[76:77], v[8:9]
	v_and_b32_e32 v0, 0x7fffff, v2
	v_mov_b32_e32 v1, v33
                                        ; implicit-def: $vgpr36
	s_and_saveexec_b64 s[28:29], vcc
	s_xor_b64 s[30:31], exec, s[28:29]
	s_cbranch_execz .LBB6_13888
; %bb.13875:                            ;   in Loop: Header=BB6_13186 Depth=3
	v_and_b32_e32 v8, 0x7fffffff, v2
	v_mov_b32_e32 v9, v33
	v_cmp_gt_u64_e32 vcc, s[78:79], v[8:9]
	v_and_b32_sdwa v3, v2, s97 dst_sel:DWORD dst_unused:UNUSED_PAD src0_sel:BYTE_3 src1_sel:DWORD
                                        ; implicit-def: $vgpr36
	s_and_saveexec_b64 s[28:29], vcc
	s_xor_b64 s[34:35], exec, s[28:29]
	s_cbranch_execz .LBB6_13885
; %bb.13876:                            ;   in Loop: Header=BB6_13186 Depth=3
	v_mov_b32_e32 v36, 0
	v_cmp_ne_u32_e32 vcc, 0, v2
	s_and_saveexec_b64 s[36:37], vcc
	s_cbranch_execz .LBB6_13884
; %bb.13877:                            ;   in Loop: Header=BB6_13186 Depth=3
	v_bfe_u32 v6, v2, 23, 8
	v_cmp_gt_u32_e64 s[28:29], s47, v6
	v_sub_u32_e32 v2, 0x71, v6
	v_cmp_eq_u32_e32 vcc, 0, v6
	v_cndmask_b32_e64 v2, 0, v2, s[28:29]
	v_mov_b32_e32 v8, 0x70
	v_cndmask_b32_e32 v8, v2, v8, vcc
	v_add_u32_e32 v2, 21, v8
	v_or_b32_e32 v9, 0x800000, v0
	v_lshlrev_b64 v[13:14], v2, -1
	v_cndmask_b32_e32 v0, v9, v0, vcc
	v_add_u32_e32 v2, 20, v8
	v_bfi_b32 v13, v13, 0, v0
	v_lshlrev_b64 v[15:16], v2, 1
	v_lshrrev_b64 v[0:1], v8, v[0:1]
	v_bfi_b32 v14, v14, 0, 0
	v_cmp_eq_u64_e64 s[28:29], v[13:14], v[15:16]
	v_mov_b32_e32 v2, v1
	v_mov_b32_e32 v1, v0
	s_and_saveexec_b64 s[38:39], s[28:29]
; %bb.13878:                            ;   in Loop: Header=BB6_13186 Depth=3
	v_bfe_u32 v1, v0, 21, 1
	v_add_co_u32_e64 v1, s[28:29], v0, v1
	v_add_co_u32_e64 v1, s[28:29], -1, v1
; %bb.13879:                            ;   in Loop: Header=BB6_13186 Depth=3
	s_or_b64 exec, exec, s[38:39]
	v_add_u32_e32 v2, 0xffffff81, v6
	v_mov_b32_e32 v6, 0xffffff82
	v_cndmask_b32_e32 v2, v2, v6, vcc
	v_lshrrev_b32_e32 v6, 23, v0
	v_add3_u32 v8, v8, v2, v6
	v_add_u32_e32 v6, 14, v8
	v_and_b32_e32 v1, 0x1fffff, v1
	v_add_u32_e32 v0, v1, v0
	v_mov_b32_e32 v1, v33
	v_cmp_ne_u32_e32 vcc, 0, v6
                                        ; implicit-def: $vgpr2
	s_and_saveexec_b64 s[28:29], vcc
	s_xor_b64 s[28:29], exec, s[28:29]
; %bb.13880:                            ;   in Loop: Header=BB6_13186 Depth=3
	v_cmp_lt_u64_e32 vcc, s[88:89], v[0:1]
	v_add_u32_e32 v2, 15, v8
	v_cndmask_b32_e32 v2, v6, v2, vcc
	v_cndmask_b32_e64 v6, 0, 1, vcc
	v_lshrrev_b64 v[0:1], v6, v[0:1]
; %bb.13881:                            ;   in Loop: Header=BB6_13186 Depth=3
	s_andn2_saveexec_b64 s[28:29], s[28:29]
; %bb.13882:                            ;   in Loop: Header=BB6_13186 Depth=3
	v_bfe_u32 v2, v0, 23, 1
; %bb.13883:                            ;   in Loop: Header=BB6_13186 Depth=3
	s_or_b64 exec, exec, s[28:29]
	v_lshrrev_b64 v[0:1], 21, v[0:1]
	v_cmp_gt_i32_e32 vcc, 32, v2
	v_cndmask_b32_e32 v1, 0, v1, vcc
	v_cndmask_b32_e32 v0, 3, v0, vcc
	v_cmp_eq_u64_e64 s[28:29], 0, v[0:1]
	v_min_i32_e32 v1, 31, v2
	v_lshlrev_b32_e32 v1, 2, v1
	v_cmp_eq_u32_e32 vcc, 0, v2
	v_and_b32_e32 v1, 0xfc, v1
	v_and_or_b32 v0, v0, 3, v1
	s_and_b64 s[28:29], vcc, s[28:29]
	v_cndmask_b32_e64 v0, v0, 0, s[28:29]
	v_or_b32_e32 v36, v0, v3
.LBB6_13884:                            ;   in Loop: Header=BB6_13186 Depth=3
	s_or_b64 exec, exec, s[36:37]
                                        ; implicit-def: $vgpr3
.LBB6_13885:                            ;   in Loop: Header=BB6_13186 Depth=3
	s_andn2_saveexec_b64 s[28:29], s[34:35]
; %bb.13886:                            ;   in Loop: Header=BB6_13186 Depth=3
	v_or_b32_e32 v36, 0x7b, v3
; %bb.13887:                            ;   in Loop: Header=BB6_13186 Depth=3
	s_or_b64 exec, exec, s[28:29]
                                        ; implicit-def: $vgpr2
                                        ; implicit-def: $vgpr0_vgpr1
.LBB6_13888:                            ;   in Loop: Header=BB6_13186 Depth=3
	s_andn2_saveexec_b64 s[28:29], s[30:31]
	s_cbranch_execz .LBB6_13894
; %bb.13889:                            ;   in Loop: Header=BB6_13186 Depth=3
	v_cmp_ne_u64_e32 vcc, 0, v[0:1]
                                        ; implicit-def: $vgpr36
	s_and_saveexec_b64 s[62:63], vcc
	s_xor_b64 vcc, exec, s[62:63]
; %bb.13890:                            ;   in Loop: Header=BB6_13186 Depth=3
	v_or_b32_sdwa v36, v2, s44 dst_sel:DWORD dst_unused:UNUSED_PAD src0_sel:BYTE_3 src1_sel:DWORD
                                        ; implicit-def: $vgpr2
; %bb.13891:                            ;   in Loop: Header=BB6_13186 Depth=3
	s_andn2_saveexec_b64 s[30:31], vcc
; %bb.13892:                            ;   in Loop: Header=BB6_13186 Depth=3
	v_cmp_lt_i32_e32 vcc, -1, v2
	v_bfrev_b32_e32 v0, 0.5
	v_mov_b32_e32 v1, 0x7c
	v_cndmask_b32_e32 v36, v0, v1, vcc
; %bb.13893:                            ;   in Loop: Header=BB6_13186 Depth=3
	s_or_b64 exec, exec, s[30:31]
.LBB6_13894:                            ;   in Loop: Header=BB6_13186 Depth=3
	s_or_b64 exec, exec, s[28:29]
	v_lshrrev_b16_e32 v0, 8, v10
	v_cmp_ne_u16_e32 vcc, 0, v0
	v_mov_b32_e32 v1, 0
	s_and_saveexec_b64 s[28:29], vcc
	s_cbranch_execz .LBB6_13902
; %bb.13895:                            ;   in Loop: Header=BB6_13186 Depth=3
	v_cmp_ne_u16_e32 vcc, s97, v0
	v_bfrev_b32_e32 v1, 1
	s_and_saveexec_b64 s[30:31], vcc
	s_cbranch_execz .LBB6_13901
; %bb.13896:                            ;   in Loop: Header=BB6_13186 Depth=3
	v_and_b32_e32 v1, 0x7c, v0
	v_and_b32_e32 v2, 3, v0
	v_cmp_ne_u32_e32 vcc, s86, v1
                                        ; implicit-def: $vgpr1
	s_and_saveexec_b64 s[62:63], vcc
	s_xor_b64 s[34:35], exec, s[62:63]
	s_cbranch_execz .LBB6_13898
; %bb.13897:                            ;   in Loop: Header=BB6_13186 Depth=3
	v_ffbh_u32_e32 v6, v2
	v_min_u32_e32 v6, 32, v6
	v_mov_b32_e32 v1, v33
	v_subrev_u32_e32 v8, 29, v6
	v_bfe_u32 v3, v0, 2, 5
	v_lshlrev_b64 v[0:1], v8, v[0:1]
	v_cmp_eq_u32_e32 vcc, 0, v3
	v_and_b32_e32 v0, 3, v0
	v_sub_u32_e32 v1, 30, v6
	v_cndmask_b32_e32 v0, v2, v0, vcc
	v_lshlrev_b32_e32 v2, 16, v10
	v_cndmask_b32_e32 v1, v3, v1, vcc
	v_and_b32_e32 v2, 0x80000000, v2
	v_lshl_add_u32 v1, v1, 23, v2
	v_lshl_or_b32 v0, v0, 21, v1
	v_add_u32_e32 v1, 0x38000000, v0
                                        ; implicit-def: $vgpr2
.LBB6_13898:                            ;   in Loop: Header=BB6_13186 Depth=3
	s_andn2_saveexec_b64 s[34:35], s[34:35]
; %bb.13899:                            ;   in Loop: Header=BB6_13186 Depth=3
	v_cmp_lt_i16_e32 vcc, -1, v10
	v_mov_b32_e32 v0, 0xff800000
	v_mov_b32_e32 v1, 0x7f800000
	v_cndmask_b32_e32 v0, v0, v1, vcc
	v_cmp_eq_u32_e32 vcc, 0, v2
	v_mov_b32_e32 v1, 0x7f800001
	v_cndmask_b32_e32 v1, v1, v0, vcc
; %bb.13900:                            ;   in Loop: Header=BB6_13186 Depth=3
	s_or_b64 exec, exec, s[34:35]
.LBB6_13901:                            ;   in Loop: Header=BB6_13186 Depth=3
	s_or_b64 exec, exec, s[30:31]
.LBB6_13902:                            ;   in Loop: Header=BB6_13186 Depth=3
	s_or_b64 exec, exec, s[28:29]
	v_mul_f32_e32 v2, v12, v1
	v_and_b32_e32 v8, 0x7f800000, v2
	v_mov_b32_e32 v9, v33
	v_cmp_ne_u64_e32 vcc, s[76:77], v[8:9]
	v_and_b32_e32 v0, 0x7fffff, v2
	v_mov_b32_e32 v1, v33
                                        ; implicit-def: $vgpr3
                                        ; kill: killed $vgpr3
	s_and_saveexec_b64 s[28:29], vcc
	s_xor_b64 s[30:31], exec, s[28:29]
	s_cbranch_execz .LBB6_13916
; %bb.13903:                            ;   in Loop: Header=BB6_13186 Depth=3
	v_and_b32_e32 v8, 0x7fffffff, v2
	v_mov_b32_e32 v9, v33
	v_cmp_gt_u64_e32 vcc, s[78:79], v[8:9]
	v_and_b32_sdwa v3, v2, s97 dst_sel:DWORD dst_unused:UNUSED_PAD src0_sel:BYTE_3 src1_sel:DWORD
                                        ; implicit-def: $vgpr6
                                        ; kill: killed $vgpr6
	s_and_saveexec_b64 s[28:29], vcc
	s_xor_b64 s[34:35], exec, s[28:29]
	s_cbranch_execz .LBB6_13913
; %bb.13904:                            ;   in Loop: Header=BB6_13186 Depth=3
	v_mov_b32_e32 v6, 0
	v_cmp_ne_u32_e32 vcc, 0, v2
	buffer_store_dword v6, off, s[0:3], s33 offset:332 ; 4-byte Folded Spill
	s_and_saveexec_b64 s[36:37], vcc
	s_cbranch_execz .LBB6_13912
; %bb.13905:                            ;   in Loop: Header=BB6_13186 Depth=3
	v_bfe_u32 v6, v2, 23, 8
	v_cmp_gt_u32_e64 s[28:29], s47, v6
	v_sub_u32_e32 v2, 0x71, v6
	v_cmp_eq_u32_e32 vcc, 0, v6
	v_cndmask_b32_e64 v2, 0, v2, s[28:29]
	v_mov_b32_e32 v8, 0x70
	v_cndmask_b32_e32 v8, v2, v8, vcc
	v_add_u32_e32 v2, 21, v8
	v_or_b32_e32 v9, 0x800000, v0
	v_lshlrev_b64 v[13:14], v2, -1
	v_cndmask_b32_e32 v0, v9, v0, vcc
	v_add_u32_e32 v2, 20, v8
	v_bfi_b32 v13, v13, 0, v0
	v_lshlrev_b64 v[15:16], v2, 1
	v_lshrrev_b64 v[0:1], v8, v[0:1]
	v_bfi_b32 v14, v14, 0, 0
	v_cmp_eq_u64_e64 s[28:29], v[13:14], v[15:16]
	v_mov_b32_e32 v2, v1
	v_mov_b32_e32 v1, v0
	s_and_saveexec_b64 s[38:39], s[28:29]
; %bb.13906:                            ;   in Loop: Header=BB6_13186 Depth=3
	v_bfe_u32 v1, v0, 21, 1
	v_add_co_u32_e64 v1, s[28:29], v0, v1
	v_add_co_u32_e64 v1, s[28:29], -1, v1
; %bb.13907:                            ;   in Loop: Header=BB6_13186 Depth=3
	s_or_b64 exec, exec, s[38:39]
	v_add_u32_e32 v2, 0xffffff81, v6
	v_mov_b32_e32 v6, 0xffffff82
	v_cndmask_b32_e32 v2, v2, v6, vcc
	v_lshrrev_b32_e32 v6, 23, v0
	v_add3_u32 v8, v8, v2, v6
	v_add_u32_e32 v6, 14, v8
	v_and_b32_e32 v1, 0x1fffff, v1
	v_add_u32_e32 v0, v1, v0
	v_mov_b32_e32 v1, v33
	v_cmp_ne_u32_e32 vcc, 0, v6
                                        ; implicit-def: $vgpr2
	s_and_saveexec_b64 s[28:29], vcc
	s_xor_b64 s[28:29], exec, s[28:29]
; %bb.13908:                            ;   in Loop: Header=BB6_13186 Depth=3
	v_cmp_lt_u64_e32 vcc, s[88:89], v[0:1]
	v_add_u32_e32 v2, 15, v8
	v_cndmask_b32_e32 v2, v6, v2, vcc
	v_cndmask_b32_e64 v6, 0, 1, vcc
	v_lshrrev_b64 v[0:1], v6, v[0:1]
; %bb.13909:                            ;   in Loop: Header=BB6_13186 Depth=3
	s_andn2_saveexec_b64 s[28:29], s[28:29]
; %bb.13910:                            ;   in Loop: Header=BB6_13186 Depth=3
	v_bfe_u32 v2, v0, 23, 1
; %bb.13911:                            ;   in Loop: Header=BB6_13186 Depth=3
	s_or_b64 exec, exec, s[28:29]
	v_lshrrev_b64 v[0:1], 21, v[0:1]
	v_cmp_gt_i32_e32 vcc, 32, v2
	v_cndmask_b32_e32 v1, 0, v1, vcc
	v_cndmask_b32_e32 v0, 3, v0, vcc
	v_cmp_eq_u64_e64 s[28:29], 0, v[0:1]
	v_min_i32_e32 v1, 31, v2
	v_lshlrev_b32_e32 v1, 2, v1
	v_cmp_eq_u32_e32 vcc, 0, v2
	v_and_b32_e32 v1, 0xfc, v1
	v_and_or_b32 v0, v0, 3, v1
	s_and_b64 s[28:29], vcc, s[28:29]
	v_cndmask_b32_e64 v0, v0, 0, s[28:29]
	v_or_b32_e32 v0, v0, v3
	buffer_store_dword v0, off, s[0:3], s33 offset:332 ; 4-byte Folded Spill
.LBB6_13912:                            ;   in Loop: Header=BB6_13186 Depth=3
	s_or_b64 exec, exec, s[36:37]
                                        ; implicit-def: $vgpr3
.LBB6_13913:                            ;   in Loop: Header=BB6_13186 Depth=3
	s_andn2_saveexec_b64 s[28:29], s[34:35]
	s_cbranch_execz .LBB6_13915
; %bb.13914:                            ;   in Loop: Header=BB6_13186 Depth=3
	v_or_b32_e32 v0, 0x7b, v3
	buffer_store_dword v0, off, s[0:3], s33 offset:332 ; 4-byte Folded Spill
.LBB6_13915:                            ;   in Loop: Header=BB6_13186 Depth=3
	s_or_b64 exec, exec, s[28:29]
                                        ; implicit-def: $vgpr2
                                        ; implicit-def: $vgpr0_vgpr1
.LBB6_13916:                            ;   in Loop: Header=BB6_13186 Depth=3
	s_andn2_saveexec_b64 s[28:29], s[30:31]
	s_cbranch_execz .LBB6_13922
; %bb.13917:                            ;   in Loop: Header=BB6_13186 Depth=3
	v_cmp_ne_u64_e32 vcc, 0, v[0:1]
                                        ; implicit-def: $vgpr0
                                        ; kill: killed $vgpr0
	s_and_saveexec_b64 s[62:63], vcc
	s_xor_b64 vcc, exec, s[62:63]
	s_cbranch_execz .LBB6_13919
; %bb.13918:                            ;   in Loop: Header=BB6_13186 Depth=3
	v_or_b32_sdwa v0, v2, s44 dst_sel:DWORD dst_unused:UNUSED_PAD src0_sel:BYTE_3 src1_sel:DWORD
	buffer_store_dword v0, off, s[0:3], s33 offset:332 ; 4-byte Folded Spill
                                        ; implicit-def: $vgpr2
.LBB6_13919:                            ;   in Loop: Header=BB6_13186 Depth=3
	s_andn2_saveexec_b64 s[30:31], vcc
	s_cbranch_execz .LBB6_13921
; %bb.13920:                            ;   in Loop: Header=BB6_13186 Depth=3
	v_cmp_lt_i32_e32 vcc, -1, v2
	v_bfrev_b32_e32 v0, 0.5
	v_mov_b32_e32 v1, 0x7c
	v_cndmask_b32_e32 v0, v0, v1, vcc
	buffer_store_dword v0, off, s[0:3], s33 offset:332 ; 4-byte Folded Spill
.LBB6_13921:                            ;   in Loop: Header=BB6_13186 Depth=3
	s_or_b64 exec, exec, s[30:31]
.LBB6_13922:                            ;   in Loop: Header=BB6_13186 Depth=3
	s_or_b64 exec, exec, s[28:29]
	v_lshrrev_b32_e32 v0, 16, v10
	v_cmp_ne_u16_sdwa s[62:63], v0, v33 src0_sel:BYTE_0 src1_sel:DWORD
	v_mov_b32_e32 v1, 0
	s_and_saveexec_b64 s[28:29], s[62:63]
	s_cbranch_execz .LBB6_13930
; %bb.13923:                            ;   in Loop: Header=BB6_13186 Depth=3
	v_cmp_ne_u16_sdwa s[62:63], v0, s97 src0_sel:BYTE_0 src1_sel:DWORD
	v_bfrev_b32_e32 v1, 1
	s_and_saveexec_b64 s[30:31], s[62:63]
	s_cbranch_execz .LBB6_13929
; %bb.13924:                            ;   in Loop: Header=BB6_13186 Depth=3
	v_and_b32_e32 v1, 0x7c0000, v10
	v_bfe_u32 v2, v10, 16, 2
	v_cmp_ne_u32_e32 vcc, s45, v1
                                        ; implicit-def: $vgpr1
	s_and_saveexec_b64 s[62:63], vcc
	s_xor_b64 s[34:35], exec, s[62:63]
	s_cbranch_execz .LBB6_13926
; %bb.13925:                            ;   in Loop: Header=BB6_13186 Depth=3
	v_ffbh_u32_e32 v1, v2
	v_min_u32_e32 v6, 32, v1
	v_subrev_u32_e32 v1, 29, v6
	v_lshlrev_b64 v[0:1], v1, v[0:1]
	v_bfe_u32 v3, v10, 18, 5
	v_and_b32_e32 v0, 3, v0
	v_cmp_eq_u32_e32 vcc, 0, v3
	v_sub_u32_e32 v1, 30, v6
	v_cndmask_b32_e32 v0, v2, v0, vcc
	v_lshlrev_b32_e32 v2, 8, v10
	v_cndmask_b32_e32 v1, v3, v1, vcc
	v_and_b32_e32 v2, 0x80000000, v2
	v_lshl_add_u32 v1, v1, 23, v2
	v_lshl_or_b32 v0, v0, 21, v1
	v_add_u32_e32 v1, 0x38000000, v0
                                        ; implicit-def: $vgpr2
                                        ; implicit-def: $vgpr0
.LBB6_13926:                            ;   in Loop: Header=BB6_13186 Depth=3
	s_andn2_saveexec_b64 s[34:35], s[34:35]
; %bb.13927:                            ;   in Loop: Header=BB6_13186 Depth=3
	v_mov_b32_e32 v1, -1
	v_cmp_gt_i16_sdwa vcc, sext(v0), v1 src0_sel:BYTE_0 src1_sel:DWORD
	v_mov_b32_e32 v0, 0xff800000
	v_mov_b32_e32 v1, 0x7f800000
	v_cndmask_b32_e32 v0, v0, v1, vcc
	v_cmp_eq_u32_e32 vcc, 0, v2
	v_mov_b32_e32 v1, 0x7f800001
	v_cndmask_b32_e32 v1, v1, v0, vcc
; %bb.13928:                            ;   in Loop: Header=BB6_13186 Depth=3
	s_or_b64 exec, exec, s[34:35]
.LBB6_13929:                            ;   in Loop: Header=BB6_13186 Depth=3
	s_or_b64 exec, exec, s[30:31]
.LBB6_13930:                            ;   in Loop: Header=BB6_13186 Depth=3
	s_or_b64 exec, exec, s[28:29]
	v_mul_f32_e32 v2, v12, v1
	v_and_b32_e32 v8, 0x7f800000, v2
	v_mov_b32_e32 v9, v33
	v_cmp_ne_u64_e32 vcc, s[76:77], v[8:9]
	v_and_b32_e32 v0, 0x7fffff, v2
	v_mov_b32_e32 v1, v33
                                        ; implicit-def: $vgpr3
                                        ; kill: killed $vgpr3
	s_and_saveexec_b64 s[28:29], vcc
	s_xor_b64 s[30:31], exec, s[28:29]
	s_cbranch_execz .LBB6_13944
; %bb.13931:                            ;   in Loop: Header=BB6_13186 Depth=3
	v_and_b32_e32 v8, 0x7fffffff, v2
	v_mov_b32_e32 v9, v33
	v_cmp_gt_u64_e32 vcc, s[78:79], v[8:9]
	v_and_b32_sdwa v3, v2, s97 dst_sel:DWORD dst_unused:UNUSED_PAD src0_sel:BYTE_3 src1_sel:DWORD
                                        ; implicit-def: $vgpr6
                                        ; kill: killed $vgpr6
	s_and_saveexec_b64 s[28:29], vcc
	s_xor_b64 s[34:35], exec, s[28:29]
	s_cbranch_execz .LBB6_13941
; %bb.13932:                            ;   in Loop: Header=BB6_13186 Depth=3
	v_mov_b32_e32 v6, 0
	v_cmp_ne_u32_e32 vcc, 0, v2
	buffer_store_dword v6, off, s[0:3], s33 offset:340 ; 4-byte Folded Spill
	s_and_saveexec_b64 s[36:37], vcc
	s_cbranch_execz .LBB6_13940
; %bb.13933:                            ;   in Loop: Header=BB6_13186 Depth=3
	v_bfe_u32 v6, v2, 23, 8
	v_cmp_gt_u32_e64 s[28:29], s47, v6
	v_sub_u32_e32 v2, 0x71, v6
	v_cmp_eq_u32_e32 vcc, 0, v6
	v_cndmask_b32_e64 v2, 0, v2, s[28:29]
	v_mov_b32_e32 v8, 0x70
	v_cndmask_b32_e32 v8, v2, v8, vcc
	v_add_u32_e32 v2, 21, v8
	v_or_b32_e32 v9, 0x800000, v0
	v_lshlrev_b64 v[13:14], v2, -1
	v_cndmask_b32_e32 v0, v9, v0, vcc
	v_add_u32_e32 v2, 20, v8
	v_bfi_b32 v13, v13, 0, v0
	v_lshlrev_b64 v[15:16], v2, 1
	v_lshrrev_b64 v[0:1], v8, v[0:1]
	v_bfi_b32 v14, v14, 0, 0
	v_cmp_eq_u64_e64 s[28:29], v[13:14], v[15:16]
	v_mov_b32_e32 v2, v1
	v_mov_b32_e32 v1, v0
	s_and_saveexec_b64 s[38:39], s[28:29]
; %bb.13934:                            ;   in Loop: Header=BB6_13186 Depth=3
	v_bfe_u32 v1, v0, 21, 1
	v_add_co_u32_e64 v1, s[28:29], v0, v1
	v_add_co_u32_e64 v1, s[28:29], -1, v1
; %bb.13935:                            ;   in Loop: Header=BB6_13186 Depth=3
	s_or_b64 exec, exec, s[38:39]
	v_add_u32_e32 v2, 0xffffff81, v6
	v_mov_b32_e32 v6, 0xffffff82
	v_cndmask_b32_e32 v2, v2, v6, vcc
	v_lshrrev_b32_e32 v6, 23, v0
	v_add3_u32 v8, v8, v2, v6
	v_add_u32_e32 v6, 14, v8
	v_and_b32_e32 v1, 0x1fffff, v1
	v_add_u32_e32 v0, v1, v0
	v_mov_b32_e32 v1, v33
	v_cmp_ne_u32_e32 vcc, 0, v6
                                        ; implicit-def: $vgpr2
	s_and_saveexec_b64 s[28:29], vcc
	s_xor_b64 s[28:29], exec, s[28:29]
; %bb.13936:                            ;   in Loop: Header=BB6_13186 Depth=3
	v_cmp_lt_u64_e32 vcc, s[88:89], v[0:1]
	v_add_u32_e32 v2, 15, v8
	v_cndmask_b32_e32 v2, v6, v2, vcc
	v_cndmask_b32_e64 v6, 0, 1, vcc
	v_lshrrev_b64 v[0:1], v6, v[0:1]
; %bb.13937:                            ;   in Loop: Header=BB6_13186 Depth=3
	s_andn2_saveexec_b64 s[28:29], s[28:29]
; %bb.13938:                            ;   in Loop: Header=BB6_13186 Depth=3
	v_bfe_u32 v2, v0, 23, 1
; %bb.13939:                            ;   in Loop: Header=BB6_13186 Depth=3
	s_or_b64 exec, exec, s[28:29]
	v_lshrrev_b64 v[0:1], 21, v[0:1]
	v_cmp_gt_i32_e32 vcc, 32, v2
	v_cndmask_b32_e32 v1, 0, v1, vcc
	v_cndmask_b32_e32 v0, 3, v0, vcc
	v_cmp_eq_u64_e64 s[28:29], 0, v[0:1]
	v_min_i32_e32 v1, 31, v2
	v_lshlrev_b32_e32 v1, 2, v1
	v_cmp_eq_u32_e32 vcc, 0, v2
	v_and_b32_e32 v1, 0xfc, v1
	v_and_or_b32 v0, v0, 3, v1
	s_and_b64 s[28:29], vcc, s[28:29]
	v_cndmask_b32_e64 v0, v0, 0, s[28:29]
	v_or_b32_e32 v0, v0, v3
	buffer_store_dword v0, off, s[0:3], s33 offset:340 ; 4-byte Folded Spill
.LBB6_13940:                            ;   in Loop: Header=BB6_13186 Depth=3
	s_or_b64 exec, exec, s[36:37]
                                        ; implicit-def: $vgpr3
.LBB6_13941:                            ;   in Loop: Header=BB6_13186 Depth=3
	s_andn2_saveexec_b64 s[28:29], s[34:35]
	s_cbranch_execz .LBB6_13943
; %bb.13942:                            ;   in Loop: Header=BB6_13186 Depth=3
	v_or_b32_e32 v0, 0x7b, v3
	buffer_store_dword v0, off, s[0:3], s33 offset:340 ; 4-byte Folded Spill
.LBB6_13943:                            ;   in Loop: Header=BB6_13186 Depth=3
	s_or_b64 exec, exec, s[28:29]
                                        ; implicit-def: $vgpr2
                                        ; implicit-def: $vgpr0_vgpr1
.LBB6_13944:                            ;   in Loop: Header=BB6_13186 Depth=3
	s_andn2_saveexec_b64 s[28:29], s[30:31]
	s_cbranch_execz .LBB6_13950
; %bb.13945:                            ;   in Loop: Header=BB6_13186 Depth=3
	v_cmp_ne_u64_e32 vcc, 0, v[0:1]
                                        ; implicit-def: $vgpr0
                                        ; kill: killed $vgpr0
	s_and_saveexec_b64 s[62:63], vcc
	s_xor_b64 vcc, exec, s[62:63]
	s_cbranch_execz .LBB6_13947
; %bb.13946:                            ;   in Loop: Header=BB6_13186 Depth=3
	v_or_b32_sdwa v0, v2, s44 dst_sel:DWORD dst_unused:UNUSED_PAD src0_sel:BYTE_3 src1_sel:DWORD
	buffer_store_dword v0, off, s[0:3], s33 offset:340 ; 4-byte Folded Spill
                                        ; implicit-def: $vgpr2
.LBB6_13947:                            ;   in Loop: Header=BB6_13186 Depth=3
	s_andn2_saveexec_b64 s[30:31], vcc
	s_cbranch_execz .LBB6_13949
; %bb.13948:                            ;   in Loop: Header=BB6_13186 Depth=3
	v_cmp_lt_i32_e32 vcc, -1, v2
	v_bfrev_b32_e32 v0, 0.5
	v_mov_b32_e32 v1, 0x7c
	v_cndmask_b32_e32 v0, v0, v1, vcc
	buffer_store_dword v0, off, s[0:3], s33 offset:340 ; 4-byte Folded Spill
.LBB6_13949:                            ;   in Loop: Header=BB6_13186 Depth=3
	s_or_b64 exec, exec, s[30:31]
.LBB6_13950:                            ;   in Loop: Header=BB6_13186 Depth=3
	s_or_b64 exec, exec, s[28:29]
	v_cmp_lt_u32_e32 vcc, s57, v10
	v_mov_b32_e32 v1, 0
	s_and_saveexec_b64 s[28:29], vcc
	s_cbranch_execz .LBB6_13958
; %bb.13951:                            ;   in Loop: Header=BB6_13186 Depth=3
	v_lshrrev_b32_e32 v0, 24, v10
	v_cmp_ne_u32_e32 vcc, s97, v0
	v_bfrev_b32_e32 v1, 1
	s_and_saveexec_b64 s[30:31], vcc
	s_cbranch_execz .LBB6_13957
; %bb.13952:                            ;   in Loop: Header=BB6_13186 Depth=3
	v_and_b32_e32 v1, 0x7c000000, v10
	v_bfe_u32 v2, v10, 24, 2
	v_cmp_ne_u32_e32 vcc, s68, v1
                                        ; implicit-def: $vgpr1
	s_and_saveexec_b64 s[62:63], vcc
	s_xor_b64 s[34:35], exec, s[62:63]
	s_cbranch_execz .LBB6_13954
; %bb.13953:                            ;   in Loop: Header=BB6_13186 Depth=3
	v_ffbh_u32_e32 v1, v2
	v_min_u32_e32 v6, 32, v1
	v_subrev_u32_e32 v1, 29, v6
	v_lshlrev_b64 v[0:1], v1, v[0:1]
	v_bfe_u32 v3, v10, 26, 5
	v_sub_u32_e32 v1, 30, v6
	v_and_b32_e32 v0, 3, v0
	v_cmp_eq_u32_e32 vcc, 0, v3
	v_cndmask_b32_e32 v1, v3, v1, vcc
	v_cndmask_b32_e32 v0, v2, v0, vcc
	v_and_b32_e32 v2, 0x80000000, v10
	v_lshl_add_u32 v1, v1, 23, v2
	v_lshl_or_b32 v0, v0, 21, v1
	v_add_u32_e32 v1, 0x38000000, v0
                                        ; implicit-def: $vgpr2
.LBB6_13954:                            ;   in Loop: Header=BB6_13186 Depth=3
	s_andn2_saveexec_b64 s[34:35], s[34:35]
; %bb.13955:                            ;   in Loop: Header=BB6_13186 Depth=3
	v_cmp_lt_i32_e32 vcc, -1, v10
	v_mov_b32_e32 v0, 0xff800000
	v_mov_b32_e32 v1, 0x7f800000
	v_cndmask_b32_e32 v0, v0, v1, vcc
	v_cmp_eq_u32_e32 vcc, 0, v2
	v_mov_b32_e32 v1, 0x7f800001
	v_cndmask_b32_e32 v1, v1, v0, vcc
; %bb.13956:                            ;   in Loop: Header=BB6_13186 Depth=3
	s_or_b64 exec, exec, s[34:35]
.LBB6_13957:                            ;   in Loop: Header=BB6_13186 Depth=3
	s_or_b64 exec, exec, s[30:31]
.LBB6_13958:                            ;   in Loop: Header=BB6_13186 Depth=3
	s_or_b64 exec, exec, s[28:29]
	v_mul_f32_e32 v2, v12, v1
	v_and_b32_e32 v8, 0x7f800000, v2
	v_mov_b32_e32 v9, v33
	v_cmp_ne_u64_e32 vcc, s[76:77], v[8:9]
	v_and_b32_e32 v0, 0x7fffff, v2
	v_mov_b32_e32 v1, v33
                                        ; implicit-def: $vgpr3
                                        ; kill: killed $vgpr3
	s_and_saveexec_b64 s[28:29], vcc
	s_xor_b64 s[30:31], exec, s[28:29]
	s_cbranch_execz .LBB6_13972
; %bb.13959:                            ;   in Loop: Header=BB6_13186 Depth=3
	v_and_b32_e32 v8, 0x7fffffff, v2
	v_mov_b32_e32 v9, v33
	v_cmp_gt_u64_e32 vcc, s[78:79], v[8:9]
	v_and_b32_sdwa v3, v2, s97 dst_sel:DWORD dst_unused:UNUSED_PAD src0_sel:BYTE_3 src1_sel:DWORD
                                        ; implicit-def: $vgpr6
                                        ; kill: killed $vgpr6
	s_and_saveexec_b64 s[28:29], vcc
	s_xor_b64 s[34:35], exec, s[28:29]
	s_cbranch_execz .LBB6_13969
; %bb.13960:                            ;   in Loop: Header=BB6_13186 Depth=3
	v_mov_b32_e32 v6, 0
	v_cmp_ne_u32_e32 vcc, 0, v2
	buffer_store_dword v6, off, s[0:3], s33 offset:356 ; 4-byte Folded Spill
	s_and_saveexec_b64 s[36:37], vcc
	s_cbranch_execz .LBB6_13968
; %bb.13961:                            ;   in Loop: Header=BB6_13186 Depth=3
	v_bfe_u32 v6, v2, 23, 8
	v_cmp_gt_u32_e64 s[28:29], s47, v6
	v_sub_u32_e32 v2, 0x71, v6
	v_cmp_eq_u32_e32 vcc, 0, v6
	v_cndmask_b32_e64 v2, 0, v2, s[28:29]
	v_mov_b32_e32 v8, 0x70
	v_cndmask_b32_e32 v8, v2, v8, vcc
	v_add_u32_e32 v2, 21, v8
	v_or_b32_e32 v9, 0x800000, v0
	v_lshlrev_b64 v[13:14], v2, -1
	v_cndmask_b32_e32 v0, v9, v0, vcc
	v_add_u32_e32 v2, 20, v8
	v_bfi_b32 v13, v13, 0, v0
	v_lshlrev_b64 v[15:16], v2, 1
	v_lshrrev_b64 v[0:1], v8, v[0:1]
	v_bfi_b32 v14, v14, 0, 0
	v_cmp_eq_u64_e64 s[28:29], v[13:14], v[15:16]
	v_mov_b32_e32 v2, v1
	v_mov_b32_e32 v1, v0
	s_and_saveexec_b64 s[38:39], s[28:29]
; %bb.13962:                            ;   in Loop: Header=BB6_13186 Depth=3
	v_bfe_u32 v1, v0, 21, 1
	v_add_co_u32_e64 v1, s[28:29], v0, v1
	v_add_co_u32_e64 v1, s[28:29], -1, v1
; %bb.13963:                            ;   in Loop: Header=BB6_13186 Depth=3
	s_or_b64 exec, exec, s[38:39]
	v_add_u32_e32 v2, 0xffffff81, v6
	v_mov_b32_e32 v6, 0xffffff82
	v_cndmask_b32_e32 v2, v2, v6, vcc
	v_lshrrev_b32_e32 v6, 23, v0
	v_add3_u32 v8, v8, v2, v6
	v_add_u32_e32 v6, 14, v8
	v_and_b32_e32 v1, 0x1fffff, v1
	v_add_u32_e32 v0, v1, v0
	v_mov_b32_e32 v1, v33
	v_cmp_ne_u32_e32 vcc, 0, v6
                                        ; implicit-def: $vgpr2
	s_and_saveexec_b64 s[28:29], vcc
	s_xor_b64 s[28:29], exec, s[28:29]
; %bb.13964:                            ;   in Loop: Header=BB6_13186 Depth=3
	v_cmp_lt_u64_e32 vcc, s[88:89], v[0:1]
	v_add_u32_e32 v2, 15, v8
	v_cndmask_b32_e32 v2, v6, v2, vcc
	v_cndmask_b32_e64 v6, 0, 1, vcc
	v_lshrrev_b64 v[0:1], v6, v[0:1]
; %bb.13965:                            ;   in Loop: Header=BB6_13186 Depth=3
	s_andn2_saveexec_b64 s[28:29], s[28:29]
; %bb.13966:                            ;   in Loop: Header=BB6_13186 Depth=3
	v_bfe_u32 v2, v0, 23, 1
; %bb.13967:                            ;   in Loop: Header=BB6_13186 Depth=3
	s_or_b64 exec, exec, s[28:29]
	v_lshrrev_b64 v[0:1], 21, v[0:1]
	v_cmp_gt_i32_e32 vcc, 32, v2
	v_cndmask_b32_e32 v1, 0, v1, vcc
	v_cndmask_b32_e32 v0, 3, v0, vcc
	v_cmp_eq_u64_e64 s[28:29], 0, v[0:1]
	v_min_i32_e32 v1, 31, v2
	v_lshlrev_b32_e32 v1, 2, v1
	v_cmp_eq_u32_e32 vcc, 0, v2
	v_and_b32_e32 v1, 0xfc, v1
	v_and_or_b32 v0, v0, 3, v1
	s_and_b64 s[28:29], vcc, s[28:29]
	v_cndmask_b32_e64 v0, v0, 0, s[28:29]
	v_or_b32_e32 v0, v0, v3
	buffer_store_dword v0, off, s[0:3], s33 offset:356 ; 4-byte Folded Spill
.LBB6_13968:                            ;   in Loop: Header=BB6_13186 Depth=3
	s_or_b64 exec, exec, s[36:37]
                                        ; implicit-def: $vgpr3
.LBB6_13969:                            ;   in Loop: Header=BB6_13186 Depth=3
	s_andn2_saveexec_b64 s[28:29], s[34:35]
	s_cbranch_execz .LBB6_13971
; %bb.13970:                            ;   in Loop: Header=BB6_13186 Depth=3
	v_or_b32_e32 v0, 0x7b, v3
	buffer_store_dword v0, off, s[0:3], s33 offset:356 ; 4-byte Folded Spill
.LBB6_13971:                            ;   in Loop: Header=BB6_13186 Depth=3
	s_or_b64 exec, exec, s[28:29]
                                        ; implicit-def: $vgpr2
                                        ; implicit-def: $vgpr0_vgpr1
.LBB6_13972:                            ;   in Loop: Header=BB6_13186 Depth=3
	s_andn2_saveexec_b64 s[28:29], s[30:31]
	s_cbranch_execz .LBB6_13978
; %bb.13973:                            ;   in Loop: Header=BB6_13186 Depth=3
	v_cmp_ne_u64_e32 vcc, 0, v[0:1]
                                        ; implicit-def: $vgpr0
                                        ; kill: killed $vgpr0
	s_and_saveexec_b64 s[62:63], vcc
	s_xor_b64 vcc, exec, s[62:63]
	s_cbranch_execz .LBB6_13975
; %bb.13974:                            ;   in Loop: Header=BB6_13186 Depth=3
	v_or_b32_sdwa v0, v2, s44 dst_sel:DWORD dst_unused:UNUSED_PAD src0_sel:BYTE_3 src1_sel:DWORD
	buffer_store_dword v0, off, s[0:3], s33 offset:356 ; 4-byte Folded Spill
                                        ; implicit-def: $vgpr2
.LBB6_13975:                            ;   in Loop: Header=BB6_13186 Depth=3
	s_andn2_saveexec_b64 s[30:31], vcc
	s_cbranch_execz .LBB6_13977
; %bb.13976:                            ;   in Loop: Header=BB6_13186 Depth=3
	v_cmp_lt_i32_e32 vcc, -1, v2
	v_bfrev_b32_e32 v0, 0.5
	v_mov_b32_e32 v1, 0x7c
	v_cndmask_b32_e32 v0, v0, v1, vcc
	buffer_store_dword v0, off, s[0:3], s33 offset:356 ; 4-byte Folded Spill
.LBB6_13977:                            ;   in Loop: Header=BB6_13186 Depth=3
	s_or_b64 exec, exec, s[30:31]
.LBB6_13978:                            ;   in Loop: Header=BB6_13186 Depth=3
	s_or_b64 exec, exec, s[28:29]
	v_mov_b32_e32 v0, v11
	v_mov_b32_e32 v1, v33
	v_cmp_ne_u16_sdwa s[62:63], v11, v33 src0_sel:BYTE_0 src1_sel:DWORD
	v_mov_b32_e32 v2, 0
	s_and_saveexec_b64 s[28:29], s[62:63]
	s_cbranch_execz .LBB6_13986
; %bb.13979:                            ;   in Loop: Header=BB6_13186 Depth=3
	v_cmp_ne_u16_sdwa s[62:63], v11, s97 src0_sel:BYTE_0 src1_sel:DWORD
	v_bfrev_b32_e32 v2, 1
	s_and_saveexec_b64 s[30:31], s[62:63]
	s_cbranch_execz .LBB6_13985
; %bb.13980:                            ;   in Loop: Header=BB6_13186 Depth=3
	v_and_b32_e32 v2, 0x7c, v11
	v_and_b32_e32 v3, 3, v11
	v_cmp_ne_u32_e32 vcc, s86, v2
                                        ; implicit-def: $vgpr2
	s_and_saveexec_b64 s[62:63], vcc
	s_xor_b64 s[34:35], exec, s[62:63]
	s_cbranch_execz .LBB6_13982
; %bb.13981:                            ;   in Loop: Header=BB6_13186 Depth=3
	v_ffbh_u32_e32 v2, v3
	v_min_u32_e32 v8, 32, v2
	v_subrev_u32_e32 v2, 29, v8
	v_lshlrev_b64 v[1:2], v2, v[0:1]
	v_bfe_u32 v6, v11, 2, 5
	v_and_b32_e32 v1, 3, v1
	v_cmp_eq_u32_e32 vcc, 0, v6
	v_sub_u32_e32 v2, 30, v8
	v_cndmask_b32_e32 v1, v3, v1, vcc
	v_lshlrev_b32_e32 v3, 24, v11
	v_cndmask_b32_e32 v2, v6, v2, vcc
	v_and_b32_e32 v3, 0x80000000, v3
	v_lshl_add_u32 v2, v2, 23, v3
	v_lshl_or_b32 v1, v1, 21, v2
	v_add_u32_e32 v2, 0x38000000, v1
                                        ; implicit-def: $vgpr3
.LBB6_13982:                            ;   in Loop: Header=BB6_13186 Depth=3
	s_andn2_saveexec_b64 s[34:35], s[34:35]
; %bb.13983:                            ;   in Loop: Header=BB6_13186 Depth=3
	v_mov_b32_e32 v1, -1
	v_cmp_gt_i16_sdwa vcc, sext(v11), v1 src0_sel:BYTE_0 src1_sel:DWORD
	v_mov_b32_e32 v1, 0xff800000
	v_mov_b32_e32 v2, 0x7f800000
	v_cndmask_b32_e32 v1, v1, v2, vcc
	v_cmp_eq_u32_e32 vcc, 0, v3
	v_mov_b32_e32 v2, 0x7f800001
	v_cndmask_b32_e32 v2, v2, v1, vcc
; %bb.13984:                            ;   in Loop: Header=BB6_13186 Depth=3
	s_or_b64 exec, exec, s[34:35]
.LBB6_13985:                            ;   in Loop: Header=BB6_13186 Depth=3
	s_or_b64 exec, exec, s[30:31]
.LBB6_13986:                            ;   in Loop: Header=BB6_13186 Depth=3
	s_or_b64 exec, exec, s[28:29]
	v_mul_f32_e32 v3, v12, v2
	v_and_b32_e32 v8, 0x7f800000, v3
	v_mov_b32_e32 v9, v33
	v_cmp_ne_u64_e32 vcc, s[76:77], v[8:9]
	v_and_b32_e32 v1, 0x7fffff, v3
	v_mov_b32_e32 v2, v33
                                        ; implicit-def: $vgpr25
	s_and_saveexec_b64 s[28:29], vcc
	s_xor_b64 s[30:31], exec, s[28:29]
	s_cbranch_execz .LBB6_14000
; %bb.13987:                            ;   in Loop: Header=BB6_13186 Depth=3
	v_and_b32_e32 v8, 0x7fffffff, v3
	v_mov_b32_e32 v9, v33
	v_cmp_gt_u64_e32 vcc, s[78:79], v[8:9]
	v_and_b32_sdwa v6, v3, s97 dst_sel:DWORD dst_unused:UNUSED_PAD src0_sel:BYTE_3 src1_sel:DWORD
                                        ; implicit-def: $vgpr25
	s_and_saveexec_b64 s[28:29], vcc
	s_xor_b64 s[34:35], exec, s[28:29]
	s_cbranch_execz .LBB6_13997
; %bb.13988:                            ;   in Loop: Header=BB6_13186 Depth=3
	v_mov_b32_e32 v25, 0
	v_cmp_ne_u32_e32 vcc, 0, v3
	s_and_saveexec_b64 s[36:37], vcc
	s_cbranch_execz .LBB6_13996
; %bb.13989:                            ;   in Loop: Header=BB6_13186 Depth=3
	v_bfe_u32 v8, v3, 23, 8
	v_cmp_gt_u32_e64 s[28:29], s47, v8
	v_sub_u32_e32 v3, 0x71, v8
	v_cmp_eq_u32_e32 vcc, 0, v8
	v_cndmask_b32_e64 v3, 0, v3, s[28:29]
	v_mov_b32_e32 v9, 0x70
	v_cndmask_b32_e32 v9, v3, v9, vcc
	v_or_b32_e32 v13, 0x800000, v1
	v_add_u32_e32 v3, 21, v9
	v_cndmask_b32_e32 v1, v13, v1, vcc
	v_lshlrev_b64 v[13:14], v3, -1
	v_add_u32_e32 v3, 20, v9
	v_bfi_b32 v13, v13, 0, v1
	v_lshlrev_b64 v[15:16], v3, 1
	v_lshrrev_b64 v[1:2], v9, v[1:2]
	v_bfi_b32 v14, v14, 0, 0
	v_cmp_eq_u64_e64 s[28:29], v[13:14], v[15:16]
	v_mov_b32_e32 v3, v2
	v_mov_b32_e32 v2, v1
	s_and_saveexec_b64 s[38:39], s[28:29]
; %bb.13990:                            ;   in Loop: Header=BB6_13186 Depth=3
	v_bfe_u32 v2, v1, 21, 1
	v_add_co_u32_e64 v2, s[28:29], v1, v2
	v_add_co_u32_e64 v2, s[28:29], -1, v2
; %bb.13991:                            ;   in Loop: Header=BB6_13186 Depth=3
	s_or_b64 exec, exec, s[38:39]
	v_add_u32_e32 v3, 0xffffff81, v8
	v_mov_b32_e32 v8, 0xffffff82
	v_cndmask_b32_e32 v3, v3, v8, vcc
	v_lshrrev_b32_e32 v8, 23, v1
	v_add3_u32 v9, v9, v3, v8
	v_add_u32_e32 v8, 14, v9
	v_and_b32_e32 v2, 0x1fffff, v2
	v_add_u32_e32 v1, v2, v1
	v_mov_b32_e32 v2, v33
	v_cmp_ne_u32_e32 vcc, 0, v8
                                        ; implicit-def: $vgpr3
	s_and_saveexec_b64 s[28:29], vcc
	s_xor_b64 s[28:29], exec, s[28:29]
; %bb.13992:                            ;   in Loop: Header=BB6_13186 Depth=3
	v_cmp_lt_u64_e32 vcc, s[88:89], v[1:2]
	v_add_u32_e32 v3, 15, v9
	v_cndmask_b32_e32 v3, v8, v3, vcc
	v_cndmask_b32_e64 v8, 0, 1, vcc
	v_lshrrev_b64 v[1:2], v8, v[1:2]
; %bb.13993:                            ;   in Loop: Header=BB6_13186 Depth=3
	s_andn2_saveexec_b64 s[28:29], s[28:29]
; %bb.13994:                            ;   in Loop: Header=BB6_13186 Depth=3
	v_bfe_u32 v3, v1, 23, 1
; %bb.13995:                            ;   in Loop: Header=BB6_13186 Depth=3
	s_or_b64 exec, exec, s[28:29]
	v_lshrrev_b64 v[1:2], 21, v[1:2]
	v_cmp_gt_i32_e32 vcc, 32, v3
	v_cndmask_b32_e32 v2, 0, v2, vcc
	v_cndmask_b32_e32 v1, 3, v1, vcc
	v_cmp_eq_u64_e64 s[28:29], 0, v[1:2]
	v_min_i32_e32 v2, 31, v3
	v_lshlrev_b32_e32 v2, 2, v2
	v_cmp_eq_u32_e32 vcc, 0, v3
	v_and_b32_e32 v2, 0xfc, v2
	v_and_or_b32 v1, v1, 3, v2
	s_and_b64 s[28:29], vcc, s[28:29]
	v_cndmask_b32_e64 v1, v1, 0, s[28:29]
	v_or_b32_e32 v25, v1, v6
.LBB6_13996:                            ;   in Loop: Header=BB6_13186 Depth=3
	s_or_b64 exec, exec, s[36:37]
                                        ; implicit-def: $vgpr6
.LBB6_13997:                            ;   in Loop: Header=BB6_13186 Depth=3
	s_andn2_saveexec_b64 s[28:29], s[34:35]
; %bb.13998:                            ;   in Loop: Header=BB6_13186 Depth=3
	v_or_b32_e32 v25, 0x7b, v6
; %bb.13999:                            ;   in Loop: Header=BB6_13186 Depth=3
	s_or_b64 exec, exec, s[28:29]
                                        ; implicit-def: $vgpr3
                                        ; implicit-def: $vgpr1_vgpr2
.LBB6_14000:                            ;   in Loop: Header=BB6_13186 Depth=3
	s_andn2_saveexec_b64 s[28:29], s[30:31]
	s_cbranch_execz .LBB6_14006
; %bb.14001:                            ;   in Loop: Header=BB6_13186 Depth=3
	v_cmp_ne_u64_e32 vcc, 0, v[1:2]
                                        ; implicit-def: $vgpr25
	s_and_saveexec_b64 s[62:63], vcc
	s_xor_b64 vcc, exec, s[62:63]
; %bb.14002:                            ;   in Loop: Header=BB6_13186 Depth=3
	v_or_b32_sdwa v25, v3, s44 dst_sel:DWORD dst_unused:UNUSED_PAD src0_sel:BYTE_3 src1_sel:DWORD
                                        ; implicit-def: $vgpr3
; %bb.14003:                            ;   in Loop: Header=BB6_13186 Depth=3
	s_andn2_saveexec_b64 s[30:31], vcc
; %bb.14004:                            ;   in Loop: Header=BB6_13186 Depth=3
	v_cmp_lt_i32_e32 vcc, -1, v3
	v_bfrev_b32_e32 v1, 0.5
	v_mov_b32_e32 v2, 0x7c
	v_cndmask_b32_e32 v25, v1, v2, vcc
; %bb.14005:                            ;   in Loop: Header=BB6_13186 Depth=3
	s_or_b64 exec, exec, s[30:31]
.LBB6_14006:                            ;   in Loop: Header=BB6_13186 Depth=3
	s_or_b64 exec, exec, s[28:29]
	v_lshrrev_b16_e32 v1, 8, v0
	v_cmp_ne_u16_e32 vcc, 0, v1
	v_mov_b32_e32 v2, 0
	s_and_saveexec_b64 s[28:29], vcc
	s_cbranch_execz .LBB6_14014
; %bb.14007:                            ;   in Loop: Header=BB6_13186 Depth=3
	v_cmp_ne_u16_e32 vcc, s97, v1
	v_bfrev_b32_e32 v2, 1
	s_and_saveexec_b64 s[30:31], vcc
	s_cbranch_execz .LBB6_14013
; %bb.14008:                            ;   in Loop: Header=BB6_13186 Depth=3
	v_and_b32_e32 v2, 0x7c, v1
	v_and_b32_e32 v3, 3, v1
	v_cmp_ne_u32_e32 vcc, s86, v2
                                        ; implicit-def: $vgpr2
	s_and_saveexec_b64 s[62:63], vcc
	s_xor_b64 s[34:35], exec, s[62:63]
	s_cbranch_execz .LBB6_14010
; %bb.14009:                            ;   in Loop: Header=BB6_13186 Depth=3
	v_ffbh_u32_e32 v8, v3
	v_min_u32_e32 v8, 32, v8
	v_mov_b32_e32 v2, v33
	v_subrev_u32_e32 v9, 29, v8
	v_bfe_u32 v6, v1, 2, 5
	v_lshlrev_b64 v[1:2], v9, v[1:2]
	v_sub_u32_e32 v2, 30, v8
	v_cmp_eq_u32_e32 vcc, 0, v6
	v_lshlrev_b32_e32 v0, 16, v0
	v_and_b32_e32 v1, 3, v1
	v_cndmask_b32_e32 v2, v6, v2, vcc
	v_and_b32_e32 v0, 0x80000000, v0
	v_cndmask_b32_e32 v1, v3, v1, vcc
	v_lshl_add_u32 v0, v2, 23, v0
	v_lshl_or_b32 v0, v1, 21, v0
	v_add_u32_e32 v2, 0x38000000, v0
                                        ; implicit-def: $vgpr3
                                        ; implicit-def: $vgpr0_vgpr1
.LBB6_14010:                            ;   in Loop: Header=BB6_13186 Depth=3
	s_andn2_saveexec_b64 s[34:35], s[34:35]
; %bb.14011:                            ;   in Loop: Header=BB6_13186 Depth=3
	v_cmp_lt_i16_e32 vcc, -1, v0
	v_mov_b32_e32 v0, 0xff800000
	v_mov_b32_e32 v1, 0x7f800000
	v_cndmask_b32_e32 v0, v0, v1, vcc
	v_cmp_eq_u32_e32 vcc, 0, v3
	v_mov_b32_e32 v1, 0x7f800001
	v_cndmask_b32_e32 v2, v1, v0, vcc
; %bb.14012:                            ;   in Loop: Header=BB6_13186 Depth=3
	s_or_b64 exec, exec, s[34:35]
.LBB6_14013:                            ;   in Loop: Header=BB6_13186 Depth=3
	s_or_b64 exec, exec, s[30:31]
.LBB6_14014:                            ;   in Loop: Header=BB6_13186 Depth=3
	s_or_b64 exec, exec, s[28:29]
	v_mul_f32_e32 v2, v12, v2
	v_and_b32_e32 v8, 0x7f800000, v2
	v_mov_b32_e32 v9, v33
	v_cmp_ne_u64_e32 vcc, s[76:77], v[8:9]
	v_and_b32_e32 v0, 0x7fffff, v2
	v_mov_b32_e32 v1, v33
                                        ; implicit-def: $vgpr3
                                        ; kill: killed $vgpr3
	s_and_saveexec_b64 s[28:29], vcc
	s_xor_b64 s[30:31], exec, s[28:29]
	s_cbranch_execz .LBB6_14028
; %bb.14015:                            ;   in Loop: Header=BB6_13186 Depth=3
	v_and_b32_e32 v8, 0x7fffffff, v2
	v_mov_b32_e32 v9, v33
	v_cmp_gt_u64_e32 vcc, s[78:79], v[8:9]
	v_and_b32_sdwa v3, v2, s97 dst_sel:DWORD dst_unused:UNUSED_PAD src0_sel:BYTE_3 src1_sel:DWORD
                                        ; implicit-def: $vgpr6
                                        ; kill: killed $vgpr6
	s_and_saveexec_b64 s[28:29], vcc
	s_xor_b64 s[34:35], exec, s[28:29]
	s_cbranch_execz .LBB6_14025
; %bb.14016:                            ;   in Loop: Header=BB6_13186 Depth=3
	v_mov_b32_e32 v6, 0
	v_cmp_ne_u32_e32 vcc, 0, v2
	buffer_store_dword v6, off, s[0:3], s33 offset:320 ; 4-byte Folded Spill
	s_and_saveexec_b64 s[36:37], vcc
	s_cbranch_execz .LBB6_14024
; %bb.14017:                            ;   in Loop: Header=BB6_13186 Depth=3
	v_bfe_u32 v6, v2, 23, 8
	v_cmp_gt_u32_e64 s[28:29], s47, v6
	v_sub_u32_e32 v2, 0x71, v6
	v_cmp_eq_u32_e32 vcc, 0, v6
	v_cndmask_b32_e64 v2, 0, v2, s[28:29]
	v_mov_b32_e32 v8, 0x70
	v_cndmask_b32_e32 v8, v2, v8, vcc
	v_add_u32_e32 v2, 21, v8
	v_or_b32_e32 v9, 0x800000, v0
	v_lshlrev_b64 v[13:14], v2, -1
	v_cndmask_b32_e32 v0, v9, v0, vcc
	v_add_u32_e32 v2, 20, v8
	v_bfi_b32 v13, v13, 0, v0
	v_lshlrev_b64 v[15:16], v2, 1
	v_lshrrev_b64 v[0:1], v8, v[0:1]
	v_bfi_b32 v14, v14, 0, 0
	v_cmp_eq_u64_e64 s[28:29], v[13:14], v[15:16]
	v_mov_b32_e32 v2, v1
	v_mov_b32_e32 v1, v0
	s_and_saveexec_b64 s[38:39], s[28:29]
; %bb.14018:                            ;   in Loop: Header=BB6_13186 Depth=3
	v_bfe_u32 v1, v0, 21, 1
	v_add_co_u32_e64 v1, s[28:29], v0, v1
	v_add_co_u32_e64 v1, s[28:29], -1, v1
; %bb.14019:                            ;   in Loop: Header=BB6_13186 Depth=3
	s_or_b64 exec, exec, s[38:39]
	v_add_u32_e32 v2, 0xffffff81, v6
	v_mov_b32_e32 v6, 0xffffff82
	v_cndmask_b32_e32 v2, v2, v6, vcc
	v_lshrrev_b32_e32 v6, 23, v0
	v_add3_u32 v8, v8, v2, v6
	v_add_u32_e32 v6, 14, v8
	v_and_b32_e32 v1, 0x1fffff, v1
	v_add_u32_e32 v0, v1, v0
	v_mov_b32_e32 v1, v33
	v_cmp_ne_u32_e32 vcc, 0, v6
                                        ; implicit-def: $vgpr2
	s_and_saveexec_b64 s[28:29], vcc
	s_xor_b64 s[28:29], exec, s[28:29]
; %bb.14020:                            ;   in Loop: Header=BB6_13186 Depth=3
	v_cmp_lt_u64_e32 vcc, s[88:89], v[0:1]
	v_add_u32_e32 v2, 15, v8
	v_cndmask_b32_e32 v2, v6, v2, vcc
	v_cndmask_b32_e64 v6, 0, 1, vcc
	v_lshrrev_b64 v[0:1], v6, v[0:1]
; %bb.14021:                            ;   in Loop: Header=BB6_13186 Depth=3
	s_andn2_saveexec_b64 s[28:29], s[28:29]
; %bb.14022:                            ;   in Loop: Header=BB6_13186 Depth=3
	v_bfe_u32 v2, v0, 23, 1
; %bb.14023:                            ;   in Loop: Header=BB6_13186 Depth=3
	s_or_b64 exec, exec, s[28:29]
	v_lshrrev_b64 v[0:1], 21, v[0:1]
	v_cmp_gt_i32_e32 vcc, 32, v2
	v_cndmask_b32_e32 v1, 0, v1, vcc
	v_cndmask_b32_e32 v0, 3, v0, vcc
	v_cmp_eq_u64_e64 s[28:29], 0, v[0:1]
	v_min_i32_e32 v1, 31, v2
	v_lshlrev_b32_e32 v1, 2, v1
	v_cmp_eq_u32_e32 vcc, 0, v2
	v_and_b32_e32 v1, 0xfc, v1
	v_and_or_b32 v0, v0, 3, v1
	s_and_b64 s[28:29], vcc, s[28:29]
	v_cndmask_b32_e64 v0, v0, 0, s[28:29]
	v_or_b32_e32 v0, v0, v3
	buffer_store_dword v0, off, s[0:3], s33 offset:320 ; 4-byte Folded Spill
.LBB6_14024:                            ;   in Loop: Header=BB6_13186 Depth=3
	s_or_b64 exec, exec, s[36:37]
                                        ; implicit-def: $vgpr3
.LBB6_14025:                            ;   in Loop: Header=BB6_13186 Depth=3
	s_andn2_saveexec_b64 s[28:29], s[34:35]
	s_cbranch_execz .LBB6_14027
; %bb.14026:                            ;   in Loop: Header=BB6_13186 Depth=3
	v_or_b32_e32 v0, 0x7b, v3
	buffer_store_dword v0, off, s[0:3], s33 offset:320 ; 4-byte Folded Spill
.LBB6_14027:                            ;   in Loop: Header=BB6_13186 Depth=3
	s_or_b64 exec, exec, s[28:29]
                                        ; implicit-def: $vgpr2
                                        ; implicit-def: $vgpr0_vgpr1
.LBB6_14028:                            ;   in Loop: Header=BB6_13186 Depth=3
	s_andn2_saveexec_b64 s[28:29], s[30:31]
	s_cbranch_execz .LBB6_14034
; %bb.14029:                            ;   in Loop: Header=BB6_13186 Depth=3
	v_cmp_ne_u64_e32 vcc, 0, v[0:1]
                                        ; implicit-def: $vgpr0
                                        ; kill: killed $vgpr0
	s_and_saveexec_b64 s[62:63], vcc
	s_xor_b64 vcc, exec, s[62:63]
	s_cbranch_execz .LBB6_14031
; %bb.14030:                            ;   in Loop: Header=BB6_13186 Depth=3
	v_or_b32_sdwa v0, v2, s44 dst_sel:DWORD dst_unused:UNUSED_PAD src0_sel:BYTE_3 src1_sel:DWORD
	buffer_store_dword v0, off, s[0:3], s33 offset:320 ; 4-byte Folded Spill
                                        ; implicit-def: $vgpr2
.LBB6_14031:                            ;   in Loop: Header=BB6_13186 Depth=3
	s_andn2_saveexec_b64 s[30:31], vcc
	s_cbranch_execz .LBB6_14033
; %bb.14032:                            ;   in Loop: Header=BB6_13186 Depth=3
	v_cmp_lt_i32_e32 vcc, -1, v2
	v_bfrev_b32_e32 v0, 0.5
	v_mov_b32_e32 v1, 0x7c
	v_cndmask_b32_e32 v0, v0, v1, vcc
	buffer_store_dword v0, off, s[0:3], s33 offset:320 ; 4-byte Folded Spill
.LBB6_14033:                            ;   in Loop: Header=BB6_13186 Depth=3
	s_or_b64 exec, exec, s[30:31]
.LBB6_14034:                            ;   in Loop: Header=BB6_13186 Depth=3
	s_or_b64 exec, exec, s[28:29]
	v_lshrrev_b32_e32 v0, 16, v11
	v_cmp_ne_u16_sdwa s[62:63], v0, v33 src0_sel:BYTE_0 src1_sel:DWORD
	v_mov_b32_e32 v1, 0
	s_and_saveexec_b64 s[28:29], s[62:63]
	s_cbranch_execz .LBB6_14042
; %bb.14035:                            ;   in Loop: Header=BB6_13186 Depth=3
	v_cmp_ne_u16_sdwa s[62:63], v0, s97 src0_sel:BYTE_0 src1_sel:DWORD
	v_bfrev_b32_e32 v1, 1
	s_and_saveexec_b64 s[30:31], s[62:63]
	s_cbranch_execz .LBB6_14041
; %bb.14036:                            ;   in Loop: Header=BB6_13186 Depth=3
	v_and_b32_e32 v1, 0x7c0000, v11
	v_bfe_u32 v2, v11, 16, 2
	v_cmp_ne_u32_e32 vcc, s45, v1
                                        ; implicit-def: $vgpr1
	s_and_saveexec_b64 s[62:63], vcc
	s_xor_b64 s[34:35], exec, s[62:63]
	s_cbranch_execz .LBB6_14038
; %bb.14037:                            ;   in Loop: Header=BB6_13186 Depth=3
	v_ffbh_u32_e32 v1, v2
	v_min_u32_e32 v6, 32, v1
	v_subrev_u32_e32 v1, 29, v6
	v_lshlrev_b64 v[0:1], v1, v[0:1]
	v_bfe_u32 v3, v11, 18, 5
	v_and_b32_e32 v0, 3, v0
	v_cmp_eq_u32_e32 vcc, 0, v3
	v_sub_u32_e32 v1, 30, v6
	v_cndmask_b32_e32 v0, v2, v0, vcc
	v_lshlrev_b32_e32 v2, 8, v11
	v_cndmask_b32_e32 v1, v3, v1, vcc
	v_and_b32_e32 v2, 0x80000000, v2
	v_lshl_add_u32 v1, v1, 23, v2
	v_lshl_or_b32 v0, v0, 21, v1
	v_add_u32_e32 v1, 0x38000000, v0
                                        ; implicit-def: $vgpr2
                                        ; implicit-def: $vgpr0
.LBB6_14038:                            ;   in Loop: Header=BB6_13186 Depth=3
	s_andn2_saveexec_b64 s[34:35], s[34:35]
; %bb.14039:                            ;   in Loop: Header=BB6_13186 Depth=3
	v_mov_b32_e32 v1, -1
	v_cmp_gt_i16_sdwa vcc, sext(v0), v1 src0_sel:BYTE_0 src1_sel:DWORD
	v_mov_b32_e32 v0, 0xff800000
	v_mov_b32_e32 v1, 0x7f800000
	v_cndmask_b32_e32 v0, v0, v1, vcc
	v_cmp_eq_u32_e32 vcc, 0, v2
	v_mov_b32_e32 v1, 0x7f800001
	v_cndmask_b32_e32 v1, v1, v0, vcc
; %bb.14040:                            ;   in Loop: Header=BB6_13186 Depth=3
	s_or_b64 exec, exec, s[34:35]
.LBB6_14041:                            ;   in Loop: Header=BB6_13186 Depth=3
	s_or_b64 exec, exec, s[30:31]
.LBB6_14042:                            ;   in Loop: Header=BB6_13186 Depth=3
	s_or_b64 exec, exec, s[28:29]
	v_mul_f32_e32 v2, v12, v1
	v_and_b32_e32 v8, 0x7f800000, v2
	v_mov_b32_e32 v9, v33
	v_cmp_ne_u64_e32 vcc, s[76:77], v[8:9]
	v_and_b32_e32 v0, 0x7fffff, v2
	v_mov_b32_e32 v1, v33
                                        ; implicit-def: $vgpr3
                                        ; kill: killed $vgpr3
	s_and_saveexec_b64 s[28:29], vcc
	s_xor_b64 s[30:31], exec, s[28:29]
	s_cbranch_execz .LBB6_14056
; %bb.14043:                            ;   in Loop: Header=BB6_13186 Depth=3
	v_and_b32_e32 v8, 0x7fffffff, v2
	v_mov_b32_e32 v9, v33
	v_cmp_gt_u64_e32 vcc, s[78:79], v[8:9]
	v_and_b32_sdwa v3, v2, s97 dst_sel:DWORD dst_unused:UNUSED_PAD src0_sel:BYTE_3 src1_sel:DWORD
                                        ; implicit-def: $vgpr6
                                        ; kill: killed $vgpr6
	s_and_saveexec_b64 s[28:29], vcc
	s_xor_b64 s[34:35], exec, s[28:29]
	s_cbranch_execz .LBB6_14053
; %bb.14044:                            ;   in Loop: Header=BB6_13186 Depth=3
	v_mov_b32_e32 v6, 0
	v_cmp_ne_u32_e32 vcc, 0, v2
	buffer_store_dword v6, off, s[0:3], s33 offset:328 ; 4-byte Folded Spill
	s_and_saveexec_b64 s[36:37], vcc
	s_cbranch_execz .LBB6_14052
; %bb.14045:                            ;   in Loop: Header=BB6_13186 Depth=3
	v_bfe_u32 v6, v2, 23, 8
	v_cmp_gt_u32_e64 s[28:29], s47, v6
	v_sub_u32_e32 v2, 0x71, v6
	v_cmp_eq_u32_e32 vcc, 0, v6
	v_cndmask_b32_e64 v2, 0, v2, s[28:29]
	v_mov_b32_e32 v8, 0x70
	v_cndmask_b32_e32 v8, v2, v8, vcc
	v_add_u32_e32 v2, 21, v8
	v_or_b32_e32 v9, 0x800000, v0
	v_lshlrev_b64 v[13:14], v2, -1
	v_cndmask_b32_e32 v0, v9, v0, vcc
	v_add_u32_e32 v2, 20, v8
	v_bfi_b32 v13, v13, 0, v0
	v_lshlrev_b64 v[15:16], v2, 1
	v_lshrrev_b64 v[0:1], v8, v[0:1]
	v_bfi_b32 v14, v14, 0, 0
	v_cmp_eq_u64_e64 s[28:29], v[13:14], v[15:16]
	v_mov_b32_e32 v2, v1
	v_mov_b32_e32 v1, v0
	s_and_saveexec_b64 s[38:39], s[28:29]
; %bb.14046:                            ;   in Loop: Header=BB6_13186 Depth=3
	v_bfe_u32 v1, v0, 21, 1
	v_add_co_u32_e64 v1, s[28:29], v0, v1
	v_add_co_u32_e64 v1, s[28:29], -1, v1
; %bb.14047:                            ;   in Loop: Header=BB6_13186 Depth=3
	s_or_b64 exec, exec, s[38:39]
	v_add_u32_e32 v2, 0xffffff81, v6
	v_mov_b32_e32 v6, 0xffffff82
	v_cndmask_b32_e32 v2, v2, v6, vcc
	v_lshrrev_b32_e32 v6, 23, v0
	v_add3_u32 v8, v8, v2, v6
	v_add_u32_e32 v6, 14, v8
	v_and_b32_e32 v1, 0x1fffff, v1
	v_add_u32_e32 v0, v1, v0
	v_mov_b32_e32 v1, v33
	v_cmp_ne_u32_e32 vcc, 0, v6
                                        ; implicit-def: $vgpr2
	s_and_saveexec_b64 s[28:29], vcc
	s_xor_b64 s[28:29], exec, s[28:29]
; %bb.14048:                            ;   in Loop: Header=BB6_13186 Depth=3
	v_cmp_lt_u64_e32 vcc, s[88:89], v[0:1]
	v_add_u32_e32 v2, 15, v8
	v_cndmask_b32_e32 v2, v6, v2, vcc
	v_cndmask_b32_e64 v6, 0, 1, vcc
	v_lshrrev_b64 v[0:1], v6, v[0:1]
; %bb.14049:                            ;   in Loop: Header=BB6_13186 Depth=3
	s_andn2_saveexec_b64 s[28:29], s[28:29]
; %bb.14050:                            ;   in Loop: Header=BB6_13186 Depth=3
	v_bfe_u32 v2, v0, 23, 1
; %bb.14051:                            ;   in Loop: Header=BB6_13186 Depth=3
	s_or_b64 exec, exec, s[28:29]
	v_lshrrev_b64 v[0:1], 21, v[0:1]
	v_cmp_gt_i32_e32 vcc, 32, v2
	v_cndmask_b32_e32 v1, 0, v1, vcc
	v_cndmask_b32_e32 v0, 3, v0, vcc
	v_cmp_eq_u64_e64 s[28:29], 0, v[0:1]
	v_min_i32_e32 v1, 31, v2
	v_lshlrev_b32_e32 v1, 2, v1
	v_cmp_eq_u32_e32 vcc, 0, v2
	v_and_b32_e32 v1, 0xfc, v1
	v_and_or_b32 v0, v0, 3, v1
	s_and_b64 s[28:29], vcc, s[28:29]
	v_cndmask_b32_e64 v0, v0, 0, s[28:29]
	v_or_b32_e32 v0, v0, v3
	buffer_store_dword v0, off, s[0:3], s33 offset:328 ; 4-byte Folded Spill
.LBB6_14052:                            ;   in Loop: Header=BB6_13186 Depth=3
	s_or_b64 exec, exec, s[36:37]
                                        ; implicit-def: $vgpr3
.LBB6_14053:                            ;   in Loop: Header=BB6_13186 Depth=3
	s_andn2_saveexec_b64 s[28:29], s[34:35]
	s_cbranch_execz .LBB6_14055
; %bb.14054:                            ;   in Loop: Header=BB6_13186 Depth=3
	v_or_b32_e32 v0, 0x7b, v3
	buffer_store_dword v0, off, s[0:3], s33 offset:328 ; 4-byte Folded Spill
.LBB6_14055:                            ;   in Loop: Header=BB6_13186 Depth=3
	s_or_b64 exec, exec, s[28:29]
                                        ; implicit-def: $vgpr2
                                        ; implicit-def: $vgpr0_vgpr1
.LBB6_14056:                            ;   in Loop: Header=BB6_13186 Depth=3
	s_andn2_saveexec_b64 s[28:29], s[30:31]
	s_cbranch_execz .LBB6_14062
; %bb.14057:                            ;   in Loop: Header=BB6_13186 Depth=3
	v_cmp_ne_u64_e32 vcc, 0, v[0:1]
                                        ; implicit-def: $vgpr0
                                        ; kill: killed $vgpr0
	s_and_saveexec_b64 s[62:63], vcc
	s_xor_b64 vcc, exec, s[62:63]
	s_cbranch_execz .LBB6_14059
; %bb.14058:                            ;   in Loop: Header=BB6_13186 Depth=3
	v_or_b32_sdwa v0, v2, s44 dst_sel:DWORD dst_unused:UNUSED_PAD src0_sel:BYTE_3 src1_sel:DWORD
	buffer_store_dword v0, off, s[0:3], s33 offset:328 ; 4-byte Folded Spill
                                        ; implicit-def: $vgpr2
.LBB6_14059:                            ;   in Loop: Header=BB6_13186 Depth=3
	s_andn2_saveexec_b64 s[30:31], vcc
	s_cbranch_execz .LBB6_14061
; %bb.14060:                            ;   in Loop: Header=BB6_13186 Depth=3
	v_cmp_lt_i32_e32 vcc, -1, v2
	v_bfrev_b32_e32 v0, 0.5
	v_mov_b32_e32 v1, 0x7c
	v_cndmask_b32_e32 v0, v0, v1, vcc
	buffer_store_dword v0, off, s[0:3], s33 offset:328 ; 4-byte Folded Spill
.LBB6_14061:                            ;   in Loop: Header=BB6_13186 Depth=3
	s_or_b64 exec, exec, s[30:31]
.LBB6_14062:                            ;   in Loop: Header=BB6_13186 Depth=3
	s_or_b64 exec, exec, s[28:29]
	v_cmp_lt_u64_e32 vcc, s[56:57], v[10:11]
	v_mov_b32_e32 v1, 0
	s_and_saveexec_b64 s[28:29], vcc
	s_cbranch_execz .LBB6_14070
; %bb.14063:                            ;   in Loop: Header=BB6_13186 Depth=3
	v_lshrrev_b32_e32 v0, 24, v11
	v_cmp_ne_u32_e32 vcc, s97, v0
	v_bfrev_b32_e32 v1, 1
	s_and_saveexec_b64 s[30:31], vcc
	s_cbranch_execz .LBB6_14069
; %bb.14064:                            ;   in Loop: Header=BB6_13186 Depth=3
	v_and_b32_e32 v1, 0x7c000000, v11
	v_bfe_u32 v2, v11, 24, 2
	v_cmp_ne_u32_e32 vcc, s68, v1
                                        ; implicit-def: $vgpr1
	s_and_saveexec_b64 s[62:63], vcc
	s_xor_b64 s[34:35], exec, s[62:63]
	s_cbranch_execz .LBB6_14066
; %bb.14065:                            ;   in Loop: Header=BB6_13186 Depth=3
	v_ffbh_u32_e32 v1, v2
	v_min_u32_e32 v6, 32, v1
	v_subrev_u32_e32 v1, 29, v6
	v_lshlrev_b64 v[0:1], v1, v[0:1]
	v_bfe_u32 v3, v11, 26, 5
	v_sub_u32_e32 v1, 30, v6
	v_and_b32_e32 v0, 3, v0
	v_cmp_eq_u32_e32 vcc, 0, v3
	v_cndmask_b32_e32 v1, v3, v1, vcc
	v_cndmask_b32_e32 v0, v2, v0, vcc
	v_and_b32_e32 v2, 0x80000000, v11
	v_lshl_add_u32 v1, v1, 23, v2
	v_lshl_or_b32 v0, v0, 21, v1
	v_add_u32_e32 v1, 0x38000000, v0
                                        ; implicit-def: $vgpr2
                                        ; implicit-def: $vgpr10_vgpr11
.LBB6_14066:                            ;   in Loop: Header=BB6_13186 Depth=3
	s_andn2_saveexec_b64 s[34:35], s[34:35]
; %bb.14067:                            ;   in Loop: Header=BB6_13186 Depth=3
	v_cmp_lt_i64_e32 vcc, -1, v[10:11]
	v_mov_b32_e32 v0, 0xff800000
	v_mov_b32_e32 v1, 0x7f800000
	v_cndmask_b32_e32 v0, v0, v1, vcc
	v_cmp_eq_u32_e32 vcc, 0, v2
	v_mov_b32_e32 v1, 0x7f800001
	v_cndmask_b32_e32 v1, v1, v0, vcc
; %bb.14068:                            ;   in Loop: Header=BB6_13186 Depth=3
	s_or_b64 exec, exec, s[34:35]
.LBB6_14069:                            ;   in Loop: Header=BB6_13186 Depth=3
	s_or_b64 exec, exec, s[30:31]
.LBB6_14070:                            ;   in Loop: Header=BB6_13186 Depth=3
	s_or_b64 exec, exec, s[28:29]
	v_mul_f32_e32 v2, v12, v1
	v_and_b32_e32 v8, 0x7f800000, v2
	v_mov_b32_e32 v9, v33
	v_cmp_ne_u64_e32 vcc, s[76:77], v[8:9]
	v_and_b32_e32 v0, 0x7fffff, v2
	v_mov_b32_e32 v1, v33
                                        ; implicit-def: $vgpr3
                                        ; kill: killed $vgpr3
	s_and_saveexec_b64 s[28:29], vcc
	s_xor_b64 s[30:31], exec, s[28:29]
	s_cbranch_execz .LBB6_14084
; %bb.14071:                            ;   in Loop: Header=BB6_13186 Depth=3
	v_and_b32_e32 v8, 0x7fffffff, v2
	v_mov_b32_e32 v9, v33
	v_cmp_gt_u64_e32 vcc, s[78:79], v[8:9]
	v_and_b32_sdwa v3, v2, s97 dst_sel:DWORD dst_unused:UNUSED_PAD src0_sel:BYTE_3 src1_sel:DWORD
                                        ; implicit-def: $vgpr6
                                        ; kill: killed $vgpr6
	s_and_saveexec_b64 s[28:29], vcc
	s_xor_b64 s[34:35], exec, s[28:29]
	s_cbranch_execz .LBB6_14081
; %bb.14072:                            ;   in Loop: Header=BB6_13186 Depth=3
	v_mov_b32_e32 v6, 0
	v_cmp_ne_u32_e32 vcc, 0, v2
	buffer_store_dword v6, off, s[0:3], s33 offset:344 ; 4-byte Folded Spill
	s_and_saveexec_b64 s[36:37], vcc
	s_cbranch_execz .LBB6_14080
; %bb.14073:                            ;   in Loop: Header=BB6_13186 Depth=3
	v_bfe_u32 v6, v2, 23, 8
	v_cmp_gt_u32_e64 s[28:29], s47, v6
	v_sub_u32_e32 v2, 0x71, v6
	v_cmp_eq_u32_e32 vcc, 0, v6
	v_cndmask_b32_e64 v2, 0, v2, s[28:29]
	v_mov_b32_e32 v8, 0x70
	v_cndmask_b32_e32 v8, v2, v8, vcc
	v_or_b32_e32 v9, 0x800000, v0
	v_add_u32_e32 v2, 21, v8
	v_cndmask_b32_e32 v0, v9, v0, vcc
	v_lshlrev_b64 v[9:10], v2, -1
	v_add_u32_e32 v2, 20, v8
	v_bfi_b32 v9, v9, 0, v0
	v_lshlrev_b64 v[13:14], v2, 1
	v_lshrrev_b64 v[0:1], v8, v[0:1]
	v_bfi_b32 v10, v10, 0, 0
	v_cmp_eq_u64_e64 s[28:29], v[9:10], v[13:14]
	v_mov_b32_e32 v2, v1
	v_mov_b32_e32 v1, v0
	s_and_saveexec_b64 s[38:39], s[28:29]
; %bb.14074:                            ;   in Loop: Header=BB6_13186 Depth=3
	v_bfe_u32 v1, v0, 21, 1
	v_add_co_u32_e64 v1, s[28:29], v0, v1
	v_add_co_u32_e64 v1, s[28:29], -1, v1
; %bb.14075:                            ;   in Loop: Header=BB6_13186 Depth=3
	s_or_b64 exec, exec, s[38:39]
	v_add_u32_e32 v2, 0xffffff81, v6
	v_mov_b32_e32 v6, 0xffffff82
	v_cndmask_b32_e32 v2, v2, v6, vcc
	v_lshrrev_b32_e32 v6, 23, v0
	v_add3_u32 v8, v8, v2, v6
	v_add_u32_e32 v6, 14, v8
	v_and_b32_e32 v1, 0x1fffff, v1
	v_add_u32_e32 v0, v1, v0
	v_mov_b32_e32 v1, v33
	v_cmp_ne_u32_e32 vcc, 0, v6
                                        ; implicit-def: $vgpr2
	s_and_saveexec_b64 s[28:29], vcc
	s_xor_b64 s[28:29], exec, s[28:29]
; %bb.14076:                            ;   in Loop: Header=BB6_13186 Depth=3
	v_cmp_lt_u64_e32 vcc, s[88:89], v[0:1]
	v_add_u32_e32 v2, 15, v8
	v_cndmask_b32_e32 v2, v6, v2, vcc
	v_cndmask_b32_e64 v6, 0, 1, vcc
	v_lshrrev_b64 v[0:1], v6, v[0:1]
; %bb.14077:                            ;   in Loop: Header=BB6_13186 Depth=3
	s_andn2_saveexec_b64 s[28:29], s[28:29]
; %bb.14078:                            ;   in Loop: Header=BB6_13186 Depth=3
	v_bfe_u32 v2, v0, 23, 1
; %bb.14079:                            ;   in Loop: Header=BB6_13186 Depth=3
	s_or_b64 exec, exec, s[28:29]
	v_lshrrev_b64 v[0:1], 21, v[0:1]
	v_cmp_gt_i32_e32 vcc, 32, v2
	v_cndmask_b32_e32 v1, 0, v1, vcc
	v_cndmask_b32_e32 v0, 3, v0, vcc
	v_cmp_eq_u64_e64 s[28:29], 0, v[0:1]
	v_min_i32_e32 v1, 31, v2
	v_lshlrev_b32_e32 v1, 2, v1
	v_cmp_eq_u32_e32 vcc, 0, v2
	v_and_b32_e32 v1, 0xfc, v1
	v_and_or_b32 v0, v0, 3, v1
	s_and_b64 s[28:29], vcc, s[28:29]
	v_cndmask_b32_e64 v0, v0, 0, s[28:29]
	v_or_b32_e32 v0, v0, v3
	buffer_store_dword v0, off, s[0:3], s33 offset:344 ; 4-byte Folded Spill
.LBB6_14080:                            ;   in Loop: Header=BB6_13186 Depth=3
	s_or_b64 exec, exec, s[36:37]
                                        ; implicit-def: $vgpr3
.LBB6_14081:                            ;   in Loop: Header=BB6_13186 Depth=3
	s_andn2_saveexec_b64 s[28:29], s[34:35]
	s_cbranch_execz .LBB6_14083
; %bb.14082:                            ;   in Loop: Header=BB6_13186 Depth=3
	v_or_b32_e32 v0, 0x7b, v3
	buffer_store_dword v0, off, s[0:3], s33 offset:344 ; 4-byte Folded Spill
.LBB6_14083:                            ;   in Loop: Header=BB6_13186 Depth=3
	s_or_b64 exec, exec, s[28:29]
                                        ; implicit-def: $vgpr2
                                        ; implicit-def: $vgpr0_vgpr1
.LBB6_14084:                            ;   in Loop: Header=BB6_13186 Depth=3
	s_andn2_saveexec_b64 s[28:29], s[30:31]
	s_cbranch_execz .LBB6_14090
; %bb.14085:                            ;   in Loop: Header=BB6_13186 Depth=3
	v_cmp_ne_u64_e32 vcc, 0, v[0:1]
                                        ; implicit-def: $vgpr0
                                        ; kill: killed $vgpr0
	s_and_saveexec_b64 s[62:63], vcc
	s_xor_b64 vcc, exec, s[62:63]
	s_cbranch_execz .LBB6_14087
; %bb.14086:                            ;   in Loop: Header=BB6_13186 Depth=3
	v_or_b32_sdwa v0, v2, s44 dst_sel:DWORD dst_unused:UNUSED_PAD src0_sel:BYTE_3 src1_sel:DWORD
	buffer_store_dword v0, off, s[0:3], s33 offset:344 ; 4-byte Folded Spill
                                        ; implicit-def: $vgpr2
.LBB6_14087:                            ;   in Loop: Header=BB6_13186 Depth=3
	s_andn2_saveexec_b64 s[30:31], vcc
	s_cbranch_execz .LBB6_14089
; %bb.14088:                            ;   in Loop: Header=BB6_13186 Depth=3
	v_cmp_lt_i32_e32 vcc, -1, v2
	v_bfrev_b32_e32 v0, 0.5
	v_mov_b32_e32 v1, 0x7c
	v_cndmask_b32_e32 v0, v0, v1, vcc
	buffer_store_dword v0, off, s[0:3], s33 offset:344 ; 4-byte Folded Spill
.LBB6_14089:                            ;   in Loop: Header=BB6_13186 Depth=3
	s_or_b64 exec, exec, s[30:31]
.LBB6_14090:                            ;   in Loop: Header=BB6_13186 Depth=3
	s_or_b64 exec, exec, s[28:29]
	global_load_dwordx4 v[8:11], v[60:61], off offset:2048 glc slc
	v_mov_b32_e32 v0, 0
	s_waitcnt vmcnt(0)
	v_cmp_ne_u16_sdwa s[62:63], v8, v33 src0_sel:BYTE_0 src1_sel:DWORD
	s_and_saveexec_b64 s[28:29], s[62:63]
	s_cbranch_execz .LBB6_14098
; %bb.14091:                            ;   in Loop: Header=BB6_13186 Depth=3
	v_cmp_ne_u16_sdwa s[62:63], sext(v8), s46 src0_sel:BYTE_0 src1_sel:DWORD
	v_bfrev_b32_e32 v0, 1
	s_and_saveexec_b64 s[30:31], s[62:63]
	s_cbranch_execz .LBB6_14097
; %bb.14092:                            ;   in Loop: Header=BB6_13186 Depth=3
	v_and_b32_e32 v0, 0x7c, v8
	v_and_b32_e32 v1, 3, v8
	v_cmp_ne_u32_e32 vcc, s86, v0
                                        ; implicit-def: $vgpr0
	s_and_saveexec_b64 s[62:63], vcc
	s_xor_b64 s[34:35], exec, s[62:63]
	s_cbranch_execz .LBB6_14094
; %bb.14093:                            ;   in Loop: Header=BB6_13186 Depth=3
	v_ffbh_u32_e32 v2, v1
	v_min_u32_e32 v6, 32, v2
	v_subrev_u32_e32 v2, 29, v6
	v_lshlrev_b64 v[2:3], v2, v[8:9]
	v_bfe_u32 v0, v8, 2, 5
	v_and_b32_e32 v2, 3, v2
	v_cmp_eq_u32_e32 vcc, 0, v0
	v_sub_u32_e32 v3, 30, v6
	v_cndmask_b32_e32 v1, v1, v2, vcc
	v_lshlrev_b32_e32 v2, 24, v8
	v_cndmask_b32_e32 v0, v0, v3, vcc
	v_and_b32_e32 v2, 0x80000000, v2
	v_lshl_add_u32 v0, v0, 23, v2
	v_lshl_or_b32 v0, v1, 21, v0
	v_add_u32_e32 v0, 0x38000000, v0
                                        ; implicit-def: $vgpr1
.LBB6_14094:                            ;   in Loop: Header=BB6_13186 Depth=3
	s_andn2_saveexec_b64 s[34:35], s[34:35]
; %bb.14095:                            ;   in Loop: Header=BB6_13186 Depth=3
	v_mov_b32_e32 v0, -1
	v_cmp_gt_i16_sdwa vcc, sext(v8), v0 src0_sel:BYTE_0 src1_sel:DWORD
	v_mov_b32_e32 v0, 0xff800000
	v_mov_b32_e32 v2, 0x7f800000
	v_cndmask_b32_e32 v0, v0, v2, vcc
	v_cmp_eq_u32_e32 vcc, 0, v1
	v_mov_b32_e32 v1, 0x7f800001
	v_cndmask_b32_e32 v0, v1, v0, vcc
; %bb.14096:                            ;   in Loop: Header=BB6_13186 Depth=3
	s_or_b64 exec, exec, s[34:35]
.LBB6_14097:                            ;   in Loop: Header=BB6_13186 Depth=3
	s_or_b64 exec, exec, s[30:31]
.LBB6_14098:                            ;   in Loop: Header=BB6_13186 Depth=3
	s_or_b64 exec, exec, s[28:29]
	v_mul_f32_e32 v2, v12, v0
	v_and_b32_e32 v13, 0x7f800000, v2
	v_mov_b32_e32 v14, v33
	v_cmp_ne_u64_e32 vcc, s[76:77], v[13:14]
	v_and_b32_e32 v0, 0x7fffff, v2
	v_mov_b32_e32 v1, v33
                                        ; implicit-def: $vgpr6
	s_and_saveexec_b64 s[28:29], vcc
	s_xor_b64 s[30:31], exec, s[28:29]
	s_cbranch_execz .LBB6_14112
; %bb.14099:                            ;   in Loop: Header=BB6_13186 Depth=3
	v_and_b32_e32 v13, 0x7fffffff, v2
	v_mov_b32_e32 v14, v33
	v_cmp_gt_u64_e32 vcc, s[78:79], v[13:14]
	v_and_b32_sdwa v3, v2, s97 dst_sel:DWORD dst_unused:UNUSED_PAD src0_sel:BYTE_3 src1_sel:DWORD
                                        ; implicit-def: $vgpr6
	s_and_saveexec_b64 s[28:29], vcc
	s_xor_b64 s[34:35], exec, s[28:29]
	s_cbranch_execz .LBB6_14109
; %bb.14100:                            ;   in Loop: Header=BB6_13186 Depth=3
	v_mov_b32_e32 v6, 0
	v_cmp_ne_u32_e32 vcc, 0, v2
	s_and_saveexec_b64 s[36:37], vcc
	s_cbranch_execz .LBB6_14108
; %bb.14101:                            ;   in Loop: Header=BB6_13186 Depth=3
	v_bfe_u32 v6, v2, 23, 8
	v_cmp_gt_u32_e64 s[28:29], s47, v6
	v_sub_u32_e32 v2, 0x71, v6
	v_cmp_eq_u32_e32 vcc, 0, v6
	v_cndmask_b32_e64 v2, 0, v2, s[28:29]
	v_mov_b32_e32 v13, 0x70
	v_cndmask_b32_e32 v13, v2, v13, vcc
	v_or_b32_e32 v14, 0x800000, v0
	v_add_u32_e32 v2, 21, v13
	v_cndmask_b32_e32 v0, v14, v0, vcc
	v_lshlrev_b64 v[14:15], v2, -1
	v_add_u32_e32 v2, 20, v13
	v_bfi_b32 v14, v14, 0, v0
	v_lshlrev_b64 v[16:17], v2, 1
	v_lshrrev_b64 v[0:1], v13, v[0:1]
	v_bfi_b32 v15, v15, 0, 0
	v_cmp_eq_u64_e64 s[28:29], v[14:15], v[16:17]
	v_mov_b32_e32 v2, v1
	v_mov_b32_e32 v1, v0
	s_and_saveexec_b64 s[38:39], s[28:29]
; %bb.14102:                            ;   in Loop: Header=BB6_13186 Depth=3
	v_bfe_u32 v1, v0, 21, 1
	v_add_co_u32_e64 v1, s[28:29], v0, v1
	v_add_co_u32_e64 v1, s[28:29], -1, v1
; %bb.14103:                            ;   in Loop: Header=BB6_13186 Depth=3
	s_or_b64 exec, exec, s[38:39]
	v_add_u32_e32 v2, 0xffffff81, v6
	v_mov_b32_e32 v6, 0xffffff82
	v_cndmask_b32_e32 v2, v2, v6, vcc
	v_lshrrev_b32_e32 v6, 23, v0
	v_add3_u32 v13, v13, v2, v6
	v_add_u32_e32 v6, 14, v13
	v_and_b32_e32 v1, 0x1fffff, v1
	v_add_u32_e32 v0, v1, v0
	v_mov_b32_e32 v1, v33
	v_cmp_ne_u32_e32 vcc, 0, v6
                                        ; implicit-def: $vgpr2
	s_and_saveexec_b64 s[28:29], vcc
	s_xor_b64 s[28:29], exec, s[28:29]
; %bb.14104:                            ;   in Loop: Header=BB6_13186 Depth=3
	v_cmp_lt_u64_e32 vcc, s[88:89], v[0:1]
	v_add_u32_e32 v2, 15, v13
	v_cndmask_b32_e32 v2, v6, v2, vcc
	v_cndmask_b32_e64 v6, 0, 1, vcc
	v_lshrrev_b64 v[0:1], v6, v[0:1]
; %bb.14105:                            ;   in Loop: Header=BB6_13186 Depth=3
	s_andn2_saveexec_b64 s[28:29], s[28:29]
; %bb.14106:                            ;   in Loop: Header=BB6_13186 Depth=3
	v_bfe_u32 v2, v0, 23, 1
; %bb.14107:                            ;   in Loop: Header=BB6_13186 Depth=3
	s_or_b64 exec, exec, s[28:29]
	v_lshrrev_b64 v[0:1], 21, v[0:1]
	v_cmp_gt_i32_e32 vcc, 32, v2
	v_cndmask_b32_e32 v1, 0, v1, vcc
	v_cndmask_b32_e32 v0, 3, v0, vcc
	v_cmp_eq_u64_e64 s[28:29], 0, v[0:1]
	v_min_i32_e32 v1, 31, v2
	v_lshlrev_b32_e32 v1, 2, v1
	v_cmp_eq_u32_e32 vcc, 0, v2
	v_and_b32_e32 v1, 0xfc, v1
	v_and_or_b32 v0, v0, 3, v1
	s_and_b64 s[28:29], vcc, s[28:29]
	v_cndmask_b32_e64 v0, v0, 0, s[28:29]
	v_or_b32_e32 v6, v0, v3
.LBB6_14108:                            ;   in Loop: Header=BB6_13186 Depth=3
	s_or_b64 exec, exec, s[36:37]
                                        ; implicit-def: $vgpr3
.LBB6_14109:                            ;   in Loop: Header=BB6_13186 Depth=3
	s_andn2_saveexec_b64 s[28:29], s[34:35]
; %bb.14110:                            ;   in Loop: Header=BB6_13186 Depth=3
	v_or_b32_e32 v6, 0x7b, v3
; %bb.14111:                            ;   in Loop: Header=BB6_13186 Depth=3
	s_or_b64 exec, exec, s[28:29]
                                        ; implicit-def: $vgpr2
                                        ; implicit-def: $vgpr0_vgpr1
.LBB6_14112:                            ;   in Loop: Header=BB6_13186 Depth=3
	s_andn2_saveexec_b64 s[28:29], s[30:31]
	s_cbranch_execz .LBB6_14118
; %bb.14113:                            ;   in Loop: Header=BB6_13186 Depth=3
	v_cmp_ne_u64_e32 vcc, 0, v[0:1]
                                        ; implicit-def: $vgpr6
	s_and_saveexec_b64 s[62:63], vcc
	s_xor_b64 vcc, exec, s[62:63]
; %bb.14114:                            ;   in Loop: Header=BB6_13186 Depth=3
	v_or_b32_sdwa v6, v2, s44 dst_sel:DWORD dst_unused:UNUSED_PAD src0_sel:BYTE_3 src1_sel:DWORD
                                        ; implicit-def: $vgpr2
; %bb.14115:                            ;   in Loop: Header=BB6_13186 Depth=3
	s_andn2_saveexec_b64 s[30:31], vcc
; %bb.14116:                            ;   in Loop: Header=BB6_13186 Depth=3
	v_cmp_lt_i32_e32 vcc, -1, v2
	v_bfrev_b32_e32 v0, 0.5
	v_mov_b32_e32 v1, 0x7c
	v_cndmask_b32_e32 v6, v0, v1, vcc
; %bb.14117:                            ;   in Loop: Header=BB6_13186 Depth=3
	s_or_b64 exec, exec, s[30:31]
.LBB6_14118:                            ;   in Loop: Header=BB6_13186 Depth=3
	s_or_b64 exec, exec, s[28:29]
	v_lshrrev_b16_e32 v0, 8, v8
	v_cmp_ne_u16_e32 vcc, 0, v0
	v_mov_b32_e32 v1, 0
	s_and_saveexec_b64 s[28:29], vcc
	s_cbranch_execz .LBB6_14126
; %bb.14119:                            ;   in Loop: Header=BB6_13186 Depth=3
	v_cmp_ne_u16_e32 vcc, s97, v0
	v_bfrev_b32_e32 v1, 1
	s_and_saveexec_b64 s[30:31], vcc
	s_cbranch_execz .LBB6_14125
; %bb.14120:                            ;   in Loop: Header=BB6_13186 Depth=3
	v_and_b32_e32 v1, 0x7c, v0
	v_and_b32_e32 v2, 3, v0
	v_cmp_ne_u32_e32 vcc, s86, v1
                                        ; implicit-def: $vgpr1
	s_and_saveexec_b64 s[62:63], vcc
	s_xor_b64 s[34:35], exec, s[62:63]
	s_cbranch_execz .LBB6_14122
; %bb.14121:                            ;   in Loop: Header=BB6_13186 Depth=3
	v_ffbh_u32_e32 v13, v2
	v_min_u32_e32 v13, 32, v13
	v_mov_b32_e32 v1, v33
	v_subrev_u32_e32 v14, 29, v13
	v_bfe_u32 v3, v0, 2, 5
	v_lshlrev_b64 v[0:1], v14, v[0:1]
	v_cmp_eq_u32_e32 vcc, 0, v3
	v_and_b32_e32 v0, 3, v0
	v_sub_u32_e32 v1, 30, v13
	v_cndmask_b32_e32 v0, v2, v0, vcc
	v_lshlrev_b32_e32 v2, 16, v8
	v_cndmask_b32_e32 v1, v3, v1, vcc
	v_and_b32_e32 v2, 0x80000000, v2
	v_lshl_add_u32 v1, v1, 23, v2
	v_lshl_or_b32 v0, v0, 21, v1
	v_add_u32_e32 v1, 0x38000000, v0
                                        ; implicit-def: $vgpr2
.LBB6_14122:                            ;   in Loop: Header=BB6_13186 Depth=3
	s_andn2_saveexec_b64 s[34:35], s[34:35]
; %bb.14123:                            ;   in Loop: Header=BB6_13186 Depth=3
	v_cmp_lt_i16_e32 vcc, -1, v8
	v_mov_b32_e32 v0, 0xff800000
	v_mov_b32_e32 v1, 0x7f800000
	v_cndmask_b32_e32 v0, v0, v1, vcc
	v_cmp_eq_u32_e32 vcc, 0, v2
	v_mov_b32_e32 v1, 0x7f800001
	v_cndmask_b32_e32 v1, v1, v0, vcc
; %bb.14124:                            ;   in Loop: Header=BB6_13186 Depth=3
	s_or_b64 exec, exec, s[34:35]
.LBB6_14125:                            ;   in Loop: Header=BB6_13186 Depth=3
	s_or_b64 exec, exec, s[30:31]
.LBB6_14126:                            ;   in Loop: Header=BB6_13186 Depth=3
	s_or_b64 exec, exec, s[28:29]
	v_mul_f32_e32 v2, v12, v1
	v_and_b32_e32 v13, 0x7f800000, v2
	v_mov_b32_e32 v14, v33
	v_cmp_ne_u64_e32 vcc, s[76:77], v[13:14]
	v_and_b32_e32 v0, 0x7fffff, v2
	v_mov_b32_e32 v1, v33
                                        ; implicit-def: $vgpr3
                                        ; kill: killed $vgpr3
	s_and_saveexec_b64 s[28:29], vcc
	s_xor_b64 s[30:31], exec, s[28:29]
	s_cbranch_execz .LBB6_14140
; %bb.14127:                            ;   in Loop: Header=BB6_13186 Depth=3
	v_and_b32_e32 v13, 0x7fffffff, v2
	v_mov_b32_e32 v14, v33
	v_cmp_gt_u64_e32 vcc, s[78:79], v[13:14]
	v_and_b32_sdwa v3, v2, s97 dst_sel:DWORD dst_unused:UNUSED_PAD src0_sel:BYTE_3 src1_sel:DWORD
                                        ; implicit-def: $vgpr7
                                        ; kill: killed $vgpr7
	s_and_saveexec_b64 s[28:29], vcc
	s_xor_b64 s[34:35], exec, s[28:29]
	s_cbranch_execz .LBB6_14137
; %bb.14128:                            ;   in Loop: Header=BB6_13186 Depth=3
	v_mov_b32_e32 v7, 0
	v_cmp_ne_u32_e32 vcc, 0, v2
	buffer_store_dword v7, off, s[0:3], s33 offset:308 ; 4-byte Folded Spill
	s_and_saveexec_b64 s[36:37], vcc
	s_cbranch_execz .LBB6_14136
; %bb.14129:                            ;   in Loop: Header=BB6_13186 Depth=3
	v_bfe_u32 v13, v2, 23, 8
	v_cmp_gt_u32_e64 s[28:29], s47, v13
	v_sub_u32_e32 v2, 0x71, v13
	v_cmp_eq_u32_e32 vcc, 0, v13
	v_cndmask_b32_e64 v2, 0, v2, s[28:29]
	v_mov_b32_e32 v14, 0x70
	v_cndmask_b32_e32 v14, v2, v14, vcc
	v_or_b32_e32 v15, 0x800000, v0
	v_add_u32_e32 v2, 21, v14
	v_cndmask_b32_e32 v0, v15, v0, vcc
	v_lshlrev_b64 v[15:16], v2, -1
	v_add_u32_e32 v2, 20, v14
	v_bfi_b32 v15, v15, 0, v0
	v_lshlrev_b64 v[17:18], v2, 1
	v_lshrrev_b64 v[0:1], v14, v[0:1]
	v_bfi_b32 v16, v16, 0, 0
	v_cmp_eq_u64_e64 s[28:29], v[15:16], v[17:18]
	v_mov_b32_e32 v2, v1
	v_mov_b32_e32 v1, v0
	s_and_saveexec_b64 s[38:39], s[28:29]
; %bb.14130:                            ;   in Loop: Header=BB6_13186 Depth=3
	v_bfe_u32 v1, v0, 21, 1
	v_add_co_u32_e64 v1, s[28:29], v0, v1
	v_add_co_u32_e64 v1, s[28:29], -1, v1
; %bb.14131:                            ;   in Loop: Header=BB6_13186 Depth=3
	s_or_b64 exec, exec, s[38:39]
	v_add_u32_e32 v2, 0xffffff81, v13
	v_mov_b32_e32 v13, 0xffffff82
	v_cndmask_b32_e32 v2, v2, v13, vcc
	v_lshrrev_b32_e32 v13, 23, v0
	v_add3_u32 v14, v14, v2, v13
	v_add_u32_e32 v13, 14, v14
	v_and_b32_e32 v1, 0x1fffff, v1
	v_add_u32_e32 v0, v1, v0
	v_mov_b32_e32 v1, v33
	v_cmp_ne_u32_e32 vcc, 0, v13
                                        ; implicit-def: $vgpr2
	s_and_saveexec_b64 s[28:29], vcc
	s_xor_b64 s[28:29], exec, s[28:29]
; %bb.14132:                            ;   in Loop: Header=BB6_13186 Depth=3
	v_cmp_lt_u64_e32 vcc, s[88:89], v[0:1]
	v_add_u32_e32 v2, 15, v14
	v_cndmask_b32_e32 v2, v13, v2, vcc
	v_cndmask_b32_e64 v13, 0, 1, vcc
	v_lshrrev_b64 v[0:1], v13, v[0:1]
; %bb.14133:                            ;   in Loop: Header=BB6_13186 Depth=3
	s_andn2_saveexec_b64 s[28:29], s[28:29]
; %bb.14134:                            ;   in Loop: Header=BB6_13186 Depth=3
	v_bfe_u32 v2, v0, 23, 1
; %bb.14135:                            ;   in Loop: Header=BB6_13186 Depth=3
	s_or_b64 exec, exec, s[28:29]
	v_lshrrev_b64 v[0:1], 21, v[0:1]
	v_cmp_gt_i32_e32 vcc, 32, v2
	v_cndmask_b32_e32 v1, 0, v1, vcc
	v_cndmask_b32_e32 v0, 3, v0, vcc
	v_cmp_eq_u64_e64 s[28:29], 0, v[0:1]
	v_min_i32_e32 v1, 31, v2
	v_lshlrev_b32_e32 v1, 2, v1
	v_cmp_eq_u32_e32 vcc, 0, v2
	v_and_b32_e32 v1, 0xfc, v1
	v_and_or_b32 v0, v0, 3, v1
	s_and_b64 s[28:29], vcc, s[28:29]
	v_cndmask_b32_e64 v0, v0, 0, s[28:29]
	v_or_b32_e32 v0, v0, v3
	buffer_store_dword v0, off, s[0:3], s33 offset:308 ; 4-byte Folded Spill
.LBB6_14136:                            ;   in Loop: Header=BB6_13186 Depth=3
	s_or_b64 exec, exec, s[36:37]
                                        ; implicit-def: $vgpr3
.LBB6_14137:                            ;   in Loop: Header=BB6_13186 Depth=3
	s_andn2_saveexec_b64 s[28:29], s[34:35]
	s_cbranch_execz .LBB6_14139
; %bb.14138:                            ;   in Loop: Header=BB6_13186 Depth=3
	v_or_b32_e32 v0, 0x7b, v3
	buffer_store_dword v0, off, s[0:3], s33 offset:308 ; 4-byte Folded Spill
.LBB6_14139:                            ;   in Loop: Header=BB6_13186 Depth=3
	s_or_b64 exec, exec, s[28:29]
                                        ; implicit-def: $vgpr2
                                        ; implicit-def: $vgpr0_vgpr1
.LBB6_14140:                            ;   in Loop: Header=BB6_13186 Depth=3
	s_andn2_saveexec_b64 s[28:29], s[30:31]
	s_cbranch_execz .LBB6_14146
; %bb.14141:                            ;   in Loop: Header=BB6_13186 Depth=3
	v_cmp_ne_u64_e32 vcc, 0, v[0:1]
                                        ; implicit-def: $vgpr0
                                        ; kill: killed $vgpr0
	s_and_saveexec_b64 s[62:63], vcc
	s_xor_b64 vcc, exec, s[62:63]
	s_cbranch_execz .LBB6_14143
; %bb.14142:                            ;   in Loop: Header=BB6_13186 Depth=3
	v_or_b32_sdwa v0, v2, s44 dst_sel:DWORD dst_unused:UNUSED_PAD src0_sel:BYTE_3 src1_sel:DWORD
	buffer_store_dword v0, off, s[0:3], s33 offset:308 ; 4-byte Folded Spill
                                        ; implicit-def: $vgpr2
.LBB6_14143:                            ;   in Loop: Header=BB6_13186 Depth=3
	s_andn2_saveexec_b64 s[30:31], vcc
	s_cbranch_execz .LBB6_14145
; %bb.14144:                            ;   in Loop: Header=BB6_13186 Depth=3
	v_cmp_lt_i32_e32 vcc, -1, v2
	v_bfrev_b32_e32 v0, 0.5
	v_mov_b32_e32 v1, 0x7c
	v_cndmask_b32_e32 v0, v0, v1, vcc
	buffer_store_dword v0, off, s[0:3], s33 offset:308 ; 4-byte Folded Spill
.LBB6_14145:                            ;   in Loop: Header=BB6_13186 Depth=3
	s_or_b64 exec, exec, s[30:31]
.LBB6_14146:                            ;   in Loop: Header=BB6_13186 Depth=3
	s_or_b64 exec, exec, s[28:29]
	v_lshrrev_b32_e32 v0, 16, v8
	v_cmp_ne_u16_sdwa s[62:63], v0, v33 src0_sel:BYTE_0 src1_sel:DWORD
	v_mov_b32_e32 v1, 0
	s_and_saveexec_b64 s[28:29], s[62:63]
	s_cbranch_execz .LBB6_14154
; %bb.14147:                            ;   in Loop: Header=BB6_13186 Depth=3
	v_cmp_ne_u16_sdwa s[62:63], v0, s97 src0_sel:BYTE_0 src1_sel:DWORD
	v_bfrev_b32_e32 v1, 1
	s_and_saveexec_b64 s[30:31], s[62:63]
	s_cbranch_execz .LBB6_14153
; %bb.14148:                            ;   in Loop: Header=BB6_13186 Depth=3
	v_and_b32_e32 v1, 0x7c0000, v8
	v_bfe_u32 v2, v8, 16, 2
	v_cmp_ne_u32_e32 vcc, s45, v1
                                        ; implicit-def: $vgpr1
	s_and_saveexec_b64 s[62:63], vcc
	s_xor_b64 s[34:35], exec, s[62:63]
	s_cbranch_execz .LBB6_14150
; %bb.14149:                            ;   in Loop: Header=BB6_13186 Depth=3
	v_ffbh_u32_e32 v1, v2
	v_min_u32_e32 v13, 32, v1
	v_subrev_u32_e32 v1, 29, v13
	v_lshlrev_b64 v[0:1], v1, v[0:1]
	v_bfe_u32 v3, v8, 18, 5
	v_and_b32_e32 v0, 3, v0
	v_cmp_eq_u32_e32 vcc, 0, v3
	v_sub_u32_e32 v1, 30, v13
	v_cndmask_b32_e32 v0, v2, v0, vcc
	v_lshlrev_b32_e32 v2, 8, v8
	v_cndmask_b32_e32 v1, v3, v1, vcc
	v_and_b32_e32 v2, 0x80000000, v2
	v_lshl_add_u32 v1, v1, 23, v2
	v_lshl_or_b32 v0, v0, 21, v1
	v_add_u32_e32 v1, 0x38000000, v0
                                        ; implicit-def: $vgpr2
                                        ; implicit-def: $vgpr0
.LBB6_14150:                            ;   in Loop: Header=BB6_13186 Depth=3
	s_andn2_saveexec_b64 s[34:35], s[34:35]
; %bb.14151:                            ;   in Loop: Header=BB6_13186 Depth=3
	v_mov_b32_e32 v1, -1
	v_cmp_gt_i16_sdwa vcc, sext(v0), v1 src0_sel:BYTE_0 src1_sel:DWORD
	v_mov_b32_e32 v0, 0xff800000
	v_mov_b32_e32 v1, 0x7f800000
	v_cndmask_b32_e32 v0, v0, v1, vcc
	v_cmp_eq_u32_e32 vcc, 0, v2
	v_mov_b32_e32 v1, 0x7f800001
	v_cndmask_b32_e32 v1, v1, v0, vcc
; %bb.14152:                            ;   in Loop: Header=BB6_13186 Depth=3
	s_or_b64 exec, exec, s[34:35]
.LBB6_14153:                            ;   in Loop: Header=BB6_13186 Depth=3
	s_or_b64 exec, exec, s[30:31]
.LBB6_14154:                            ;   in Loop: Header=BB6_13186 Depth=3
	s_or_b64 exec, exec, s[28:29]
	v_mul_f32_e32 v2, v12, v1
	v_and_b32_e32 v13, 0x7f800000, v2
	v_mov_b32_e32 v14, v33
	v_cmp_ne_u64_e32 vcc, s[76:77], v[13:14]
	v_and_b32_e32 v0, 0x7fffff, v2
	v_mov_b32_e32 v1, v33
                                        ; implicit-def: $vgpr3
                                        ; kill: killed $vgpr3
	s_and_saveexec_b64 s[28:29], vcc
	s_xor_b64 s[30:31], exec, s[28:29]
	s_cbranch_execz .LBB6_14168
; %bb.14155:                            ;   in Loop: Header=BB6_13186 Depth=3
	v_and_b32_e32 v13, 0x7fffffff, v2
	v_mov_b32_e32 v14, v33
	v_cmp_gt_u64_e32 vcc, s[78:79], v[13:14]
	v_and_b32_sdwa v3, v2, s97 dst_sel:DWORD dst_unused:UNUSED_PAD src0_sel:BYTE_3 src1_sel:DWORD
                                        ; implicit-def: $vgpr7
                                        ; kill: killed $vgpr7
	s_and_saveexec_b64 s[28:29], vcc
	s_xor_b64 s[34:35], exec, s[28:29]
	s_cbranch_execz .LBB6_14165
; %bb.14156:                            ;   in Loop: Header=BB6_13186 Depth=3
	v_mov_b32_e32 v7, 0
	v_cmp_ne_u32_e32 vcc, 0, v2
	buffer_store_dword v7, off, s[0:3], s33 offset:316 ; 4-byte Folded Spill
	s_and_saveexec_b64 s[36:37], vcc
	s_cbranch_execz .LBB6_14164
; %bb.14157:                            ;   in Loop: Header=BB6_13186 Depth=3
	v_bfe_u32 v13, v2, 23, 8
	v_cmp_gt_u32_e64 s[28:29], s47, v13
	v_sub_u32_e32 v2, 0x71, v13
	v_cmp_eq_u32_e32 vcc, 0, v13
	v_cndmask_b32_e64 v2, 0, v2, s[28:29]
	v_mov_b32_e32 v14, 0x70
	v_cndmask_b32_e32 v14, v2, v14, vcc
	v_or_b32_e32 v15, 0x800000, v0
	v_add_u32_e32 v2, 21, v14
	v_cndmask_b32_e32 v0, v15, v0, vcc
	v_lshlrev_b64 v[15:16], v2, -1
	v_add_u32_e32 v2, 20, v14
	v_bfi_b32 v15, v15, 0, v0
	v_lshlrev_b64 v[17:18], v2, 1
	v_lshrrev_b64 v[0:1], v14, v[0:1]
	v_bfi_b32 v16, v16, 0, 0
	v_cmp_eq_u64_e64 s[28:29], v[15:16], v[17:18]
	v_mov_b32_e32 v2, v1
	v_mov_b32_e32 v1, v0
	s_and_saveexec_b64 s[38:39], s[28:29]
; %bb.14158:                            ;   in Loop: Header=BB6_13186 Depth=3
	v_bfe_u32 v1, v0, 21, 1
	v_add_co_u32_e64 v1, s[28:29], v0, v1
	v_add_co_u32_e64 v1, s[28:29], -1, v1
; %bb.14159:                            ;   in Loop: Header=BB6_13186 Depth=3
	s_or_b64 exec, exec, s[38:39]
	v_add_u32_e32 v2, 0xffffff81, v13
	v_mov_b32_e32 v13, 0xffffff82
	v_cndmask_b32_e32 v2, v2, v13, vcc
	v_lshrrev_b32_e32 v13, 23, v0
	v_add3_u32 v14, v14, v2, v13
	v_add_u32_e32 v13, 14, v14
	v_and_b32_e32 v1, 0x1fffff, v1
	v_add_u32_e32 v0, v1, v0
	v_mov_b32_e32 v1, v33
	v_cmp_ne_u32_e32 vcc, 0, v13
                                        ; implicit-def: $vgpr2
	s_and_saveexec_b64 s[28:29], vcc
	s_xor_b64 s[28:29], exec, s[28:29]
; %bb.14160:                            ;   in Loop: Header=BB6_13186 Depth=3
	v_cmp_lt_u64_e32 vcc, s[88:89], v[0:1]
	v_add_u32_e32 v2, 15, v14
	v_cndmask_b32_e32 v2, v13, v2, vcc
	v_cndmask_b32_e64 v13, 0, 1, vcc
	v_lshrrev_b64 v[0:1], v13, v[0:1]
; %bb.14161:                            ;   in Loop: Header=BB6_13186 Depth=3
	s_andn2_saveexec_b64 s[28:29], s[28:29]
; %bb.14162:                            ;   in Loop: Header=BB6_13186 Depth=3
	v_bfe_u32 v2, v0, 23, 1
; %bb.14163:                            ;   in Loop: Header=BB6_13186 Depth=3
	s_or_b64 exec, exec, s[28:29]
	v_lshrrev_b64 v[0:1], 21, v[0:1]
	v_cmp_gt_i32_e32 vcc, 32, v2
	v_cndmask_b32_e32 v1, 0, v1, vcc
	v_cndmask_b32_e32 v0, 3, v0, vcc
	v_cmp_eq_u64_e64 s[28:29], 0, v[0:1]
	v_min_i32_e32 v1, 31, v2
	v_lshlrev_b32_e32 v1, 2, v1
	v_cmp_eq_u32_e32 vcc, 0, v2
	v_and_b32_e32 v1, 0xfc, v1
	v_and_or_b32 v0, v0, 3, v1
	s_and_b64 s[28:29], vcc, s[28:29]
	v_cndmask_b32_e64 v0, v0, 0, s[28:29]
	v_or_b32_e32 v0, v0, v3
	buffer_store_dword v0, off, s[0:3], s33 offset:316 ; 4-byte Folded Spill
.LBB6_14164:                            ;   in Loop: Header=BB6_13186 Depth=3
	s_or_b64 exec, exec, s[36:37]
                                        ; implicit-def: $vgpr3
.LBB6_14165:                            ;   in Loop: Header=BB6_13186 Depth=3
	s_andn2_saveexec_b64 s[28:29], s[34:35]
	s_cbranch_execz .LBB6_14167
; %bb.14166:                            ;   in Loop: Header=BB6_13186 Depth=3
	v_or_b32_e32 v0, 0x7b, v3
	buffer_store_dword v0, off, s[0:3], s33 offset:316 ; 4-byte Folded Spill
.LBB6_14167:                            ;   in Loop: Header=BB6_13186 Depth=3
	s_or_b64 exec, exec, s[28:29]
                                        ; implicit-def: $vgpr2
                                        ; implicit-def: $vgpr0_vgpr1
.LBB6_14168:                            ;   in Loop: Header=BB6_13186 Depth=3
	s_andn2_saveexec_b64 s[28:29], s[30:31]
	s_cbranch_execz .LBB6_14174
; %bb.14169:                            ;   in Loop: Header=BB6_13186 Depth=3
	v_cmp_ne_u64_e32 vcc, 0, v[0:1]
                                        ; implicit-def: $vgpr0
                                        ; kill: killed $vgpr0
	s_and_saveexec_b64 s[62:63], vcc
	s_xor_b64 vcc, exec, s[62:63]
	s_cbranch_execz .LBB6_14171
; %bb.14170:                            ;   in Loop: Header=BB6_13186 Depth=3
	v_or_b32_sdwa v0, v2, s44 dst_sel:DWORD dst_unused:UNUSED_PAD src0_sel:BYTE_3 src1_sel:DWORD
	buffer_store_dword v0, off, s[0:3], s33 offset:316 ; 4-byte Folded Spill
                                        ; implicit-def: $vgpr2
.LBB6_14171:                            ;   in Loop: Header=BB6_13186 Depth=3
	s_andn2_saveexec_b64 s[30:31], vcc
	s_cbranch_execz .LBB6_14173
; %bb.14172:                            ;   in Loop: Header=BB6_13186 Depth=3
	v_cmp_lt_i32_e32 vcc, -1, v2
	v_bfrev_b32_e32 v0, 0.5
	v_mov_b32_e32 v1, 0x7c
	v_cndmask_b32_e32 v0, v0, v1, vcc
	buffer_store_dword v0, off, s[0:3], s33 offset:316 ; 4-byte Folded Spill
.LBB6_14173:                            ;   in Loop: Header=BB6_13186 Depth=3
	s_or_b64 exec, exec, s[30:31]
.LBB6_14174:                            ;   in Loop: Header=BB6_13186 Depth=3
	s_or_b64 exec, exec, s[28:29]
	v_cmp_lt_u32_e32 vcc, s57, v8
	v_mov_b32_e32 v1, 0
	s_and_saveexec_b64 s[28:29], vcc
	s_cbranch_execz .LBB6_14182
; %bb.14175:                            ;   in Loop: Header=BB6_13186 Depth=3
	v_lshrrev_b32_e32 v0, 24, v8
	v_cmp_ne_u32_e32 vcc, s97, v0
	v_bfrev_b32_e32 v1, 1
	s_and_saveexec_b64 s[30:31], vcc
	s_cbranch_execz .LBB6_14181
; %bb.14176:                            ;   in Loop: Header=BB6_13186 Depth=3
	v_and_b32_e32 v1, 0x7c000000, v8
	v_bfe_u32 v2, v8, 24, 2
	v_cmp_ne_u32_e32 vcc, s68, v1
                                        ; implicit-def: $vgpr1
	s_and_saveexec_b64 s[62:63], vcc
	s_xor_b64 s[34:35], exec, s[62:63]
	s_cbranch_execz .LBB6_14178
; %bb.14177:                            ;   in Loop: Header=BB6_13186 Depth=3
	v_ffbh_u32_e32 v1, v2
	v_min_u32_e32 v13, 32, v1
	v_subrev_u32_e32 v1, 29, v13
	v_lshlrev_b64 v[0:1], v1, v[0:1]
	v_bfe_u32 v3, v8, 26, 5
	v_sub_u32_e32 v1, 30, v13
	v_and_b32_e32 v0, 3, v0
	v_cmp_eq_u32_e32 vcc, 0, v3
	v_cndmask_b32_e32 v1, v3, v1, vcc
	v_cndmask_b32_e32 v0, v2, v0, vcc
	v_and_b32_e32 v2, 0x80000000, v8
	v_lshl_add_u32 v1, v1, 23, v2
	v_lshl_or_b32 v0, v0, 21, v1
	v_add_u32_e32 v1, 0x38000000, v0
                                        ; implicit-def: $vgpr2
.LBB6_14178:                            ;   in Loop: Header=BB6_13186 Depth=3
	s_andn2_saveexec_b64 s[34:35], s[34:35]
; %bb.14179:                            ;   in Loop: Header=BB6_13186 Depth=3
	v_cmp_lt_i32_e32 vcc, -1, v8
	v_mov_b32_e32 v0, 0xff800000
	v_mov_b32_e32 v1, 0x7f800000
	v_cndmask_b32_e32 v0, v0, v1, vcc
	v_cmp_eq_u32_e32 vcc, 0, v2
	v_mov_b32_e32 v1, 0x7f800001
	v_cndmask_b32_e32 v1, v1, v0, vcc
; %bb.14180:                            ;   in Loop: Header=BB6_13186 Depth=3
	s_or_b64 exec, exec, s[34:35]
.LBB6_14181:                            ;   in Loop: Header=BB6_13186 Depth=3
	s_or_b64 exec, exec, s[30:31]
.LBB6_14182:                            ;   in Loop: Header=BB6_13186 Depth=3
	s_or_b64 exec, exec, s[28:29]
	v_mul_f32_e32 v2, v12, v1
	v_and_b32_e32 v13, 0x7f800000, v2
	v_mov_b32_e32 v14, v33
	v_cmp_ne_u64_e32 vcc, s[76:77], v[13:14]
	v_and_b32_e32 v0, 0x7fffff, v2
	v_mov_b32_e32 v1, v33
                                        ; implicit-def: $vgpr3
                                        ; kill: killed $vgpr3
	s_and_saveexec_b64 s[28:29], vcc
	s_xor_b64 s[30:31], exec, s[28:29]
	s_cbranch_execz .LBB6_14196
; %bb.14183:                            ;   in Loop: Header=BB6_13186 Depth=3
	v_and_b32_e32 v13, 0x7fffffff, v2
	v_mov_b32_e32 v14, v33
	v_cmp_gt_u64_e32 vcc, s[78:79], v[13:14]
	v_and_b32_sdwa v3, v2, s97 dst_sel:DWORD dst_unused:UNUSED_PAD src0_sel:BYTE_3 src1_sel:DWORD
                                        ; implicit-def: $vgpr7
                                        ; kill: killed $vgpr7
	s_and_saveexec_b64 s[28:29], vcc
	s_xor_b64 s[34:35], exec, s[28:29]
	s_cbranch_execz .LBB6_14193
; %bb.14184:                            ;   in Loop: Header=BB6_13186 Depth=3
	v_mov_b32_e32 v7, 0
	v_cmp_ne_u32_e32 vcc, 0, v2
	buffer_store_dword v7, off, s[0:3], s33 offset:324 ; 4-byte Folded Spill
	s_and_saveexec_b64 s[36:37], vcc
	s_cbranch_execz .LBB6_14192
; %bb.14185:                            ;   in Loop: Header=BB6_13186 Depth=3
	v_bfe_u32 v13, v2, 23, 8
	v_cmp_gt_u32_e64 s[28:29], s47, v13
	v_sub_u32_e32 v2, 0x71, v13
	v_cmp_eq_u32_e32 vcc, 0, v13
	v_cndmask_b32_e64 v2, 0, v2, s[28:29]
	v_mov_b32_e32 v14, 0x70
	v_cndmask_b32_e32 v14, v2, v14, vcc
	v_or_b32_e32 v15, 0x800000, v0
	v_add_u32_e32 v2, 21, v14
	v_cndmask_b32_e32 v0, v15, v0, vcc
	v_lshlrev_b64 v[15:16], v2, -1
	v_add_u32_e32 v2, 20, v14
	v_bfi_b32 v15, v15, 0, v0
	v_lshlrev_b64 v[17:18], v2, 1
	v_lshrrev_b64 v[0:1], v14, v[0:1]
	v_bfi_b32 v16, v16, 0, 0
	v_cmp_eq_u64_e64 s[28:29], v[15:16], v[17:18]
	v_mov_b32_e32 v2, v1
	v_mov_b32_e32 v1, v0
	s_and_saveexec_b64 s[38:39], s[28:29]
; %bb.14186:                            ;   in Loop: Header=BB6_13186 Depth=3
	v_bfe_u32 v1, v0, 21, 1
	v_add_co_u32_e64 v1, s[28:29], v0, v1
	v_add_co_u32_e64 v1, s[28:29], -1, v1
; %bb.14187:                            ;   in Loop: Header=BB6_13186 Depth=3
	s_or_b64 exec, exec, s[38:39]
	v_add_u32_e32 v2, 0xffffff81, v13
	v_mov_b32_e32 v13, 0xffffff82
	v_cndmask_b32_e32 v2, v2, v13, vcc
	v_lshrrev_b32_e32 v13, 23, v0
	v_add3_u32 v14, v14, v2, v13
	v_add_u32_e32 v13, 14, v14
	v_and_b32_e32 v1, 0x1fffff, v1
	v_add_u32_e32 v0, v1, v0
	v_mov_b32_e32 v1, v33
	v_cmp_ne_u32_e32 vcc, 0, v13
                                        ; implicit-def: $vgpr2
	s_and_saveexec_b64 s[28:29], vcc
	s_xor_b64 s[28:29], exec, s[28:29]
; %bb.14188:                            ;   in Loop: Header=BB6_13186 Depth=3
	v_cmp_lt_u64_e32 vcc, s[88:89], v[0:1]
	v_add_u32_e32 v2, 15, v14
	v_cndmask_b32_e32 v2, v13, v2, vcc
	v_cndmask_b32_e64 v13, 0, 1, vcc
	v_lshrrev_b64 v[0:1], v13, v[0:1]
; %bb.14189:                            ;   in Loop: Header=BB6_13186 Depth=3
	s_andn2_saveexec_b64 s[28:29], s[28:29]
; %bb.14190:                            ;   in Loop: Header=BB6_13186 Depth=3
	v_bfe_u32 v2, v0, 23, 1
; %bb.14191:                            ;   in Loop: Header=BB6_13186 Depth=3
	s_or_b64 exec, exec, s[28:29]
	v_lshrrev_b64 v[0:1], 21, v[0:1]
	v_cmp_gt_i32_e32 vcc, 32, v2
	v_cndmask_b32_e32 v1, 0, v1, vcc
	v_cndmask_b32_e32 v0, 3, v0, vcc
	v_cmp_eq_u64_e64 s[28:29], 0, v[0:1]
	v_min_i32_e32 v1, 31, v2
	v_lshlrev_b32_e32 v1, 2, v1
	v_cmp_eq_u32_e32 vcc, 0, v2
	v_and_b32_e32 v1, 0xfc, v1
	v_and_or_b32 v0, v0, 3, v1
	s_and_b64 s[28:29], vcc, s[28:29]
	v_cndmask_b32_e64 v0, v0, 0, s[28:29]
	v_or_b32_e32 v0, v0, v3
	buffer_store_dword v0, off, s[0:3], s33 offset:324 ; 4-byte Folded Spill
.LBB6_14192:                            ;   in Loop: Header=BB6_13186 Depth=3
	s_or_b64 exec, exec, s[36:37]
                                        ; implicit-def: $vgpr3
.LBB6_14193:                            ;   in Loop: Header=BB6_13186 Depth=3
	s_andn2_saveexec_b64 s[28:29], s[34:35]
	s_cbranch_execz .LBB6_14195
; %bb.14194:                            ;   in Loop: Header=BB6_13186 Depth=3
	v_or_b32_e32 v0, 0x7b, v3
	buffer_store_dword v0, off, s[0:3], s33 offset:324 ; 4-byte Folded Spill
.LBB6_14195:                            ;   in Loop: Header=BB6_13186 Depth=3
	s_or_b64 exec, exec, s[28:29]
                                        ; implicit-def: $vgpr2
                                        ; implicit-def: $vgpr0_vgpr1
.LBB6_14196:                            ;   in Loop: Header=BB6_13186 Depth=3
	s_andn2_saveexec_b64 s[28:29], s[30:31]
	s_cbranch_execz .LBB6_14202
; %bb.14197:                            ;   in Loop: Header=BB6_13186 Depth=3
	v_cmp_ne_u64_e32 vcc, 0, v[0:1]
                                        ; implicit-def: $vgpr0
                                        ; kill: killed $vgpr0
	s_and_saveexec_b64 s[62:63], vcc
	s_xor_b64 vcc, exec, s[62:63]
	s_cbranch_execz .LBB6_14199
; %bb.14198:                            ;   in Loop: Header=BB6_13186 Depth=3
	v_or_b32_sdwa v0, v2, s44 dst_sel:DWORD dst_unused:UNUSED_PAD src0_sel:BYTE_3 src1_sel:DWORD
	buffer_store_dword v0, off, s[0:3], s33 offset:324 ; 4-byte Folded Spill
                                        ; implicit-def: $vgpr2
.LBB6_14199:                            ;   in Loop: Header=BB6_13186 Depth=3
	s_andn2_saveexec_b64 s[30:31], vcc
	s_cbranch_execz .LBB6_14201
; %bb.14200:                            ;   in Loop: Header=BB6_13186 Depth=3
	v_cmp_lt_i32_e32 vcc, -1, v2
	v_bfrev_b32_e32 v0, 0.5
	v_mov_b32_e32 v1, 0x7c
	v_cndmask_b32_e32 v0, v0, v1, vcc
	buffer_store_dword v0, off, s[0:3], s33 offset:324 ; 4-byte Folded Spill
.LBB6_14201:                            ;   in Loop: Header=BB6_13186 Depth=3
	s_or_b64 exec, exec, s[30:31]
.LBB6_14202:                            ;   in Loop: Header=BB6_13186 Depth=3
	s_or_b64 exec, exec, s[28:29]
	v_mov_b32_e32 v0, v9
	v_mov_b32_e32 v1, v33
	v_cmp_ne_u16_sdwa s[62:63], v9, v33 src0_sel:BYTE_0 src1_sel:DWORD
	v_mov_b32_e32 v2, 0
	s_and_saveexec_b64 s[28:29], s[62:63]
	s_cbranch_execz .LBB6_14210
; %bb.14203:                            ;   in Loop: Header=BB6_13186 Depth=3
	v_cmp_ne_u16_sdwa s[62:63], v9, s97 src0_sel:BYTE_0 src1_sel:DWORD
	v_bfrev_b32_e32 v2, 1
	s_and_saveexec_b64 s[30:31], s[62:63]
	s_cbranch_execz .LBB6_14209
; %bb.14204:                            ;   in Loop: Header=BB6_13186 Depth=3
	v_and_b32_e32 v2, 0x7c, v9
	v_and_b32_e32 v3, 3, v9
	v_cmp_ne_u32_e32 vcc, s86, v2
                                        ; implicit-def: $vgpr2
	s_and_saveexec_b64 s[62:63], vcc
	s_xor_b64 s[34:35], exec, s[62:63]
	s_cbranch_execz .LBB6_14206
; %bb.14205:                            ;   in Loop: Header=BB6_13186 Depth=3
	v_ffbh_u32_e32 v2, v3
	v_min_u32_e32 v14, 32, v2
	v_subrev_u32_e32 v2, 29, v14
	v_lshlrev_b64 v[1:2], v2, v[0:1]
	v_bfe_u32 v13, v9, 2, 5
	v_and_b32_e32 v1, 3, v1
	v_cmp_eq_u32_e32 vcc, 0, v13
	v_sub_u32_e32 v2, 30, v14
	v_cndmask_b32_e32 v1, v3, v1, vcc
	v_lshlrev_b32_e32 v3, 24, v9
	v_cndmask_b32_e32 v2, v13, v2, vcc
	v_and_b32_e32 v3, 0x80000000, v3
	v_lshl_add_u32 v2, v2, 23, v3
	v_lshl_or_b32 v1, v1, 21, v2
	v_add_u32_e32 v2, 0x38000000, v1
                                        ; implicit-def: $vgpr3
.LBB6_14206:                            ;   in Loop: Header=BB6_13186 Depth=3
	s_andn2_saveexec_b64 s[34:35], s[34:35]
; %bb.14207:                            ;   in Loop: Header=BB6_13186 Depth=3
	v_mov_b32_e32 v1, -1
	v_cmp_gt_i16_sdwa vcc, sext(v9), v1 src0_sel:BYTE_0 src1_sel:DWORD
	v_mov_b32_e32 v1, 0xff800000
	v_mov_b32_e32 v2, 0x7f800000
	v_cndmask_b32_e32 v1, v1, v2, vcc
	v_cmp_eq_u32_e32 vcc, 0, v3
	v_mov_b32_e32 v2, 0x7f800001
	v_cndmask_b32_e32 v2, v2, v1, vcc
; %bb.14208:                            ;   in Loop: Header=BB6_13186 Depth=3
	s_or_b64 exec, exec, s[34:35]
.LBB6_14209:                            ;   in Loop: Header=BB6_13186 Depth=3
	s_or_b64 exec, exec, s[30:31]
.LBB6_14210:                            ;   in Loop: Header=BB6_13186 Depth=3
	s_or_b64 exec, exec, s[28:29]
	v_mul_f32_e32 v3, v12, v2
	v_and_b32_e32 v13, 0x7f800000, v3
	v_mov_b32_e32 v14, v33
	v_cmp_ne_u64_e32 vcc, s[76:77], v[13:14]
	v_and_b32_e32 v1, 0x7fffff, v3
	v_mov_b32_e32 v2, v33
                                        ; implicit-def: $vgpr44
	s_and_saveexec_b64 s[28:29], vcc
	s_xor_b64 s[30:31], exec, s[28:29]
	s_cbranch_execz .LBB6_14224
; %bb.14211:                            ;   in Loop: Header=BB6_13186 Depth=3
	v_and_b32_e32 v13, 0x7fffffff, v3
	v_mov_b32_e32 v14, v33
	v_cmp_gt_u64_e32 vcc, s[78:79], v[13:14]
	v_and_b32_sdwa v13, v3, s97 dst_sel:DWORD dst_unused:UNUSED_PAD src0_sel:BYTE_3 src1_sel:DWORD
                                        ; implicit-def: $vgpr44
	s_and_saveexec_b64 s[28:29], vcc
	s_xor_b64 s[34:35], exec, s[28:29]
	s_cbranch_execz .LBB6_14221
; %bb.14212:                            ;   in Loop: Header=BB6_13186 Depth=3
	v_mov_b32_e32 v44, 0
	v_cmp_ne_u32_e32 vcc, 0, v3
	s_and_saveexec_b64 s[36:37], vcc
	s_cbranch_execz .LBB6_14220
; %bb.14213:                            ;   in Loop: Header=BB6_13186 Depth=3
	v_bfe_u32 v14, v3, 23, 8
	v_cmp_gt_u32_e64 s[28:29], s47, v14
	v_sub_u32_e32 v3, 0x71, v14
	v_cmp_eq_u32_e32 vcc, 0, v14
	v_cndmask_b32_e64 v3, 0, v3, s[28:29]
	v_mov_b32_e32 v15, 0x70
	v_cndmask_b32_e32 v15, v3, v15, vcc
	v_or_b32_e32 v16, 0x800000, v1
	v_add_u32_e32 v3, 21, v15
	v_cndmask_b32_e32 v1, v16, v1, vcc
	v_lshlrev_b64 v[16:17], v3, -1
	v_add_u32_e32 v3, 20, v15
	v_bfi_b32 v16, v16, 0, v1
	v_lshlrev_b64 v[18:19], v3, 1
	v_lshrrev_b64 v[1:2], v15, v[1:2]
	v_bfi_b32 v17, v17, 0, 0
	v_cmp_eq_u64_e64 s[28:29], v[16:17], v[18:19]
	v_mov_b32_e32 v3, v2
	v_mov_b32_e32 v2, v1
	s_and_saveexec_b64 s[38:39], s[28:29]
; %bb.14214:                            ;   in Loop: Header=BB6_13186 Depth=3
	v_bfe_u32 v2, v1, 21, 1
	v_add_co_u32_e64 v2, s[28:29], v1, v2
	v_add_co_u32_e64 v2, s[28:29], -1, v2
; %bb.14215:                            ;   in Loop: Header=BB6_13186 Depth=3
	s_or_b64 exec, exec, s[38:39]
	v_add_u32_e32 v3, 0xffffff81, v14
	v_mov_b32_e32 v14, 0xffffff82
	v_cndmask_b32_e32 v3, v3, v14, vcc
	v_lshrrev_b32_e32 v14, 23, v1
	v_add3_u32 v15, v15, v3, v14
	v_add_u32_e32 v14, 14, v15
	v_and_b32_e32 v2, 0x1fffff, v2
	v_add_u32_e32 v1, v2, v1
	v_mov_b32_e32 v2, v33
	v_cmp_ne_u32_e32 vcc, 0, v14
                                        ; implicit-def: $vgpr3
	s_and_saveexec_b64 s[28:29], vcc
	s_xor_b64 s[28:29], exec, s[28:29]
; %bb.14216:                            ;   in Loop: Header=BB6_13186 Depth=3
	v_cmp_lt_u64_e32 vcc, s[88:89], v[1:2]
	v_add_u32_e32 v3, 15, v15
	v_cndmask_b32_e32 v3, v14, v3, vcc
	v_cndmask_b32_e64 v14, 0, 1, vcc
	v_lshrrev_b64 v[1:2], v14, v[1:2]
; %bb.14217:                            ;   in Loop: Header=BB6_13186 Depth=3
	s_andn2_saveexec_b64 s[28:29], s[28:29]
; %bb.14218:                            ;   in Loop: Header=BB6_13186 Depth=3
	v_bfe_u32 v3, v1, 23, 1
; %bb.14219:                            ;   in Loop: Header=BB6_13186 Depth=3
	s_or_b64 exec, exec, s[28:29]
	v_lshrrev_b64 v[1:2], 21, v[1:2]
	v_cmp_gt_i32_e32 vcc, 32, v3
	v_cndmask_b32_e32 v2, 0, v2, vcc
	v_cndmask_b32_e32 v1, 3, v1, vcc
	v_cmp_eq_u64_e64 s[28:29], 0, v[1:2]
	v_min_i32_e32 v2, 31, v3
	v_lshlrev_b32_e32 v2, 2, v2
	v_cmp_eq_u32_e32 vcc, 0, v3
	v_and_b32_e32 v2, 0xfc, v2
	v_and_or_b32 v1, v1, 3, v2
	s_and_b64 s[28:29], vcc, s[28:29]
	v_cndmask_b32_e64 v1, v1, 0, s[28:29]
	v_or_b32_e32 v44, v1, v13
.LBB6_14220:                            ;   in Loop: Header=BB6_13186 Depth=3
	s_or_b64 exec, exec, s[36:37]
                                        ; implicit-def: $vgpr13
.LBB6_14221:                            ;   in Loop: Header=BB6_13186 Depth=3
	s_andn2_saveexec_b64 s[28:29], s[34:35]
; %bb.14222:                            ;   in Loop: Header=BB6_13186 Depth=3
	v_or_b32_e32 v44, 0x7b, v13
; %bb.14223:                            ;   in Loop: Header=BB6_13186 Depth=3
	s_or_b64 exec, exec, s[28:29]
                                        ; implicit-def: $vgpr3
                                        ; implicit-def: $vgpr1_vgpr2
.LBB6_14224:                            ;   in Loop: Header=BB6_13186 Depth=3
	s_andn2_saveexec_b64 s[28:29], s[30:31]
	s_cbranch_execz .LBB6_14230
; %bb.14225:                            ;   in Loop: Header=BB6_13186 Depth=3
	v_cmp_ne_u64_e32 vcc, 0, v[1:2]
                                        ; implicit-def: $vgpr44
	s_and_saveexec_b64 s[62:63], vcc
	s_xor_b64 vcc, exec, s[62:63]
; %bb.14226:                            ;   in Loop: Header=BB6_13186 Depth=3
	v_or_b32_sdwa v44, v3, s44 dst_sel:DWORD dst_unused:UNUSED_PAD src0_sel:BYTE_3 src1_sel:DWORD
                                        ; implicit-def: $vgpr3
; %bb.14227:                            ;   in Loop: Header=BB6_13186 Depth=3
	s_andn2_saveexec_b64 s[30:31], vcc
; %bb.14228:                            ;   in Loop: Header=BB6_13186 Depth=3
	v_cmp_lt_i32_e32 vcc, -1, v3
	v_bfrev_b32_e32 v1, 0.5
	v_mov_b32_e32 v2, 0x7c
	v_cndmask_b32_e32 v44, v1, v2, vcc
; %bb.14229:                            ;   in Loop: Header=BB6_13186 Depth=3
	s_or_b64 exec, exec, s[30:31]
.LBB6_14230:                            ;   in Loop: Header=BB6_13186 Depth=3
	s_or_b64 exec, exec, s[28:29]
	v_lshrrev_b16_e32 v1, 8, v0
	v_cmp_ne_u16_e32 vcc, 0, v1
	v_mov_b32_e32 v2, 0
	s_and_saveexec_b64 s[28:29], vcc
	s_cbranch_execz .LBB6_14238
; %bb.14231:                            ;   in Loop: Header=BB6_13186 Depth=3
	v_cmp_ne_u16_e32 vcc, s97, v1
	v_bfrev_b32_e32 v2, 1
	s_and_saveexec_b64 s[30:31], vcc
	s_cbranch_execz .LBB6_14237
; %bb.14232:                            ;   in Loop: Header=BB6_13186 Depth=3
	v_and_b32_e32 v2, 0x7c, v1
	v_and_b32_e32 v3, 3, v1
	v_cmp_ne_u32_e32 vcc, s86, v2
                                        ; implicit-def: $vgpr2
	s_and_saveexec_b64 s[62:63], vcc
	s_xor_b64 s[34:35], exec, s[62:63]
	s_cbranch_execz .LBB6_14234
; %bb.14233:                            ;   in Loop: Header=BB6_13186 Depth=3
	v_ffbh_u32_e32 v14, v3
	v_min_u32_e32 v14, 32, v14
	v_mov_b32_e32 v2, v33
	v_subrev_u32_e32 v15, 29, v14
	v_bfe_u32 v13, v1, 2, 5
	v_lshlrev_b64 v[1:2], v15, v[1:2]
	v_sub_u32_e32 v2, 30, v14
	v_cmp_eq_u32_e32 vcc, 0, v13
	v_lshlrev_b32_e32 v0, 16, v0
	v_and_b32_e32 v1, 3, v1
	v_cndmask_b32_e32 v2, v13, v2, vcc
	v_and_b32_e32 v0, 0x80000000, v0
	v_cndmask_b32_e32 v1, v3, v1, vcc
	v_lshl_add_u32 v0, v2, 23, v0
	v_lshl_or_b32 v0, v1, 21, v0
	v_add_u32_e32 v2, 0x38000000, v0
                                        ; implicit-def: $vgpr3
                                        ; implicit-def: $vgpr0_vgpr1
.LBB6_14234:                            ;   in Loop: Header=BB6_13186 Depth=3
	s_andn2_saveexec_b64 s[34:35], s[34:35]
; %bb.14235:                            ;   in Loop: Header=BB6_13186 Depth=3
	v_cmp_lt_i16_e32 vcc, -1, v0
	v_mov_b32_e32 v0, 0xff800000
	v_mov_b32_e32 v1, 0x7f800000
	v_cndmask_b32_e32 v0, v0, v1, vcc
	v_cmp_eq_u32_e32 vcc, 0, v3
	v_mov_b32_e32 v1, 0x7f800001
	v_cndmask_b32_e32 v2, v1, v0, vcc
; %bb.14236:                            ;   in Loop: Header=BB6_13186 Depth=3
	s_or_b64 exec, exec, s[34:35]
.LBB6_14237:                            ;   in Loop: Header=BB6_13186 Depth=3
	s_or_b64 exec, exec, s[30:31]
.LBB6_14238:                            ;   in Loop: Header=BB6_13186 Depth=3
	s_or_b64 exec, exec, s[28:29]
	v_mul_f32_e32 v2, v12, v2
	v_and_b32_e32 v13, 0x7f800000, v2
	v_mov_b32_e32 v14, v33
	v_cmp_ne_u64_e32 vcc, s[76:77], v[13:14]
	v_and_b32_e32 v0, 0x7fffff, v2
	v_mov_b32_e32 v1, v33
                                        ; implicit-def: $vgpr3
                                        ; kill: killed $vgpr3
	s_and_saveexec_b64 s[28:29], vcc
	s_xor_b64 s[30:31], exec, s[28:29]
	s_cbranch_execz .LBB6_14252
; %bb.14239:                            ;   in Loop: Header=BB6_13186 Depth=3
	v_and_b32_e32 v13, 0x7fffffff, v2
	v_mov_b32_e32 v14, v33
	v_cmp_gt_u64_e32 vcc, s[78:79], v[13:14]
	v_and_b32_sdwa v3, v2, s97 dst_sel:DWORD dst_unused:UNUSED_PAD src0_sel:BYTE_3 src1_sel:DWORD
                                        ; implicit-def: $vgpr7
                                        ; kill: killed $vgpr7
	s_and_saveexec_b64 s[28:29], vcc
	s_xor_b64 s[34:35], exec, s[28:29]
	s_cbranch_execz .LBB6_14249
; %bb.14240:                            ;   in Loop: Header=BB6_13186 Depth=3
	v_mov_b32_e32 v7, 0
	v_cmp_ne_u32_e32 vcc, 0, v2
	buffer_store_dword v7, off, s[0:3], s33 offset:288 ; 4-byte Folded Spill
	s_and_saveexec_b64 s[36:37], vcc
	s_cbranch_execz .LBB6_14248
; %bb.14241:                            ;   in Loop: Header=BB6_13186 Depth=3
	v_bfe_u32 v13, v2, 23, 8
	v_cmp_gt_u32_e64 s[28:29], s47, v13
	v_sub_u32_e32 v2, 0x71, v13
	v_cmp_eq_u32_e32 vcc, 0, v13
	v_cndmask_b32_e64 v2, 0, v2, s[28:29]
	v_mov_b32_e32 v14, 0x70
	v_cndmask_b32_e32 v14, v2, v14, vcc
	v_or_b32_e32 v15, 0x800000, v0
	v_add_u32_e32 v2, 21, v14
	v_cndmask_b32_e32 v0, v15, v0, vcc
	v_lshlrev_b64 v[15:16], v2, -1
	v_add_u32_e32 v2, 20, v14
	v_bfi_b32 v15, v15, 0, v0
	v_lshlrev_b64 v[17:18], v2, 1
	v_lshrrev_b64 v[0:1], v14, v[0:1]
	v_bfi_b32 v16, v16, 0, 0
	v_cmp_eq_u64_e64 s[28:29], v[15:16], v[17:18]
	v_mov_b32_e32 v2, v1
	v_mov_b32_e32 v1, v0
	s_and_saveexec_b64 s[38:39], s[28:29]
; %bb.14242:                            ;   in Loop: Header=BB6_13186 Depth=3
	v_bfe_u32 v1, v0, 21, 1
	v_add_co_u32_e64 v1, s[28:29], v0, v1
	v_add_co_u32_e64 v1, s[28:29], -1, v1
; %bb.14243:                            ;   in Loop: Header=BB6_13186 Depth=3
	s_or_b64 exec, exec, s[38:39]
	v_add_u32_e32 v2, 0xffffff81, v13
	v_mov_b32_e32 v13, 0xffffff82
	v_cndmask_b32_e32 v2, v2, v13, vcc
	v_lshrrev_b32_e32 v13, 23, v0
	v_add3_u32 v14, v14, v2, v13
	v_add_u32_e32 v13, 14, v14
	v_and_b32_e32 v1, 0x1fffff, v1
	v_add_u32_e32 v0, v1, v0
	v_mov_b32_e32 v1, v33
	v_cmp_ne_u32_e32 vcc, 0, v13
                                        ; implicit-def: $vgpr2
	s_and_saveexec_b64 s[28:29], vcc
	s_xor_b64 s[28:29], exec, s[28:29]
; %bb.14244:                            ;   in Loop: Header=BB6_13186 Depth=3
	v_cmp_lt_u64_e32 vcc, s[88:89], v[0:1]
	v_add_u32_e32 v2, 15, v14
	v_cndmask_b32_e32 v2, v13, v2, vcc
	v_cndmask_b32_e64 v13, 0, 1, vcc
	v_lshrrev_b64 v[0:1], v13, v[0:1]
; %bb.14245:                            ;   in Loop: Header=BB6_13186 Depth=3
	s_andn2_saveexec_b64 s[28:29], s[28:29]
; %bb.14246:                            ;   in Loop: Header=BB6_13186 Depth=3
	v_bfe_u32 v2, v0, 23, 1
; %bb.14247:                            ;   in Loop: Header=BB6_13186 Depth=3
	s_or_b64 exec, exec, s[28:29]
	v_lshrrev_b64 v[0:1], 21, v[0:1]
	v_cmp_gt_i32_e32 vcc, 32, v2
	v_cndmask_b32_e32 v1, 0, v1, vcc
	v_cndmask_b32_e32 v0, 3, v0, vcc
	v_cmp_eq_u64_e64 s[28:29], 0, v[0:1]
	v_min_i32_e32 v1, 31, v2
	v_lshlrev_b32_e32 v1, 2, v1
	v_cmp_eq_u32_e32 vcc, 0, v2
	v_and_b32_e32 v1, 0xfc, v1
	v_and_or_b32 v0, v0, 3, v1
	s_and_b64 s[28:29], vcc, s[28:29]
	v_cndmask_b32_e64 v0, v0, 0, s[28:29]
	v_or_b32_e32 v0, v0, v3
	buffer_store_dword v0, off, s[0:3], s33 offset:288 ; 4-byte Folded Spill
.LBB6_14248:                            ;   in Loop: Header=BB6_13186 Depth=3
	s_or_b64 exec, exec, s[36:37]
                                        ; implicit-def: $vgpr3
.LBB6_14249:                            ;   in Loop: Header=BB6_13186 Depth=3
	s_andn2_saveexec_b64 s[28:29], s[34:35]
	s_cbranch_execz .LBB6_14251
; %bb.14250:                            ;   in Loop: Header=BB6_13186 Depth=3
	v_or_b32_e32 v0, 0x7b, v3
	buffer_store_dword v0, off, s[0:3], s33 offset:288 ; 4-byte Folded Spill
.LBB6_14251:                            ;   in Loop: Header=BB6_13186 Depth=3
	s_or_b64 exec, exec, s[28:29]
                                        ; implicit-def: $vgpr2
                                        ; implicit-def: $vgpr0_vgpr1
.LBB6_14252:                            ;   in Loop: Header=BB6_13186 Depth=3
	s_andn2_saveexec_b64 s[28:29], s[30:31]
	s_cbranch_execz .LBB6_14258
; %bb.14253:                            ;   in Loop: Header=BB6_13186 Depth=3
	v_cmp_ne_u64_e32 vcc, 0, v[0:1]
                                        ; implicit-def: $vgpr0
                                        ; kill: killed $vgpr0
	s_and_saveexec_b64 s[62:63], vcc
	s_xor_b64 vcc, exec, s[62:63]
	s_cbranch_execz .LBB6_14255
; %bb.14254:                            ;   in Loop: Header=BB6_13186 Depth=3
	v_or_b32_sdwa v0, v2, s44 dst_sel:DWORD dst_unused:UNUSED_PAD src0_sel:BYTE_3 src1_sel:DWORD
	buffer_store_dword v0, off, s[0:3], s33 offset:288 ; 4-byte Folded Spill
                                        ; implicit-def: $vgpr2
.LBB6_14255:                            ;   in Loop: Header=BB6_13186 Depth=3
	s_andn2_saveexec_b64 s[30:31], vcc
	s_cbranch_execz .LBB6_14257
; %bb.14256:                            ;   in Loop: Header=BB6_13186 Depth=3
	v_cmp_lt_i32_e32 vcc, -1, v2
	v_bfrev_b32_e32 v0, 0.5
	v_mov_b32_e32 v1, 0x7c
	v_cndmask_b32_e32 v0, v0, v1, vcc
	buffer_store_dword v0, off, s[0:3], s33 offset:288 ; 4-byte Folded Spill
.LBB6_14257:                            ;   in Loop: Header=BB6_13186 Depth=3
	s_or_b64 exec, exec, s[30:31]
.LBB6_14258:                            ;   in Loop: Header=BB6_13186 Depth=3
	s_or_b64 exec, exec, s[28:29]
	v_lshrrev_b32_e32 v0, 16, v9
	v_cmp_ne_u16_sdwa s[62:63], v0, v33 src0_sel:BYTE_0 src1_sel:DWORD
	v_mov_b32_e32 v1, 0
	s_and_saveexec_b64 s[28:29], s[62:63]
	s_cbranch_execz .LBB6_14266
; %bb.14259:                            ;   in Loop: Header=BB6_13186 Depth=3
	v_cmp_ne_u16_sdwa s[62:63], v0, s97 src0_sel:BYTE_0 src1_sel:DWORD
	v_bfrev_b32_e32 v1, 1
	s_and_saveexec_b64 s[30:31], s[62:63]
	s_cbranch_execz .LBB6_14265
; %bb.14260:                            ;   in Loop: Header=BB6_13186 Depth=3
	v_and_b32_e32 v1, 0x7c0000, v9
	v_bfe_u32 v2, v9, 16, 2
	v_cmp_ne_u32_e32 vcc, s45, v1
                                        ; implicit-def: $vgpr1
	s_and_saveexec_b64 s[62:63], vcc
	s_xor_b64 s[34:35], exec, s[62:63]
	s_cbranch_execz .LBB6_14262
; %bb.14261:                            ;   in Loop: Header=BB6_13186 Depth=3
	v_ffbh_u32_e32 v1, v2
	v_min_u32_e32 v13, 32, v1
	v_subrev_u32_e32 v1, 29, v13
	v_lshlrev_b64 v[0:1], v1, v[0:1]
	v_bfe_u32 v3, v9, 18, 5
	v_and_b32_e32 v0, 3, v0
	v_cmp_eq_u32_e32 vcc, 0, v3
	v_sub_u32_e32 v1, 30, v13
	v_cndmask_b32_e32 v0, v2, v0, vcc
	v_lshlrev_b32_e32 v2, 8, v9
	v_cndmask_b32_e32 v1, v3, v1, vcc
	v_and_b32_e32 v2, 0x80000000, v2
	v_lshl_add_u32 v1, v1, 23, v2
	v_lshl_or_b32 v0, v0, 21, v1
	v_add_u32_e32 v1, 0x38000000, v0
                                        ; implicit-def: $vgpr2
                                        ; implicit-def: $vgpr0
.LBB6_14262:                            ;   in Loop: Header=BB6_13186 Depth=3
	s_andn2_saveexec_b64 s[34:35], s[34:35]
; %bb.14263:                            ;   in Loop: Header=BB6_13186 Depth=3
	v_mov_b32_e32 v1, -1
	v_cmp_gt_i16_sdwa vcc, sext(v0), v1 src0_sel:BYTE_0 src1_sel:DWORD
	v_mov_b32_e32 v0, 0xff800000
	v_mov_b32_e32 v1, 0x7f800000
	v_cndmask_b32_e32 v0, v0, v1, vcc
	v_cmp_eq_u32_e32 vcc, 0, v2
	v_mov_b32_e32 v1, 0x7f800001
	v_cndmask_b32_e32 v1, v1, v0, vcc
; %bb.14264:                            ;   in Loop: Header=BB6_13186 Depth=3
	s_or_b64 exec, exec, s[34:35]
.LBB6_14265:                            ;   in Loop: Header=BB6_13186 Depth=3
	s_or_b64 exec, exec, s[30:31]
.LBB6_14266:                            ;   in Loop: Header=BB6_13186 Depth=3
	s_or_b64 exec, exec, s[28:29]
	v_mul_f32_e32 v2, v12, v1
	v_and_b32_e32 v13, 0x7f800000, v2
	v_mov_b32_e32 v14, v33
	v_cmp_ne_u64_e32 vcc, s[76:77], v[13:14]
	v_and_b32_e32 v0, 0x7fffff, v2
	v_mov_b32_e32 v1, v33
                                        ; implicit-def: $vgpr3
                                        ; kill: killed $vgpr3
	s_and_saveexec_b64 s[28:29], vcc
	s_xor_b64 s[30:31], exec, s[28:29]
	s_cbranch_execz .LBB6_14280
; %bb.14267:                            ;   in Loop: Header=BB6_13186 Depth=3
	v_and_b32_e32 v13, 0x7fffffff, v2
	v_mov_b32_e32 v14, v33
	v_cmp_gt_u64_e32 vcc, s[78:79], v[13:14]
	v_and_b32_sdwa v3, v2, s97 dst_sel:DWORD dst_unused:UNUSED_PAD src0_sel:BYTE_3 src1_sel:DWORD
                                        ; implicit-def: $vgpr7
                                        ; kill: killed $vgpr7
	s_and_saveexec_b64 s[28:29], vcc
	s_xor_b64 s[34:35], exec, s[28:29]
	s_cbranch_execz .LBB6_14277
; %bb.14268:                            ;   in Loop: Header=BB6_13186 Depth=3
	v_mov_b32_e32 v7, 0
	v_cmp_ne_u32_e32 vcc, 0, v2
	buffer_store_dword v7, off, s[0:3], s33 offset:304 ; 4-byte Folded Spill
	s_and_saveexec_b64 s[36:37], vcc
	s_cbranch_execz .LBB6_14276
; %bb.14269:                            ;   in Loop: Header=BB6_13186 Depth=3
	v_bfe_u32 v13, v2, 23, 8
	v_cmp_gt_u32_e64 s[28:29], s47, v13
	v_sub_u32_e32 v2, 0x71, v13
	v_cmp_eq_u32_e32 vcc, 0, v13
	v_cndmask_b32_e64 v2, 0, v2, s[28:29]
	v_mov_b32_e32 v14, 0x70
	v_cndmask_b32_e32 v14, v2, v14, vcc
	v_or_b32_e32 v15, 0x800000, v0
	v_add_u32_e32 v2, 21, v14
	v_cndmask_b32_e32 v0, v15, v0, vcc
	v_lshlrev_b64 v[15:16], v2, -1
	v_add_u32_e32 v2, 20, v14
	v_bfi_b32 v15, v15, 0, v0
	v_lshlrev_b64 v[17:18], v2, 1
	v_lshrrev_b64 v[0:1], v14, v[0:1]
	v_bfi_b32 v16, v16, 0, 0
	v_cmp_eq_u64_e64 s[28:29], v[15:16], v[17:18]
	v_mov_b32_e32 v2, v1
	v_mov_b32_e32 v1, v0
	s_and_saveexec_b64 s[38:39], s[28:29]
; %bb.14270:                            ;   in Loop: Header=BB6_13186 Depth=3
	v_bfe_u32 v1, v0, 21, 1
	v_add_co_u32_e64 v1, s[28:29], v0, v1
	v_add_co_u32_e64 v1, s[28:29], -1, v1
; %bb.14271:                            ;   in Loop: Header=BB6_13186 Depth=3
	s_or_b64 exec, exec, s[38:39]
	v_add_u32_e32 v2, 0xffffff81, v13
	v_mov_b32_e32 v13, 0xffffff82
	v_cndmask_b32_e32 v2, v2, v13, vcc
	v_lshrrev_b32_e32 v13, 23, v0
	v_add3_u32 v14, v14, v2, v13
	v_add_u32_e32 v13, 14, v14
	v_and_b32_e32 v1, 0x1fffff, v1
	v_add_u32_e32 v0, v1, v0
	v_mov_b32_e32 v1, v33
	v_cmp_ne_u32_e32 vcc, 0, v13
                                        ; implicit-def: $vgpr2
	s_and_saveexec_b64 s[28:29], vcc
	s_xor_b64 s[28:29], exec, s[28:29]
; %bb.14272:                            ;   in Loop: Header=BB6_13186 Depth=3
	v_cmp_lt_u64_e32 vcc, s[88:89], v[0:1]
	v_add_u32_e32 v2, 15, v14
	v_cndmask_b32_e32 v2, v13, v2, vcc
	v_cndmask_b32_e64 v13, 0, 1, vcc
	v_lshrrev_b64 v[0:1], v13, v[0:1]
; %bb.14273:                            ;   in Loop: Header=BB6_13186 Depth=3
	s_andn2_saveexec_b64 s[28:29], s[28:29]
; %bb.14274:                            ;   in Loop: Header=BB6_13186 Depth=3
	v_bfe_u32 v2, v0, 23, 1
; %bb.14275:                            ;   in Loop: Header=BB6_13186 Depth=3
	s_or_b64 exec, exec, s[28:29]
	v_lshrrev_b64 v[0:1], 21, v[0:1]
	v_cmp_gt_i32_e32 vcc, 32, v2
	v_cndmask_b32_e32 v1, 0, v1, vcc
	v_cndmask_b32_e32 v0, 3, v0, vcc
	v_cmp_eq_u64_e64 s[28:29], 0, v[0:1]
	v_min_i32_e32 v1, 31, v2
	v_lshlrev_b32_e32 v1, 2, v1
	v_cmp_eq_u32_e32 vcc, 0, v2
	v_and_b32_e32 v1, 0xfc, v1
	v_and_or_b32 v0, v0, 3, v1
	s_and_b64 s[28:29], vcc, s[28:29]
	v_cndmask_b32_e64 v0, v0, 0, s[28:29]
	v_or_b32_e32 v0, v0, v3
	buffer_store_dword v0, off, s[0:3], s33 offset:304 ; 4-byte Folded Spill
.LBB6_14276:                            ;   in Loop: Header=BB6_13186 Depth=3
	s_or_b64 exec, exec, s[36:37]
                                        ; implicit-def: $vgpr3
.LBB6_14277:                            ;   in Loop: Header=BB6_13186 Depth=3
	s_andn2_saveexec_b64 s[28:29], s[34:35]
	s_cbranch_execz .LBB6_14279
; %bb.14278:                            ;   in Loop: Header=BB6_13186 Depth=3
	v_or_b32_e32 v0, 0x7b, v3
	buffer_store_dword v0, off, s[0:3], s33 offset:304 ; 4-byte Folded Spill
.LBB6_14279:                            ;   in Loop: Header=BB6_13186 Depth=3
	s_or_b64 exec, exec, s[28:29]
                                        ; implicit-def: $vgpr2
                                        ; implicit-def: $vgpr0_vgpr1
.LBB6_14280:                            ;   in Loop: Header=BB6_13186 Depth=3
	s_andn2_saveexec_b64 s[28:29], s[30:31]
	s_cbranch_execz .LBB6_14286
; %bb.14281:                            ;   in Loop: Header=BB6_13186 Depth=3
	v_cmp_ne_u64_e32 vcc, 0, v[0:1]
                                        ; implicit-def: $vgpr0
                                        ; kill: killed $vgpr0
	s_and_saveexec_b64 s[62:63], vcc
	s_xor_b64 vcc, exec, s[62:63]
	s_cbranch_execz .LBB6_14283
; %bb.14282:                            ;   in Loop: Header=BB6_13186 Depth=3
	v_or_b32_sdwa v0, v2, s44 dst_sel:DWORD dst_unused:UNUSED_PAD src0_sel:BYTE_3 src1_sel:DWORD
	buffer_store_dword v0, off, s[0:3], s33 offset:304 ; 4-byte Folded Spill
                                        ; implicit-def: $vgpr2
.LBB6_14283:                            ;   in Loop: Header=BB6_13186 Depth=3
	s_andn2_saveexec_b64 s[30:31], vcc
	s_cbranch_execz .LBB6_14285
; %bb.14284:                            ;   in Loop: Header=BB6_13186 Depth=3
	v_cmp_lt_i32_e32 vcc, -1, v2
	v_bfrev_b32_e32 v0, 0.5
	v_mov_b32_e32 v1, 0x7c
	v_cndmask_b32_e32 v0, v0, v1, vcc
	buffer_store_dword v0, off, s[0:3], s33 offset:304 ; 4-byte Folded Spill
.LBB6_14285:                            ;   in Loop: Header=BB6_13186 Depth=3
	s_or_b64 exec, exec, s[30:31]
.LBB6_14286:                            ;   in Loop: Header=BB6_13186 Depth=3
	s_or_b64 exec, exec, s[28:29]
	v_cmp_lt_u64_e32 vcc, s[56:57], v[8:9]
	v_mov_b32_e32 v1, 0
	s_and_saveexec_b64 s[28:29], vcc
	s_cbranch_execz .LBB6_14294
; %bb.14287:                            ;   in Loop: Header=BB6_13186 Depth=3
	v_lshrrev_b32_e32 v0, 24, v9
	v_cmp_ne_u32_e32 vcc, s97, v0
	v_bfrev_b32_e32 v1, 1
	s_and_saveexec_b64 s[30:31], vcc
	s_cbranch_execz .LBB6_14293
; %bb.14288:                            ;   in Loop: Header=BB6_13186 Depth=3
	v_and_b32_e32 v1, 0x7c000000, v9
	v_bfe_u32 v2, v9, 24, 2
	v_cmp_ne_u32_e32 vcc, s68, v1
                                        ; implicit-def: $vgpr1
	s_and_saveexec_b64 s[62:63], vcc
	s_xor_b64 s[34:35], exec, s[62:63]
	s_cbranch_execz .LBB6_14290
; %bb.14289:                            ;   in Loop: Header=BB6_13186 Depth=3
	v_ffbh_u32_e32 v1, v2
	v_min_u32_e32 v13, 32, v1
	v_subrev_u32_e32 v1, 29, v13
	v_lshlrev_b64 v[0:1], v1, v[0:1]
	v_bfe_u32 v3, v9, 26, 5
	v_sub_u32_e32 v1, 30, v13
	v_and_b32_e32 v0, 3, v0
	v_cmp_eq_u32_e32 vcc, 0, v3
	v_cndmask_b32_e32 v1, v3, v1, vcc
	v_cndmask_b32_e32 v0, v2, v0, vcc
	v_and_b32_e32 v2, 0x80000000, v9
	v_lshl_add_u32 v1, v1, 23, v2
	v_lshl_or_b32 v0, v0, 21, v1
	v_add_u32_e32 v1, 0x38000000, v0
                                        ; implicit-def: $vgpr2
.LBB6_14290:                            ;   in Loop: Header=BB6_13186 Depth=3
	s_andn2_saveexec_b64 s[34:35], s[34:35]
; %bb.14291:                            ;   in Loop: Header=BB6_13186 Depth=3
	v_cmp_lt_i64_e32 vcc, -1, v[8:9]
	v_mov_b32_e32 v0, 0xff800000
	v_mov_b32_e32 v1, 0x7f800000
	v_cndmask_b32_e32 v0, v0, v1, vcc
	v_cmp_eq_u32_e32 vcc, 0, v2
	v_mov_b32_e32 v1, 0x7f800001
	v_cndmask_b32_e32 v1, v1, v0, vcc
; %bb.14292:                            ;   in Loop: Header=BB6_13186 Depth=3
	s_or_b64 exec, exec, s[34:35]
.LBB6_14293:                            ;   in Loop: Header=BB6_13186 Depth=3
	s_or_b64 exec, exec, s[30:31]
.LBB6_14294:                            ;   in Loop: Header=BB6_13186 Depth=3
	s_or_b64 exec, exec, s[28:29]
	v_mul_f32_e32 v2, v12, v1
	v_and_b32_e32 v8, 0x7f800000, v2
	v_mov_b32_e32 v9, v33
	v_cmp_ne_u64_e32 vcc, s[76:77], v[8:9]
	v_and_b32_e32 v0, 0x7fffff, v2
	v_mov_b32_e32 v1, v33
                                        ; implicit-def: $vgpr3
                                        ; kill: killed $vgpr3
	s_and_saveexec_b64 s[28:29], vcc
	s_xor_b64 s[30:31], exec, s[28:29]
	s_cbranch_execz .LBB6_14308
; %bb.14295:                            ;   in Loop: Header=BB6_13186 Depth=3
	v_and_b32_e32 v8, 0x7fffffff, v2
	v_mov_b32_e32 v9, v33
	v_cmp_gt_u64_e32 vcc, s[78:79], v[8:9]
	v_and_b32_sdwa v3, v2, s97 dst_sel:DWORD dst_unused:UNUSED_PAD src0_sel:BYTE_3 src1_sel:DWORD
                                        ; implicit-def: $vgpr7
                                        ; kill: killed $vgpr7
	s_and_saveexec_b64 s[28:29], vcc
	s_xor_b64 s[34:35], exec, s[28:29]
	s_cbranch_execz .LBB6_14305
; %bb.14296:                            ;   in Loop: Header=BB6_13186 Depth=3
	v_mov_b32_e32 v7, 0
	v_cmp_ne_u32_e32 vcc, 0, v2
	buffer_store_dword v7, off, s[0:3], s33 offset:312 ; 4-byte Folded Spill
	s_and_saveexec_b64 s[36:37], vcc
	s_cbranch_execz .LBB6_14304
; %bb.14297:                            ;   in Loop: Header=BB6_13186 Depth=3
	v_bfe_u32 v8, v2, 23, 8
	v_cmp_gt_u32_e64 s[28:29], s47, v8
	v_sub_u32_e32 v2, 0x71, v8
	v_cmp_eq_u32_e32 vcc, 0, v8
	v_cndmask_b32_e64 v2, 0, v2, s[28:29]
	v_mov_b32_e32 v9, 0x70
	v_cndmask_b32_e32 v9, v2, v9, vcc
	v_or_b32_e32 v13, 0x800000, v0
	v_add_u32_e32 v2, 21, v9
	v_cndmask_b32_e32 v0, v13, v0, vcc
	v_lshlrev_b64 v[13:14], v2, -1
	v_add_u32_e32 v2, 20, v9
	v_bfi_b32 v13, v13, 0, v0
	v_lshlrev_b64 v[15:16], v2, 1
	v_lshrrev_b64 v[0:1], v9, v[0:1]
	v_bfi_b32 v14, v14, 0, 0
	v_cmp_eq_u64_e64 s[28:29], v[13:14], v[15:16]
	v_mov_b32_e32 v2, v1
	v_mov_b32_e32 v1, v0
	s_and_saveexec_b64 s[38:39], s[28:29]
; %bb.14298:                            ;   in Loop: Header=BB6_13186 Depth=3
	v_bfe_u32 v1, v0, 21, 1
	v_add_co_u32_e64 v1, s[28:29], v0, v1
	v_add_co_u32_e64 v1, s[28:29], -1, v1
; %bb.14299:                            ;   in Loop: Header=BB6_13186 Depth=3
	s_or_b64 exec, exec, s[38:39]
	v_add_u32_e32 v2, 0xffffff81, v8
	v_mov_b32_e32 v8, 0xffffff82
	v_cndmask_b32_e32 v2, v2, v8, vcc
	v_lshrrev_b32_e32 v8, 23, v0
	v_add3_u32 v9, v9, v2, v8
	v_add_u32_e32 v8, 14, v9
	v_and_b32_e32 v1, 0x1fffff, v1
	v_add_u32_e32 v0, v1, v0
	v_mov_b32_e32 v1, v33
	v_cmp_ne_u32_e32 vcc, 0, v8
                                        ; implicit-def: $vgpr2
	s_and_saveexec_b64 s[28:29], vcc
	s_xor_b64 s[28:29], exec, s[28:29]
; %bb.14300:                            ;   in Loop: Header=BB6_13186 Depth=3
	v_cmp_lt_u64_e32 vcc, s[88:89], v[0:1]
	v_add_u32_e32 v2, 15, v9
	v_cndmask_b32_e32 v2, v8, v2, vcc
	v_cndmask_b32_e64 v8, 0, 1, vcc
	v_lshrrev_b64 v[0:1], v8, v[0:1]
; %bb.14301:                            ;   in Loop: Header=BB6_13186 Depth=3
	s_andn2_saveexec_b64 s[28:29], s[28:29]
; %bb.14302:                            ;   in Loop: Header=BB6_13186 Depth=3
	v_bfe_u32 v2, v0, 23, 1
; %bb.14303:                            ;   in Loop: Header=BB6_13186 Depth=3
	s_or_b64 exec, exec, s[28:29]
	v_lshrrev_b64 v[0:1], 21, v[0:1]
	v_cmp_gt_i32_e32 vcc, 32, v2
	v_cndmask_b32_e32 v1, 0, v1, vcc
	v_cndmask_b32_e32 v0, 3, v0, vcc
	v_cmp_eq_u64_e64 s[28:29], 0, v[0:1]
	v_min_i32_e32 v1, 31, v2
	v_lshlrev_b32_e32 v1, 2, v1
	v_cmp_eq_u32_e32 vcc, 0, v2
	v_and_b32_e32 v1, 0xfc, v1
	v_and_or_b32 v0, v0, 3, v1
	s_and_b64 s[28:29], vcc, s[28:29]
	v_cndmask_b32_e64 v0, v0, 0, s[28:29]
	v_or_b32_e32 v0, v0, v3
	buffer_store_dword v0, off, s[0:3], s33 offset:312 ; 4-byte Folded Spill
.LBB6_14304:                            ;   in Loop: Header=BB6_13186 Depth=3
	s_or_b64 exec, exec, s[36:37]
                                        ; implicit-def: $vgpr3
.LBB6_14305:                            ;   in Loop: Header=BB6_13186 Depth=3
	s_andn2_saveexec_b64 s[28:29], s[34:35]
	s_cbranch_execz .LBB6_14307
; %bb.14306:                            ;   in Loop: Header=BB6_13186 Depth=3
	v_or_b32_e32 v0, 0x7b, v3
	buffer_store_dword v0, off, s[0:3], s33 offset:312 ; 4-byte Folded Spill
.LBB6_14307:                            ;   in Loop: Header=BB6_13186 Depth=3
	s_or_b64 exec, exec, s[28:29]
                                        ; implicit-def: $vgpr2
                                        ; implicit-def: $vgpr0_vgpr1
.LBB6_14308:                            ;   in Loop: Header=BB6_13186 Depth=3
	s_andn2_saveexec_b64 s[28:29], s[30:31]
	s_cbranch_execz .LBB6_14314
; %bb.14309:                            ;   in Loop: Header=BB6_13186 Depth=3
	v_cmp_ne_u64_e32 vcc, 0, v[0:1]
                                        ; implicit-def: $vgpr0
                                        ; kill: killed $vgpr0
	s_and_saveexec_b64 s[62:63], vcc
	s_xor_b64 vcc, exec, s[62:63]
	s_cbranch_execz .LBB6_14311
; %bb.14310:                            ;   in Loop: Header=BB6_13186 Depth=3
	v_or_b32_sdwa v0, v2, s44 dst_sel:DWORD dst_unused:UNUSED_PAD src0_sel:BYTE_3 src1_sel:DWORD
	buffer_store_dword v0, off, s[0:3], s33 offset:312 ; 4-byte Folded Spill
                                        ; implicit-def: $vgpr2
.LBB6_14311:                            ;   in Loop: Header=BB6_13186 Depth=3
	s_andn2_saveexec_b64 s[30:31], vcc
	s_cbranch_execz .LBB6_14313
; %bb.14312:                            ;   in Loop: Header=BB6_13186 Depth=3
	v_cmp_lt_i32_e32 vcc, -1, v2
	v_bfrev_b32_e32 v0, 0.5
	v_mov_b32_e32 v1, 0x7c
	v_cndmask_b32_e32 v0, v0, v1, vcc
	buffer_store_dword v0, off, s[0:3], s33 offset:312 ; 4-byte Folded Spill
.LBB6_14313:                            ;   in Loop: Header=BB6_13186 Depth=3
	s_or_b64 exec, exec, s[30:31]
.LBB6_14314:                            ;   in Loop: Header=BB6_13186 Depth=3
	s_or_b64 exec, exec, s[28:29]
	v_cmp_ne_u16_sdwa s[62:63], v10, v33 src0_sel:BYTE_0 src1_sel:DWORD
	v_mov_b32_e32 v0, 0
	s_and_saveexec_b64 s[28:29], s[62:63]
	s_cbranch_execz .LBB6_14322
; %bb.14315:                            ;   in Loop: Header=BB6_13186 Depth=3
	v_cmp_ne_u16_sdwa s[62:63], sext(v10), s46 src0_sel:BYTE_0 src1_sel:DWORD
	v_bfrev_b32_e32 v0, 1
	s_and_saveexec_b64 s[30:31], s[62:63]
	s_cbranch_execz .LBB6_14321
; %bb.14316:                            ;   in Loop: Header=BB6_13186 Depth=3
	v_and_b32_e32 v0, 0x7c, v10
	v_and_b32_e32 v1, 3, v10
	v_cmp_ne_u32_e32 vcc, s86, v0
                                        ; implicit-def: $vgpr0
	s_and_saveexec_b64 s[62:63], vcc
	s_xor_b64 s[34:35], exec, s[62:63]
	s_cbranch_execz .LBB6_14318
; %bb.14317:                            ;   in Loop: Header=BB6_13186 Depth=3
	v_ffbh_u32_e32 v2, v1
	v_min_u32_e32 v8, 32, v2
	v_subrev_u32_e32 v2, 29, v8
	v_lshlrev_b64 v[2:3], v2, v[10:11]
	v_bfe_u32 v0, v10, 2, 5
	v_and_b32_e32 v2, 3, v2
	v_cmp_eq_u32_e32 vcc, 0, v0
	v_sub_u32_e32 v3, 30, v8
	v_cndmask_b32_e32 v1, v1, v2, vcc
	v_lshlrev_b32_e32 v2, 24, v10
	v_cndmask_b32_e32 v0, v0, v3, vcc
	v_and_b32_e32 v2, 0x80000000, v2
	v_lshl_add_u32 v0, v0, 23, v2
	v_lshl_or_b32 v0, v1, 21, v0
	v_add_u32_e32 v0, 0x38000000, v0
                                        ; implicit-def: $vgpr1
.LBB6_14318:                            ;   in Loop: Header=BB6_13186 Depth=3
	s_andn2_saveexec_b64 s[34:35], s[34:35]
; %bb.14319:                            ;   in Loop: Header=BB6_13186 Depth=3
	v_mov_b32_e32 v0, -1
	v_cmp_gt_i16_sdwa vcc, sext(v10), v0 src0_sel:BYTE_0 src1_sel:DWORD
	v_mov_b32_e32 v0, 0xff800000
	v_mov_b32_e32 v2, 0x7f800000
	v_cndmask_b32_e32 v0, v0, v2, vcc
	v_cmp_eq_u32_e32 vcc, 0, v1
	v_mov_b32_e32 v1, 0x7f800001
	v_cndmask_b32_e32 v0, v1, v0, vcc
; %bb.14320:                            ;   in Loop: Header=BB6_13186 Depth=3
	s_or_b64 exec, exec, s[34:35]
.LBB6_14321:                            ;   in Loop: Header=BB6_13186 Depth=3
	s_or_b64 exec, exec, s[30:31]
.LBB6_14322:                            ;   in Loop: Header=BB6_13186 Depth=3
	s_or_b64 exec, exec, s[28:29]
	v_mul_f32_e32 v2, v12, v0
	v_and_b32_e32 v8, 0x7f800000, v2
	v_mov_b32_e32 v9, v33
	v_cmp_ne_u64_e32 vcc, s[76:77], v[8:9]
	v_and_b32_e32 v0, 0x7fffff, v2
	v_mov_b32_e32 v1, v33
                                        ; implicit-def: $vgpr55
	s_and_saveexec_b64 s[28:29], vcc
	s_xor_b64 s[30:31], exec, s[28:29]
	s_cbranch_execz .LBB6_14336
; %bb.14323:                            ;   in Loop: Header=BB6_13186 Depth=3
	v_and_b32_e32 v8, 0x7fffffff, v2
	v_mov_b32_e32 v9, v33
	v_cmp_gt_u64_e32 vcc, s[78:79], v[8:9]
	v_and_b32_sdwa v3, v2, s97 dst_sel:DWORD dst_unused:UNUSED_PAD src0_sel:BYTE_3 src1_sel:DWORD
                                        ; implicit-def: $vgpr55
	s_and_saveexec_b64 s[28:29], vcc
	s_xor_b64 s[34:35], exec, s[28:29]
	s_cbranch_execz .LBB6_14333
; %bb.14324:                            ;   in Loop: Header=BB6_13186 Depth=3
	v_mov_b32_e32 v55, 0
	v_cmp_ne_u32_e32 vcc, 0, v2
	s_and_saveexec_b64 s[36:37], vcc
	s_cbranch_execz .LBB6_14332
; %bb.14325:                            ;   in Loop: Header=BB6_13186 Depth=3
	v_bfe_u32 v8, v2, 23, 8
	v_cmp_gt_u32_e64 s[28:29], s47, v8
	v_sub_u32_e32 v2, 0x71, v8
	v_cmp_eq_u32_e32 vcc, 0, v8
	v_cndmask_b32_e64 v2, 0, v2, s[28:29]
	v_mov_b32_e32 v9, 0x70
	v_cndmask_b32_e32 v9, v2, v9, vcc
	v_or_b32_e32 v13, 0x800000, v0
	v_add_u32_e32 v2, 21, v9
	v_cndmask_b32_e32 v0, v13, v0, vcc
	v_lshlrev_b64 v[13:14], v2, -1
	v_add_u32_e32 v2, 20, v9
	v_bfi_b32 v13, v13, 0, v0
	v_lshlrev_b64 v[15:16], v2, 1
	v_lshrrev_b64 v[0:1], v9, v[0:1]
	v_bfi_b32 v14, v14, 0, 0
	v_cmp_eq_u64_e64 s[28:29], v[13:14], v[15:16]
	v_mov_b32_e32 v2, v1
	v_mov_b32_e32 v1, v0
	s_and_saveexec_b64 s[38:39], s[28:29]
; %bb.14326:                            ;   in Loop: Header=BB6_13186 Depth=3
	v_bfe_u32 v1, v0, 21, 1
	v_add_co_u32_e64 v1, s[28:29], v0, v1
	v_add_co_u32_e64 v1, s[28:29], -1, v1
; %bb.14327:                            ;   in Loop: Header=BB6_13186 Depth=3
	s_or_b64 exec, exec, s[38:39]
	v_add_u32_e32 v2, 0xffffff81, v8
	v_mov_b32_e32 v8, 0xffffff82
	v_cndmask_b32_e32 v2, v2, v8, vcc
	v_lshrrev_b32_e32 v8, 23, v0
	v_add3_u32 v9, v9, v2, v8
	v_add_u32_e32 v8, 14, v9
	v_and_b32_e32 v1, 0x1fffff, v1
	v_add_u32_e32 v0, v1, v0
	v_mov_b32_e32 v1, v33
	v_cmp_ne_u32_e32 vcc, 0, v8
                                        ; implicit-def: $vgpr2
	s_and_saveexec_b64 s[28:29], vcc
	s_xor_b64 s[28:29], exec, s[28:29]
; %bb.14328:                            ;   in Loop: Header=BB6_13186 Depth=3
	v_cmp_lt_u64_e32 vcc, s[88:89], v[0:1]
	v_add_u32_e32 v2, 15, v9
	v_cndmask_b32_e32 v2, v8, v2, vcc
	v_cndmask_b32_e64 v8, 0, 1, vcc
	v_lshrrev_b64 v[0:1], v8, v[0:1]
; %bb.14329:                            ;   in Loop: Header=BB6_13186 Depth=3
	s_andn2_saveexec_b64 s[28:29], s[28:29]
; %bb.14330:                            ;   in Loop: Header=BB6_13186 Depth=3
	v_bfe_u32 v2, v0, 23, 1
; %bb.14331:                            ;   in Loop: Header=BB6_13186 Depth=3
	s_or_b64 exec, exec, s[28:29]
	v_lshrrev_b64 v[0:1], 21, v[0:1]
	v_cmp_gt_i32_e32 vcc, 32, v2
	v_cndmask_b32_e32 v1, 0, v1, vcc
	v_cndmask_b32_e32 v0, 3, v0, vcc
	v_cmp_eq_u64_e64 s[28:29], 0, v[0:1]
	v_min_i32_e32 v1, 31, v2
	v_lshlrev_b32_e32 v1, 2, v1
	v_cmp_eq_u32_e32 vcc, 0, v2
	v_and_b32_e32 v1, 0xfc, v1
	v_and_or_b32 v0, v0, 3, v1
	s_and_b64 s[28:29], vcc, s[28:29]
	v_cndmask_b32_e64 v0, v0, 0, s[28:29]
	v_or_b32_e32 v55, v0, v3
.LBB6_14332:                            ;   in Loop: Header=BB6_13186 Depth=3
	s_or_b64 exec, exec, s[36:37]
                                        ; implicit-def: $vgpr3
.LBB6_14333:                            ;   in Loop: Header=BB6_13186 Depth=3
	s_andn2_saveexec_b64 s[28:29], s[34:35]
; %bb.14334:                            ;   in Loop: Header=BB6_13186 Depth=3
	v_or_b32_e32 v55, 0x7b, v3
; %bb.14335:                            ;   in Loop: Header=BB6_13186 Depth=3
	s_or_b64 exec, exec, s[28:29]
                                        ; implicit-def: $vgpr2
                                        ; implicit-def: $vgpr0_vgpr1
.LBB6_14336:                            ;   in Loop: Header=BB6_13186 Depth=3
	s_andn2_saveexec_b64 s[28:29], s[30:31]
	s_cbranch_execz .LBB6_14342
; %bb.14337:                            ;   in Loop: Header=BB6_13186 Depth=3
	v_cmp_ne_u64_e32 vcc, 0, v[0:1]
                                        ; implicit-def: $vgpr55
	s_and_saveexec_b64 s[62:63], vcc
	s_xor_b64 vcc, exec, s[62:63]
; %bb.14338:                            ;   in Loop: Header=BB6_13186 Depth=3
	v_or_b32_sdwa v55, v2, s44 dst_sel:DWORD dst_unused:UNUSED_PAD src0_sel:BYTE_3 src1_sel:DWORD
                                        ; implicit-def: $vgpr2
; %bb.14339:                            ;   in Loop: Header=BB6_13186 Depth=3
	s_andn2_saveexec_b64 s[30:31], vcc
; %bb.14340:                            ;   in Loop: Header=BB6_13186 Depth=3
	v_cmp_lt_i32_e32 vcc, -1, v2
	v_bfrev_b32_e32 v0, 0.5
	v_mov_b32_e32 v1, 0x7c
	v_cndmask_b32_e32 v55, v0, v1, vcc
; %bb.14341:                            ;   in Loop: Header=BB6_13186 Depth=3
	s_or_b64 exec, exec, s[30:31]
.LBB6_14342:                            ;   in Loop: Header=BB6_13186 Depth=3
	s_or_b64 exec, exec, s[28:29]
	v_lshrrev_b16_e32 v0, 8, v10
	v_cmp_ne_u16_e32 vcc, 0, v0
	v_mov_b32_e32 v1, 0
	s_and_saveexec_b64 s[28:29], vcc
	s_cbranch_execz .LBB6_14350
; %bb.14343:                            ;   in Loop: Header=BB6_13186 Depth=3
	v_cmp_ne_u16_e32 vcc, s97, v0
	v_bfrev_b32_e32 v1, 1
	s_and_saveexec_b64 s[30:31], vcc
	s_cbranch_execz .LBB6_14349
; %bb.14344:                            ;   in Loop: Header=BB6_13186 Depth=3
	v_and_b32_e32 v1, 0x7c, v0
	v_and_b32_e32 v2, 3, v0
	v_cmp_ne_u32_e32 vcc, s86, v1
                                        ; implicit-def: $vgpr1
	s_and_saveexec_b64 s[62:63], vcc
	s_xor_b64 s[34:35], exec, s[62:63]
	s_cbranch_execz .LBB6_14346
; %bb.14345:                            ;   in Loop: Header=BB6_13186 Depth=3
	v_ffbh_u32_e32 v8, v2
	v_min_u32_e32 v8, 32, v8
	v_mov_b32_e32 v1, v33
	v_subrev_u32_e32 v9, 29, v8
	v_bfe_u32 v3, v0, 2, 5
	v_lshlrev_b64 v[0:1], v9, v[0:1]
	v_cmp_eq_u32_e32 vcc, 0, v3
	v_and_b32_e32 v0, 3, v0
	v_sub_u32_e32 v1, 30, v8
	v_cndmask_b32_e32 v0, v2, v0, vcc
	v_lshlrev_b32_e32 v2, 16, v10
	v_cndmask_b32_e32 v1, v3, v1, vcc
	v_and_b32_e32 v2, 0x80000000, v2
	v_lshl_add_u32 v1, v1, 23, v2
	v_lshl_or_b32 v0, v0, 21, v1
	v_add_u32_e32 v1, 0x38000000, v0
                                        ; implicit-def: $vgpr2
.LBB6_14346:                            ;   in Loop: Header=BB6_13186 Depth=3
	s_andn2_saveexec_b64 s[34:35], s[34:35]
; %bb.14347:                            ;   in Loop: Header=BB6_13186 Depth=3
	v_cmp_lt_i16_e32 vcc, -1, v10
	v_mov_b32_e32 v0, 0xff800000
	v_mov_b32_e32 v1, 0x7f800000
	v_cndmask_b32_e32 v0, v0, v1, vcc
	v_cmp_eq_u32_e32 vcc, 0, v2
	v_mov_b32_e32 v1, 0x7f800001
	v_cndmask_b32_e32 v1, v1, v0, vcc
; %bb.14348:                            ;   in Loop: Header=BB6_13186 Depth=3
	s_or_b64 exec, exec, s[34:35]
.LBB6_14349:                            ;   in Loop: Header=BB6_13186 Depth=3
	s_or_b64 exec, exec, s[30:31]
.LBB6_14350:                            ;   in Loop: Header=BB6_13186 Depth=3
	s_or_b64 exec, exec, s[28:29]
	v_mul_f32_e32 v2, v12, v1
	v_and_b32_e32 v8, 0x7f800000, v2
	v_mov_b32_e32 v9, v33
	v_cmp_ne_u64_e32 vcc, s[76:77], v[8:9]
	v_and_b32_e32 v0, 0x7fffff, v2
	v_mov_b32_e32 v1, v33
                                        ; implicit-def: $vgpr3
                                        ; kill: killed $vgpr3
	s_and_saveexec_b64 s[28:29], vcc
	s_xor_b64 s[30:31], exec, s[28:29]
	s_cbranch_execz .LBB6_14364
; %bb.14351:                            ;   in Loop: Header=BB6_13186 Depth=3
	v_and_b32_e32 v8, 0x7fffffff, v2
	v_mov_b32_e32 v9, v33
	v_cmp_gt_u64_e32 vcc, s[78:79], v[8:9]
	v_and_b32_sdwa v3, v2, s97 dst_sel:DWORD dst_unused:UNUSED_PAD src0_sel:BYTE_3 src1_sel:DWORD
                                        ; implicit-def: $vgpr7
                                        ; kill: killed $vgpr7
	s_and_saveexec_b64 s[28:29], vcc
	s_xor_b64 s[34:35], exec, s[28:29]
	s_cbranch_execz .LBB6_14361
; %bb.14352:                            ;   in Loop: Header=BB6_13186 Depth=3
	v_mov_b32_e32 v7, 0
	v_cmp_ne_u32_e32 vcc, 0, v2
	buffer_store_dword v7, off, s[0:3], s33 offset:244 ; 4-byte Folded Spill
	s_and_saveexec_b64 s[36:37], vcc
	s_cbranch_execz .LBB6_14360
; %bb.14353:                            ;   in Loop: Header=BB6_13186 Depth=3
	v_bfe_u32 v8, v2, 23, 8
	v_cmp_gt_u32_e64 s[28:29], s47, v8
	v_sub_u32_e32 v2, 0x71, v8
	v_cmp_eq_u32_e32 vcc, 0, v8
	v_cndmask_b32_e64 v2, 0, v2, s[28:29]
	v_mov_b32_e32 v9, 0x70
	v_cndmask_b32_e32 v9, v2, v9, vcc
	v_or_b32_e32 v13, 0x800000, v0
	v_add_u32_e32 v2, 21, v9
	v_cndmask_b32_e32 v0, v13, v0, vcc
	v_lshlrev_b64 v[13:14], v2, -1
	v_add_u32_e32 v2, 20, v9
	v_bfi_b32 v13, v13, 0, v0
	v_lshlrev_b64 v[15:16], v2, 1
	v_lshrrev_b64 v[0:1], v9, v[0:1]
	v_bfi_b32 v14, v14, 0, 0
	v_cmp_eq_u64_e64 s[28:29], v[13:14], v[15:16]
	v_mov_b32_e32 v2, v1
	v_mov_b32_e32 v1, v0
	s_and_saveexec_b64 s[38:39], s[28:29]
; %bb.14354:                            ;   in Loop: Header=BB6_13186 Depth=3
	v_bfe_u32 v1, v0, 21, 1
	v_add_co_u32_e64 v1, s[28:29], v0, v1
	v_add_co_u32_e64 v1, s[28:29], -1, v1
; %bb.14355:                            ;   in Loop: Header=BB6_13186 Depth=3
	s_or_b64 exec, exec, s[38:39]
	v_add_u32_e32 v2, 0xffffff81, v8
	v_mov_b32_e32 v8, 0xffffff82
	v_cndmask_b32_e32 v2, v2, v8, vcc
	v_lshrrev_b32_e32 v8, 23, v0
	v_add3_u32 v9, v9, v2, v8
	v_add_u32_e32 v8, 14, v9
	v_and_b32_e32 v1, 0x1fffff, v1
	v_add_u32_e32 v0, v1, v0
	v_mov_b32_e32 v1, v33
	v_cmp_ne_u32_e32 vcc, 0, v8
                                        ; implicit-def: $vgpr2
	s_and_saveexec_b64 s[28:29], vcc
	s_xor_b64 s[28:29], exec, s[28:29]
; %bb.14356:                            ;   in Loop: Header=BB6_13186 Depth=3
	v_cmp_lt_u64_e32 vcc, s[88:89], v[0:1]
	v_add_u32_e32 v2, 15, v9
	v_cndmask_b32_e32 v2, v8, v2, vcc
	v_cndmask_b32_e64 v8, 0, 1, vcc
	v_lshrrev_b64 v[0:1], v8, v[0:1]
; %bb.14357:                            ;   in Loop: Header=BB6_13186 Depth=3
	s_andn2_saveexec_b64 s[28:29], s[28:29]
; %bb.14358:                            ;   in Loop: Header=BB6_13186 Depth=3
	v_bfe_u32 v2, v0, 23, 1
; %bb.14359:                            ;   in Loop: Header=BB6_13186 Depth=3
	s_or_b64 exec, exec, s[28:29]
	v_lshrrev_b64 v[0:1], 21, v[0:1]
	v_cmp_gt_i32_e32 vcc, 32, v2
	v_cndmask_b32_e32 v1, 0, v1, vcc
	v_cndmask_b32_e32 v0, 3, v0, vcc
	v_cmp_eq_u64_e64 s[28:29], 0, v[0:1]
	v_min_i32_e32 v1, 31, v2
	v_lshlrev_b32_e32 v1, 2, v1
	v_cmp_eq_u32_e32 vcc, 0, v2
	v_and_b32_e32 v1, 0xfc, v1
	v_and_or_b32 v0, v0, 3, v1
	s_and_b64 s[28:29], vcc, s[28:29]
	v_cndmask_b32_e64 v0, v0, 0, s[28:29]
	v_or_b32_e32 v0, v0, v3
	buffer_store_dword v0, off, s[0:3], s33 offset:244 ; 4-byte Folded Spill
.LBB6_14360:                            ;   in Loop: Header=BB6_13186 Depth=3
	s_or_b64 exec, exec, s[36:37]
                                        ; implicit-def: $vgpr3
.LBB6_14361:                            ;   in Loop: Header=BB6_13186 Depth=3
	s_andn2_saveexec_b64 s[28:29], s[34:35]
	s_cbranch_execz .LBB6_14363
; %bb.14362:                            ;   in Loop: Header=BB6_13186 Depth=3
	v_or_b32_e32 v0, 0x7b, v3
	buffer_store_dword v0, off, s[0:3], s33 offset:244 ; 4-byte Folded Spill
.LBB6_14363:                            ;   in Loop: Header=BB6_13186 Depth=3
	s_or_b64 exec, exec, s[28:29]
                                        ; implicit-def: $vgpr2
                                        ; implicit-def: $vgpr0_vgpr1
.LBB6_14364:                            ;   in Loop: Header=BB6_13186 Depth=3
	s_andn2_saveexec_b64 s[28:29], s[30:31]
	s_cbranch_execz .LBB6_14370
; %bb.14365:                            ;   in Loop: Header=BB6_13186 Depth=3
	v_cmp_ne_u64_e32 vcc, 0, v[0:1]
                                        ; implicit-def: $vgpr0
                                        ; kill: killed $vgpr0
	s_and_saveexec_b64 s[62:63], vcc
	s_xor_b64 vcc, exec, s[62:63]
	s_cbranch_execz .LBB6_14367
; %bb.14366:                            ;   in Loop: Header=BB6_13186 Depth=3
	v_or_b32_sdwa v0, v2, s44 dst_sel:DWORD dst_unused:UNUSED_PAD src0_sel:BYTE_3 src1_sel:DWORD
	buffer_store_dword v0, off, s[0:3], s33 offset:244 ; 4-byte Folded Spill
                                        ; implicit-def: $vgpr2
.LBB6_14367:                            ;   in Loop: Header=BB6_13186 Depth=3
	s_andn2_saveexec_b64 s[30:31], vcc
	s_cbranch_execz .LBB6_14369
; %bb.14368:                            ;   in Loop: Header=BB6_13186 Depth=3
	v_cmp_lt_i32_e32 vcc, -1, v2
	v_bfrev_b32_e32 v0, 0.5
	v_mov_b32_e32 v1, 0x7c
	v_cndmask_b32_e32 v0, v0, v1, vcc
	buffer_store_dword v0, off, s[0:3], s33 offset:244 ; 4-byte Folded Spill
.LBB6_14369:                            ;   in Loop: Header=BB6_13186 Depth=3
	s_or_b64 exec, exec, s[30:31]
.LBB6_14370:                            ;   in Loop: Header=BB6_13186 Depth=3
	s_or_b64 exec, exec, s[28:29]
	v_lshrrev_b32_e32 v0, 16, v10
	v_cmp_ne_u16_sdwa s[62:63], v0, v33 src0_sel:BYTE_0 src1_sel:DWORD
	v_mov_b32_e32 v1, 0
	s_and_saveexec_b64 s[28:29], s[62:63]
	s_cbranch_execz .LBB6_14378
; %bb.14371:                            ;   in Loop: Header=BB6_13186 Depth=3
	v_cmp_ne_u16_sdwa s[62:63], v0, s97 src0_sel:BYTE_0 src1_sel:DWORD
	v_bfrev_b32_e32 v1, 1
	s_and_saveexec_b64 s[30:31], s[62:63]
	s_cbranch_execz .LBB6_14377
; %bb.14372:                            ;   in Loop: Header=BB6_13186 Depth=3
	v_and_b32_e32 v1, 0x7c0000, v10
	v_bfe_u32 v2, v10, 16, 2
	v_cmp_ne_u32_e32 vcc, s45, v1
                                        ; implicit-def: $vgpr1
	s_and_saveexec_b64 s[62:63], vcc
	s_xor_b64 s[34:35], exec, s[62:63]
	s_cbranch_execz .LBB6_14374
; %bb.14373:                            ;   in Loop: Header=BB6_13186 Depth=3
	v_ffbh_u32_e32 v1, v2
	v_min_u32_e32 v8, 32, v1
	v_subrev_u32_e32 v1, 29, v8
	v_lshlrev_b64 v[0:1], v1, v[0:1]
	v_bfe_u32 v3, v10, 18, 5
	v_and_b32_e32 v0, 3, v0
	v_cmp_eq_u32_e32 vcc, 0, v3
	v_sub_u32_e32 v1, 30, v8
	v_cndmask_b32_e32 v0, v2, v0, vcc
	v_lshlrev_b32_e32 v2, 8, v10
	v_cndmask_b32_e32 v1, v3, v1, vcc
	v_and_b32_e32 v2, 0x80000000, v2
	v_lshl_add_u32 v1, v1, 23, v2
	v_lshl_or_b32 v0, v0, 21, v1
	v_add_u32_e32 v1, 0x38000000, v0
                                        ; implicit-def: $vgpr2
                                        ; implicit-def: $vgpr0
.LBB6_14374:                            ;   in Loop: Header=BB6_13186 Depth=3
	s_andn2_saveexec_b64 s[34:35], s[34:35]
; %bb.14375:                            ;   in Loop: Header=BB6_13186 Depth=3
	v_mov_b32_e32 v1, -1
	v_cmp_gt_i16_sdwa vcc, sext(v0), v1 src0_sel:BYTE_0 src1_sel:DWORD
	v_mov_b32_e32 v0, 0xff800000
	v_mov_b32_e32 v1, 0x7f800000
	v_cndmask_b32_e32 v0, v0, v1, vcc
	v_cmp_eq_u32_e32 vcc, 0, v2
	v_mov_b32_e32 v1, 0x7f800001
	v_cndmask_b32_e32 v1, v1, v0, vcc
; %bb.14376:                            ;   in Loop: Header=BB6_13186 Depth=3
	s_or_b64 exec, exec, s[34:35]
.LBB6_14377:                            ;   in Loop: Header=BB6_13186 Depth=3
	s_or_b64 exec, exec, s[30:31]
.LBB6_14378:                            ;   in Loop: Header=BB6_13186 Depth=3
	s_or_b64 exec, exec, s[28:29]
	v_mul_f32_e32 v2, v12, v1
	v_and_b32_e32 v8, 0x7f800000, v2
	v_mov_b32_e32 v9, v33
	v_cmp_ne_u64_e32 vcc, s[76:77], v[8:9]
	v_and_b32_e32 v0, 0x7fffff, v2
	v_mov_b32_e32 v1, v33
                                        ; implicit-def: $vgpr3
                                        ; kill: killed $vgpr3
	s_and_saveexec_b64 s[28:29], vcc
	s_xor_b64 s[30:31], exec, s[28:29]
	s_cbranch_execz .LBB6_14392
; %bb.14379:                            ;   in Loop: Header=BB6_13186 Depth=3
	v_and_b32_e32 v8, 0x7fffffff, v2
	v_mov_b32_e32 v9, v33
	v_cmp_gt_u64_e32 vcc, s[78:79], v[8:9]
	v_and_b32_sdwa v3, v2, s97 dst_sel:DWORD dst_unused:UNUSED_PAD src0_sel:BYTE_3 src1_sel:DWORD
                                        ; implicit-def: $vgpr7
                                        ; kill: killed $vgpr7
	s_and_saveexec_b64 s[28:29], vcc
	s_xor_b64 s[34:35], exec, s[28:29]
	s_cbranch_execz .LBB6_14389
; %bb.14380:                            ;   in Loop: Header=BB6_13186 Depth=3
	v_mov_b32_e32 v7, 0
	v_cmp_ne_u32_e32 vcc, 0, v2
	buffer_store_dword v7, off, s[0:3], s33 offset:260 ; 4-byte Folded Spill
	s_and_saveexec_b64 s[36:37], vcc
	s_cbranch_execz .LBB6_14388
; %bb.14381:                            ;   in Loop: Header=BB6_13186 Depth=3
	v_bfe_u32 v8, v2, 23, 8
	v_cmp_gt_u32_e64 s[28:29], s47, v8
	v_sub_u32_e32 v2, 0x71, v8
	v_cmp_eq_u32_e32 vcc, 0, v8
	v_cndmask_b32_e64 v2, 0, v2, s[28:29]
	v_mov_b32_e32 v9, 0x70
	v_cndmask_b32_e32 v9, v2, v9, vcc
	v_or_b32_e32 v13, 0x800000, v0
	v_add_u32_e32 v2, 21, v9
	v_cndmask_b32_e32 v0, v13, v0, vcc
	v_lshlrev_b64 v[13:14], v2, -1
	v_add_u32_e32 v2, 20, v9
	v_bfi_b32 v13, v13, 0, v0
	v_lshlrev_b64 v[15:16], v2, 1
	v_lshrrev_b64 v[0:1], v9, v[0:1]
	v_bfi_b32 v14, v14, 0, 0
	v_cmp_eq_u64_e64 s[28:29], v[13:14], v[15:16]
	v_mov_b32_e32 v2, v1
	v_mov_b32_e32 v1, v0
	s_and_saveexec_b64 s[38:39], s[28:29]
; %bb.14382:                            ;   in Loop: Header=BB6_13186 Depth=3
	v_bfe_u32 v1, v0, 21, 1
	v_add_co_u32_e64 v1, s[28:29], v0, v1
	v_add_co_u32_e64 v1, s[28:29], -1, v1
; %bb.14383:                            ;   in Loop: Header=BB6_13186 Depth=3
	s_or_b64 exec, exec, s[38:39]
	v_add_u32_e32 v2, 0xffffff81, v8
	v_mov_b32_e32 v8, 0xffffff82
	v_cndmask_b32_e32 v2, v2, v8, vcc
	v_lshrrev_b32_e32 v8, 23, v0
	v_add3_u32 v9, v9, v2, v8
	v_add_u32_e32 v8, 14, v9
	v_and_b32_e32 v1, 0x1fffff, v1
	v_add_u32_e32 v0, v1, v0
	v_mov_b32_e32 v1, v33
	v_cmp_ne_u32_e32 vcc, 0, v8
                                        ; implicit-def: $vgpr2
	s_and_saveexec_b64 s[28:29], vcc
	s_xor_b64 s[28:29], exec, s[28:29]
; %bb.14384:                            ;   in Loop: Header=BB6_13186 Depth=3
	v_cmp_lt_u64_e32 vcc, s[88:89], v[0:1]
	v_add_u32_e32 v2, 15, v9
	v_cndmask_b32_e32 v2, v8, v2, vcc
	v_cndmask_b32_e64 v8, 0, 1, vcc
	v_lshrrev_b64 v[0:1], v8, v[0:1]
; %bb.14385:                            ;   in Loop: Header=BB6_13186 Depth=3
	s_andn2_saveexec_b64 s[28:29], s[28:29]
; %bb.14386:                            ;   in Loop: Header=BB6_13186 Depth=3
	v_bfe_u32 v2, v0, 23, 1
; %bb.14387:                            ;   in Loop: Header=BB6_13186 Depth=3
	s_or_b64 exec, exec, s[28:29]
	v_lshrrev_b64 v[0:1], 21, v[0:1]
	v_cmp_gt_i32_e32 vcc, 32, v2
	v_cndmask_b32_e32 v1, 0, v1, vcc
	v_cndmask_b32_e32 v0, 3, v0, vcc
	v_cmp_eq_u64_e64 s[28:29], 0, v[0:1]
	v_min_i32_e32 v1, 31, v2
	v_lshlrev_b32_e32 v1, 2, v1
	v_cmp_eq_u32_e32 vcc, 0, v2
	v_and_b32_e32 v1, 0xfc, v1
	v_and_or_b32 v0, v0, 3, v1
	s_and_b64 s[28:29], vcc, s[28:29]
	v_cndmask_b32_e64 v0, v0, 0, s[28:29]
	v_or_b32_e32 v0, v0, v3
	buffer_store_dword v0, off, s[0:3], s33 offset:260 ; 4-byte Folded Spill
.LBB6_14388:                            ;   in Loop: Header=BB6_13186 Depth=3
	s_or_b64 exec, exec, s[36:37]
                                        ; implicit-def: $vgpr3
.LBB6_14389:                            ;   in Loop: Header=BB6_13186 Depth=3
	s_andn2_saveexec_b64 s[28:29], s[34:35]
	s_cbranch_execz .LBB6_14391
; %bb.14390:                            ;   in Loop: Header=BB6_13186 Depth=3
	v_or_b32_e32 v0, 0x7b, v3
	buffer_store_dword v0, off, s[0:3], s33 offset:260 ; 4-byte Folded Spill
.LBB6_14391:                            ;   in Loop: Header=BB6_13186 Depth=3
	s_or_b64 exec, exec, s[28:29]
                                        ; implicit-def: $vgpr2
                                        ; implicit-def: $vgpr0_vgpr1
.LBB6_14392:                            ;   in Loop: Header=BB6_13186 Depth=3
	s_andn2_saveexec_b64 s[28:29], s[30:31]
	s_cbranch_execz .LBB6_14398
; %bb.14393:                            ;   in Loop: Header=BB6_13186 Depth=3
	v_cmp_ne_u64_e32 vcc, 0, v[0:1]
                                        ; implicit-def: $vgpr0
                                        ; kill: killed $vgpr0
	s_and_saveexec_b64 s[62:63], vcc
	s_xor_b64 vcc, exec, s[62:63]
	s_cbranch_execz .LBB6_14395
; %bb.14394:                            ;   in Loop: Header=BB6_13186 Depth=3
	v_or_b32_sdwa v0, v2, s44 dst_sel:DWORD dst_unused:UNUSED_PAD src0_sel:BYTE_3 src1_sel:DWORD
	buffer_store_dword v0, off, s[0:3], s33 offset:260 ; 4-byte Folded Spill
                                        ; implicit-def: $vgpr2
.LBB6_14395:                            ;   in Loop: Header=BB6_13186 Depth=3
	s_andn2_saveexec_b64 s[30:31], vcc
	s_cbranch_execz .LBB6_14397
; %bb.14396:                            ;   in Loop: Header=BB6_13186 Depth=3
	v_cmp_lt_i32_e32 vcc, -1, v2
	v_bfrev_b32_e32 v0, 0.5
	v_mov_b32_e32 v1, 0x7c
	v_cndmask_b32_e32 v0, v0, v1, vcc
	buffer_store_dword v0, off, s[0:3], s33 offset:260 ; 4-byte Folded Spill
.LBB6_14397:                            ;   in Loop: Header=BB6_13186 Depth=3
	s_or_b64 exec, exec, s[30:31]
.LBB6_14398:                            ;   in Loop: Header=BB6_13186 Depth=3
	s_or_b64 exec, exec, s[28:29]
	v_cmp_lt_u32_e32 vcc, s57, v10
	v_mov_b32_e32 v1, 0
	s_and_saveexec_b64 s[28:29], vcc
	s_cbranch_execz .LBB6_14406
; %bb.14399:                            ;   in Loop: Header=BB6_13186 Depth=3
	v_lshrrev_b32_e32 v0, 24, v10
	v_cmp_ne_u32_e32 vcc, s97, v0
	v_bfrev_b32_e32 v1, 1
	s_and_saveexec_b64 s[30:31], vcc
	s_cbranch_execz .LBB6_14405
; %bb.14400:                            ;   in Loop: Header=BB6_13186 Depth=3
	v_and_b32_e32 v1, 0x7c000000, v10
	v_bfe_u32 v2, v10, 24, 2
	v_cmp_ne_u32_e32 vcc, s68, v1
                                        ; implicit-def: $vgpr1
	s_and_saveexec_b64 s[62:63], vcc
	s_xor_b64 s[34:35], exec, s[62:63]
	s_cbranch_execz .LBB6_14402
; %bb.14401:                            ;   in Loop: Header=BB6_13186 Depth=3
	v_ffbh_u32_e32 v1, v2
	v_min_u32_e32 v8, 32, v1
	v_subrev_u32_e32 v1, 29, v8
	v_lshlrev_b64 v[0:1], v1, v[0:1]
	v_bfe_u32 v3, v10, 26, 5
	v_sub_u32_e32 v1, 30, v8
	v_and_b32_e32 v0, 3, v0
	v_cmp_eq_u32_e32 vcc, 0, v3
	v_cndmask_b32_e32 v1, v3, v1, vcc
	v_cndmask_b32_e32 v0, v2, v0, vcc
	v_and_b32_e32 v2, 0x80000000, v10
	v_lshl_add_u32 v1, v1, 23, v2
	v_lshl_or_b32 v0, v0, 21, v1
	v_add_u32_e32 v1, 0x38000000, v0
                                        ; implicit-def: $vgpr2
.LBB6_14402:                            ;   in Loop: Header=BB6_13186 Depth=3
	s_andn2_saveexec_b64 s[34:35], s[34:35]
; %bb.14403:                            ;   in Loop: Header=BB6_13186 Depth=3
	v_cmp_lt_i32_e32 vcc, -1, v10
	v_mov_b32_e32 v0, 0xff800000
	v_mov_b32_e32 v1, 0x7f800000
	v_cndmask_b32_e32 v0, v0, v1, vcc
	v_cmp_eq_u32_e32 vcc, 0, v2
	v_mov_b32_e32 v1, 0x7f800001
	v_cndmask_b32_e32 v1, v1, v0, vcc
; %bb.14404:                            ;   in Loop: Header=BB6_13186 Depth=3
	s_or_b64 exec, exec, s[34:35]
.LBB6_14405:                            ;   in Loop: Header=BB6_13186 Depth=3
	s_or_b64 exec, exec, s[30:31]
.LBB6_14406:                            ;   in Loop: Header=BB6_13186 Depth=3
	s_or_b64 exec, exec, s[28:29]
	v_mul_f32_e32 v2, v12, v1
	v_and_b32_e32 v8, 0x7f800000, v2
	v_mov_b32_e32 v9, v33
	v_cmp_ne_u64_e32 vcc, s[76:77], v[8:9]
	v_and_b32_e32 v0, 0x7fffff, v2
	v_mov_b32_e32 v1, v33
                                        ; implicit-def: $vgpr3
                                        ; kill: killed $vgpr3
	s_and_saveexec_b64 s[28:29], vcc
	s_xor_b64 s[30:31], exec, s[28:29]
	s_cbranch_execz .LBB6_14420
; %bb.14407:                            ;   in Loop: Header=BB6_13186 Depth=3
	v_and_b32_e32 v8, 0x7fffffff, v2
	v_mov_b32_e32 v9, v33
	v_cmp_gt_u64_e32 vcc, s[78:79], v[8:9]
	v_and_b32_sdwa v3, v2, s97 dst_sel:DWORD dst_unused:UNUSED_PAD src0_sel:BYTE_3 src1_sel:DWORD
                                        ; implicit-def: $vgpr7
                                        ; kill: killed $vgpr7
	s_and_saveexec_b64 s[28:29], vcc
	s_xor_b64 s[34:35], exec, s[28:29]
	s_cbranch_execz .LBB6_14417
; %bb.14408:                            ;   in Loop: Header=BB6_13186 Depth=3
	v_mov_b32_e32 v7, 0
	v_cmp_ne_u32_e32 vcc, 0, v2
	buffer_store_dword v7, off, s[0:3], s33 offset:296 ; 4-byte Folded Spill
	s_and_saveexec_b64 s[36:37], vcc
	s_cbranch_execz .LBB6_14416
; %bb.14409:                            ;   in Loop: Header=BB6_13186 Depth=3
	v_bfe_u32 v8, v2, 23, 8
	v_cmp_gt_u32_e64 s[28:29], s47, v8
	v_sub_u32_e32 v2, 0x71, v8
	v_cmp_eq_u32_e32 vcc, 0, v8
	v_cndmask_b32_e64 v2, 0, v2, s[28:29]
	v_mov_b32_e32 v9, 0x70
	v_cndmask_b32_e32 v9, v2, v9, vcc
	v_or_b32_e32 v13, 0x800000, v0
	v_add_u32_e32 v2, 21, v9
	v_cndmask_b32_e32 v0, v13, v0, vcc
	v_lshlrev_b64 v[13:14], v2, -1
	v_add_u32_e32 v2, 20, v9
	v_bfi_b32 v13, v13, 0, v0
	v_lshlrev_b64 v[15:16], v2, 1
	v_lshrrev_b64 v[0:1], v9, v[0:1]
	v_bfi_b32 v14, v14, 0, 0
	v_cmp_eq_u64_e64 s[28:29], v[13:14], v[15:16]
	v_mov_b32_e32 v2, v1
	v_mov_b32_e32 v1, v0
	s_and_saveexec_b64 s[38:39], s[28:29]
; %bb.14410:                            ;   in Loop: Header=BB6_13186 Depth=3
	v_bfe_u32 v1, v0, 21, 1
	v_add_co_u32_e64 v1, s[28:29], v0, v1
	v_add_co_u32_e64 v1, s[28:29], -1, v1
; %bb.14411:                            ;   in Loop: Header=BB6_13186 Depth=3
	s_or_b64 exec, exec, s[38:39]
	v_add_u32_e32 v2, 0xffffff81, v8
	v_mov_b32_e32 v8, 0xffffff82
	v_cndmask_b32_e32 v2, v2, v8, vcc
	v_lshrrev_b32_e32 v8, 23, v0
	v_add3_u32 v9, v9, v2, v8
	v_add_u32_e32 v8, 14, v9
	v_and_b32_e32 v1, 0x1fffff, v1
	v_add_u32_e32 v0, v1, v0
	v_mov_b32_e32 v1, v33
	v_cmp_ne_u32_e32 vcc, 0, v8
                                        ; implicit-def: $vgpr2
	s_and_saveexec_b64 s[28:29], vcc
	s_xor_b64 s[28:29], exec, s[28:29]
; %bb.14412:                            ;   in Loop: Header=BB6_13186 Depth=3
	v_cmp_lt_u64_e32 vcc, s[88:89], v[0:1]
	v_add_u32_e32 v2, 15, v9
	v_cndmask_b32_e32 v2, v8, v2, vcc
	v_cndmask_b32_e64 v8, 0, 1, vcc
	v_lshrrev_b64 v[0:1], v8, v[0:1]
; %bb.14413:                            ;   in Loop: Header=BB6_13186 Depth=3
	s_andn2_saveexec_b64 s[28:29], s[28:29]
; %bb.14414:                            ;   in Loop: Header=BB6_13186 Depth=3
	v_bfe_u32 v2, v0, 23, 1
; %bb.14415:                            ;   in Loop: Header=BB6_13186 Depth=3
	s_or_b64 exec, exec, s[28:29]
	v_lshrrev_b64 v[0:1], 21, v[0:1]
	v_cmp_gt_i32_e32 vcc, 32, v2
	v_cndmask_b32_e32 v1, 0, v1, vcc
	v_cndmask_b32_e32 v0, 3, v0, vcc
	v_cmp_eq_u64_e64 s[28:29], 0, v[0:1]
	v_min_i32_e32 v1, 31, v2
	v_lshlrev_b32_e32 v1, 2, v1
	v_cmp_eq_u32_e32 vcc, 0, v2
	v_and_b32_e32 v1, 0xfc, v1
	v_and_or_b32 v0, v0, 3, v1
	s_and_b64 s[28:29], vcc, s[28:29]
	v_cndmask_b32_e64 v0, v0, 0, s[28:29]
	v_or_b32_e32 v0, v0, v3
	buffer_store_dword v0, off, s[0:3], s33 offset:296 ; 4-byte Folded Spill
.LBB6_14416:                            ;   in Loop: Header=BB6_13186 Depth=3
	s_or_b64 exec, exec, s[36:37]
                                        ; implicit-def: $vgpr3
.LBB6_14417:                            ;   in Loop: Header=BB6_13186 Depth=3
	s_andn2_saveexec_b64 s[28:29], s[34:35]
	s_cbranch_execz .LBB6_14419
; %bb.14418:                            ;   in Loop: Header=BB6_13186 Depth=3
	v_or_b32_e32 v0, 0x7b, v3
	buffer_store_dword v0, off, s[0:3], s33 offset:296 ; 4-byte Folded Spill
.LBB6_14419:                            ;   in Loop: Header=BB6_13186 Depth=3
	s_or_b64 exec, exec, s[28:29]
                                        ; implicit-def: $vgpr2
                                        ; implicit-def: $vgpr0_vgpr1
.LBB6_14420:                            ;   in Loop: Header=BB6_13186 Depth=3
	s_andn2_saveexec_b64 s[28:29], s[30:31]
	s_cbranch_execz .LBB6_14426
; %bb.14421:                            ;   in Loop: Header=BB6_13186 Depth=3
	v_cmp_ne_u64_e32 vcc, 0, v[0:1]
                                        ; implicit-def: $vgpr0
                                        ; kill: killed $vgpr0
	s_and_saveexec_b64 s[62:63], vcc
	s_xor_b64 vcc, exec, s[62:63]
	s_cbranch_execz .LBB6_14423
; %bb.14422:                            ;   in Loop: Header=BB6_13186 Depth=3
	v_or_b32_sdwa v0, v2, s44 dst_sel:DWORD dst_unused:UNUSED_PAD src0_sel:BYTE_3 src1_sel:DWORD
	buffer_store_dword v0, off, s[0:3], s33 offset:296 ; 4-byte Folded Spill
                                        ; implicit-def: $vgpr2
.LBB6_14423:                            ;   in Loop: Header=BB6_13186 Depth=3
	s_andn2_saveexec_b64 s[30:31], vcc
	s_cbranch_execz .LBB6_14425
; %bb.14424:                            ;   in Loop: Header=BB6_13186 Depth=3
	v_cmp_lt_i32_e32 vcc, -1, v2
	v_bfrev_b32_e32 v0, 0.5
	v_mov_b32_e32 v1, 0x7c
	v_cndmask_b32_e32 v0, v0, v1, vcc
	buffer_store_dword v0, off, s[0:3], s33 offset:296 ; 4-byte Folded Spill
.LBB6_14425:                            ;   in Loop: Header=BB6_13186 Depth=3
	s_or_b64 exec, exec, s[30:31]
.LBB6_14426:                            ;   in Loop: Header=BB6_13186 Depth=3
	s_or_b64 exec, exec, s[28:29]
	v_mov_b32_e32 v0, v11
	v_mov_b32_e32 v1, v33
	v_cmp_ne_u16_sdwa s[62:63], v11, v33 src0_sel:BYTE_0 src1_sel:DWORD
	v_mov_b32_e32 v2, 0
	s_and_saveexec_b64 s[28:29], s[62:63]
	s_cbranch_execz .LBB6_14434
; %bb.14427:                            ;   in Loop: Header=BB6_13186 Depth=3
	v_cmp_ne_u16_sdwa s[62:63], v11, s97 src0_sel:BYTE_0 src1_sel:DWORD
	v_bfrev_b32_e32 v2, 1
	s_and_saveexec_b64 s[30:31], s[62:63]
	s_cbranch_execz .LBB6_14433
; %bb.14428:                            ;   in Loop: Header=BB6_13186 Depth=3
	v_and_b32_e32 v2, 0x7c, v11
	v_and_b32_e32 v3, 3, v11
	v_cmp_ne_u32_e32 vcc, s86, v2
                                        ; implicit-def: $vgpr2
	s_and_saveexec_b64 s[62:63], vcc
	s_xor_b64 s[34:35], exec, s[62:63]
	s_cbranch_execz .LBB6_14430
; %bb.14429:                            ;   in Loop: Header=BB6_13186 Depth=3
	v_ffbh_u32_e32 v2, v3
	v_min_u32_e32 v9, 32, v2
	v_subrev_u32_e32 v2, 29, v9
	v_lshlrev_b64 v[1:2], v2, v[0:1]
	v_bfe_u32 v8, v11, 2, 5
	v_and_b32_e32 v1, 3, v1
	v_cmp_eq_u32_e32 vcc, 0, v8
	v_sub_u32_e32 v2, 30, v9
	v_cndmask_b32_e32 v1, v3, v1, vcc
	v_lshlrev_b32_e32 v3, 24, v11
	v_cndmask_b32_e32 v2, v8, v2, vcc
	v_and_b32_e32 v3, 0x80000000, v3
	v_lshl_add_u32 v2, v2, 23, v3
	v_lshl_or_b32 v1, v1, 21, v2
	v_add_u32_e32 v2, 0x38000000, v1
                                        ; implicit-def: $vgpr3
.LBB6_14430:                            ;   in Loop: Header=BB6_13186 Depth=3
	s_andn2_saveexec_b64 s[34:35], s[34:35]
; %bb.14431:                            ;   in Loop: Header=BB6_13186 Depth=3
	v_mov_b32_e32 v1, -1
	v_cmp_gt_i16_sdwa vcc, sext(v11), v1 src0_sel:BYTE_0 src1_sel:DWORD
	v_mov_b32_e32 v1, 0xff800000
	v_mov_b32_e32 v2, 0x7f800000
	v_cndmask_b32_e32 v1, v1, v2, vcc
	v_cmp_eq_u32_e32 vcc, 0, v3
	v_mov_b32_e32 v2, 0x7f800001
	v_cndmask_b32_e32 v2, v2, v1, vcc
; %bb.14432:                            ;   in Loop: Header=BB6_13186 Depth=3
	s_or_b64 exec, exec, s[34:35]
.LBB6_14433:                            ;   in Loop: Header=BB6_13186 Depth=3
	s_or_b64 exec, exec, s[30:31]
.LBB6_14434:                            ;   in Loop: Header=BB6_13186 Depth=3
	s_or_b64 exec, exec, s[28:29]
	v_mul_f32_e32 v3, v12, v2
	v_and_b32_e32 v8, 0x7f800000, v3
	v_mov_b32_e32 v9, v33
	v_cmp_ne_u64_e32 vcc, s[76:77], v[8:9]
	v_and_b32_e32 v1, 0x7fffff, v3
	v_mov_b32_e32 v2, v33
                                        ; implicit-def: $vgpr50
	s_and_saveexec_b64 s[28:29], vcc
	s_xor_b64 s[30:31], exec, s[28:29]
	s_cbranch_execz .LBB6_14448
; %bb.14435:                            ;   in Loop: Header=BB6_13186 Depth=3
	v_and_b32_e32 v8, 0x7fffffff, v3
	v_mov_b32_e32 v9, v33
	v_cmp_gt_u64_e32 vcc, s[78:79], v[8:9]
	v_and_b32_sdwa v8, v3, s97 dst_sel:DWORD dst_unused:UNUSED_PAD src0_sel:BYTE_3 src1_sel:DWORD
                                        ; implicit-def: $vgpr50
	s_and_saveexec_b64 s[28:29], vcc
	s_xor_b64 s[34:35], exec, s[28:29]
	s_cbranch_execz .LBB6_14445
; %bb.14436:                            ;   in Loop: Header=BB6_13186 Depth=3
	v_mov_b32_e32 v50, 0
	v_cmp_ne_u32_e32 vcc, 0, v3
	s_and_saveexec_b64 s[36:37], vcc
	s_cbranch_execz .LBB6_14444
; %bb.14437:                            ;   in Loop: Header=BB6_13186 Depth=3
	v_bfe_u32 v9, v3, 23, 8
	v_cmp_gt_u32_e64 s[28:29], s47, v9
	v_sub_u32_e32 v3, 0x71, v9
	v_cmp_eq_u32_e32 vcc, 0, v9
	v_cndmask_b32_e64 v3, 0, v3, s[28:29]
	v_mov_b32_e32 v13, 0x70
	v_cndmask_b32_e32 v13, v3, v13, vcc
	v_or_b32_e32 v14, 0x800000, v1
	v_add_u32_e32 v3, 21, v13
	v_cndmask_b32_e32 v1, v14, v1, vcc
	v_lshlrev_b64 v[14:15], v3, -1
	v_add_u32_e32 v3, 20, v13
	v_bfi_b32 v14, v14, 0, v1
	v_lshlrev_b64 v[16:17], v3, 1
	v_lshrrev_b64 v[1:2], v13, v[1:2]
	v_bfi_b32 v15, v15, 0, 0
	v_cmp_eq_u64_e64 s[28:29], v[14:15], v[16:17]
	v_mov_b32_e32 v3, v2
	v_mov_b32_e32 v2, v1
	s_and_saveexec_b64 s[38:39], s[28:29]
; %bb.14438:                            ;   in Loop: Header=BB6_13186 Depth=3
	v_bfe_u32 v2, v1, 21, 1
	v_add_co_u32_e64 v2, s[28:29], v1, v2
	v_add_co_u32_e64 v2, s[28:29], -1, v2
; %bb.14439:                            ;   in Loop: Header=BB6_13186 Depth=3
	s_or_b64 exec, exec, s[38:39]
	v_add_u32_e32 v3, 0xffffff81, v9
	v_mov_b32_e32 v9, 0xffffff82
	v_cndmask_b32_e32 v3, v3, v9, vcc
	v_lshrrev_b32_e32 v9, 23, v1
	v_add3_u32 v13, v13, v3, v9
	v_add_u32_e32 v9, 14, v13
	v_and_b32_e32 v2, 0x1fffff, v2
	v_add_u32_e32 v1, v2, v1
	v_mov_b32_e32 v2, v33
	v_cmp_ne_u32_e32 vcc, 0, v9
                                        ; implicit-def: $vgpr3
	s_and_saveexec_b64 s[28:29], vcc
	s_xor_b64 s[28:29], exec, s[28:29]
; %bb.14440:                            ;   in Loop: Header=BB6_13186 Depth=3
	v_cmp_lt_u64_e32 vcc, s[88:89], v[1:2]
	v_add_u32_e32 v3, 15, v13
	v_cndmask_b32_e32 v3, v9, v3, vcc
	v_cndmask_b32_e64 v9, 0, 1, vcc
	v_lshrrev_b64 v[1:2], v9, v[1:2]
; %bb.14441:                            ;   in Loop: Header=BB6_13186 Depth=3
	s_andn2_saveexec_b64 s[28:29], s[28:29]
; %bb.14442:                            ;   in Loop: Header=BB6_13186 Depth=3
	v_bfe_u32 v3, v1, 23, 1
; %bb.14443:                            ;   in Loop: Header=BB6_13186 Depth=3
	s_or_b64 exec, exec, s[28:29]
	v_lshrrev_b64 v[1:2], 21, v[1:2]
	v_cmp_gt_i32_e32 vcc, 32, v3
	v_cndmask_b32_e32 v2, 0, v2, vcc
	v_cndmask_b32_e32 v1, 3, v1, vcc
	v_cmp_eq_u64_e64 s[28:29], 0, v[1:2]
	v_min_i32_e32 v2, 31, v3
	v_lshlrev_b32_e32 v2, 2, v2
	v_cmp_eq_u32_e32 vcc, 0, v3
	v_and_b32_e32 v2, 0xfc, v2
	v_and_or_b32 v1, v1, 3, v2
	s_and_b64 s[28:29], vcc, s[28:29]
	v_cndmask_b32_e64 v1, v1, 0, s[28:29]
	v_or_b32_e32 v50, v1, v8
.LBB6_14444:                            ;   in Loop: Header=BB6_13186 Depth=3
	s_or_b64 exec, exec, s[36:37]
                                        ; implicit-def: $vgpr8
.LBB6_14445:                            ;   in Loop: Header=BB6_13186 Depth=3
	s_andn2_saveexec_b64 s[28:29], s[34:35]
; %bb.14446:                            ;   in Loop: Header=BB6_13186 Depth=3
	v_or_b32_e32 v50, 0x7b, v8
; %bb.14447:                            ;   in Loop: Header=BB6_13186 Depth=3
	s_or_b64 exec, exec, s[28:29]
                                        ; implicit-def: $vgpr3
                                        ; implicit-def: $vgpr1_vgpr2
.LBB6_14448:                            ;   in Loop: Header=BB6_13186 Depth=3
	s_andn2_saveexec_b64 s[28:29], s[30:31]
	s_cbranch_execz .LBB6_14454
; %bb.14449:                            ;   in Loop: Header=BB6_13186 Depth=3
	v_cmp_ne_u64_e32 vcc, 0, v[1:2]
                                        ; implicit-def: $vgpr50
	s_and_saveexec_b64 s[62:63], vcc
	s_xor_b64 vcc, exec, s[62:63]
; %bb.14450:                            ;   in Loop: Header=BB6_13186 Depth=3
	v_or_b32_sdwa v50, v3, s44 dst_sel:DWORD dst_unused:UNUSED_PAD src0_sel:BYTE_3 src1_sel:DWORD
                                        ; implicit-def: $vgpr3
; %bb.14451:                            ;   in Loop: Header=BB6_13186 Depth=3
	s_andn2_saveexec_b64 s[30:31], vcc
; %bb.14452:                            ;   in Loop: Header=BB6_13186 Depth=3
	v_cmp_lt_i32_e32 vcc, -1, v3
	v_bfrev_b32_e32 v1, 0.5
	v_mov_b32_e32 v2, 0x7c
	v_cndmask_b32_e32 v50, v1, v2, vcc
; %bb.14453:                            ;   in Loop: Header=BB6_13186 Depth=3
	s_or_b64 exec, exec, s[30:31]
.LBB6_14454:                            ;   in Loop: Header=BB6_13186 Depth=3
	s_or_b64 exec, exec, s[28:29]
	v_lshrrev_b16_e32 v1, 8, v0
	v_cmp_ne_u16_e32 vcc, 0, v1
	v_mov_b32_e32 v2, 0
	s_and_saveexec_b64 s[28:29], vcc
	s_cbranch_execz .LBB6_14462
; %bb.14455:                            ;   in Loop: Header=BB6_13186 Depth=3
	v_cmp_ne_u16_e32 vcc, s97, v1
	v_bfrev_b32_e32 v2, 1
	s_and_saveexec_b64 s[30:31], vcc
	s_cbranch_execz .LBB6_14461
; %bb.14456:                            ;   in Loop: Header=BB6_13186 Depth=3
	v_and_b32_e32 v2, 0x7c, v1
	v_and_b32_e32 v3, 3, v1
	v_cmp_ne_u32_e32 vcc, s86, v2
                                        ; implicit-def: $vgpr2
	s_and_saveexec_b64 s[62:63], vcc
	s_xor_b64 s[34:35], exec, s[62:63]
	s_cbranch_execz .LBB6_14458
; %bb.14457:                            ;   in Loop: Header=BB6_13186 Depth=3
	v_ffbh_u32_e32 v9, v3
	v_min_u32_e32 v9, 32, v9
	v_mov_b32_e32 v2, v33
	v_subrev_u32_e32 v13, 29, v9
	v_bfe_u32 v8, v1, 2, 5
	v_lshlrev_b64 v[1:2], v13, v[1:2]
	v_sub_u32_e32 v2, 30, v9
	v_cmp_eq_u32_e32 vcc, 0, v8
	v_lshlrev_b32_e32 v0, 16, v0
	v_and_b32_e32 v1, 3, v1
	v_cndmask_b32_e32 v2, v8, v2, vcc
	v_and_b32_e32 v0, 0x80000000, v0
	v_cndmask_b32_e32 v1, v3, v1, vcc
	v_lshl_add_u32 v0, v2, 23, v0
	v_lshl_or_b32 v0, v1, 21, v0
	v_add_u32_e32 v2, 0x38000000, v0
                                        ; implicit-def: $vgpr3
                                        ; implicit-def: $vgpr0_vgpr1
.LBB6_14458:                            ;   in Loop: Header=BB6_13186 Depth=3
	s_andn2_saveexec_b64 s[34:35], s[34:35]
; %bb.14459:                            ;   in Loop: Header=BB6_13186 Depth=3
	v_cmp_lt_i16_e32 vcc, -1, v0
	v_mov_b32_e32 v0, 0xff800000
	v_mov_b32_e32 v1, 0x7f800000
	v_cndmask_b32_e32 v0, v0, v1, vcc
	v_cmp_eq_u32_e32 vcc, 0, v3
	v_mov_b32_e32 v1, 0x7f800001
	v_cndmask_b32_e32 v2, v1, v0, vcc
; %bb.14460:                            ;   in Loop: Header=BB6_13186 Depth=3
	s_or_b64 exec, exec, s[34:35]
.LBB6_14461:                            ;   in Loop: Header=BB6_13186 Depth=3
	s_or_b64 exec, exec, s[30:31]
.LBB6_14462:                            ;   in Loop: Header=BB6_13186 Depth=3
	s_or_b64 exec, exec, s[28:29]
	v_mul_f32_e32 v2, v12, v2
	v_and_b32_e32 v8, 0x7f800000, v2
	v_mov_b32_e32 v9, v33
	v_cmp_ne_u64_e32 vcc, s[76:77], v[8:9]
	v_and_b32_e32 v0, 0x7fffff, v2
	v_mov_b32_e32 v1, v33
                                        ; implicit-def: $vgpr3
                                        ; kill: killed $vgpr3
	s_and_saveexec_b64 s[28:29], vcc
	s_xor_b64 s[30:31], exec, s[28:29]
	s_cbranch_execz .LBB6_14476
; %bb.14463:                            ;   in Loop: Header=BB6_13186 Depth=3
	v_and_b32_e32 v8, 0x7fffffff, v2
	v_mov_b32_e32 v9, v33
	v_cmp_gt_u64_e32 vcc, s[78:79], v[8:9]
	v_and_b32_sdwa v3, v2, s97 dst_sel:DWORD dst_unused:UNUSED_PAD src0_sel:BYTE_3 src1_sel:DWORD
                                        ; implicit-def: $vgpr7
                                        ; kill: killed $vgpr7
	s_and_saveexec_b64 s[28:29], vcc
	s_xor_b64 s[34:35], exec, s[28:29]
	s_cbranch_execz .LBB6_14473
; %bb.14464:                            ;   in Loop: Header=BB6_13186 Depth=3
	v_mov_b32_e32 v7, 0
	v_cmp_ne_u32_e32 vcc, 0, v2
	buffer_store_dword v7, off, s[0:3], s33 offset:212 ; 4-byte Folded Spill
	s_and_saveexec_b64 s[36:37], vcc
	s_cbranch_execz .LBB6_14472
; %bb.14465:                            ;   in Loop: Header=BB6_13186 Depth=3
	v_bfe_u32 v8, v2, 23, 8
	v_cmp_gt_u32_e64 s[28:29], s47, v8
	v_sub_u32_e32 v2, 0x71, v8
	v_cmp_eq_u32_e32 vcc, 0, v8
	v_cndmask_b32_e64 v2, 0, v2, s[28:29]
	v_mov_b32_e32 v9, 0x70
	v_cndmask_b32_e32 v9, v2, v9, vcc
	v_or_b32_e32 v13, 0x800000, v0
	v_add_u32_e32 v2, 21, v9
	v_cndmask_b32_e32 v0, v13, v0, vcc
	v_lshlrev_b64 v[13:14], v2, -1
	v_add_u32_e32 v2, 20, v9
	v_bfi_b32 v13, v13, 0, v0
	v_lshlrev_b64 v[15:16], v2, 1
	v_lshrrev_b64 v[0:1], v9, v[0:1]
	v_bfi_b32 v14, v14, 0, 0
	v_cmp_eq_u64_e64 s[28:29], v[13:14], v[15:16]
	v_mov_b32_e32 v2, v1
	v_mov_b32_e32 v1, v0
	s_and_saveexec_b64 s[38:39], s[28:29]
; %bb.14466:                            ;   in Loop: Header=BB6_13186 Depth=3
	v_bfe_u32 v1, v0, 21, 1
	v_add_co_u32_e64 v1, s[28:29], v0, v1
	v_add_co_u32_e64 v1, s[28:29], -1, v1
; %bb.14467:                            ;   in Loop: Header=BB6_13186 Depth=3
	s_or_b64 exec, exec, s[38:39]
	v_add_u32_e32 v2, 0xffffff81, v8
	v_mov_b32_e32 v8, 0xffffff82
	v_cndmask_b32_e32 v2, v2, v8, vcc
	v_lshrrev_b32_e32 v8, 23, v0
	v_add3_u32 v9, v9, v2, v8
	v_add_u32_e32 v8, 14, v9
	v_and_b32_e32 v1, 0x1fffff, v1
	v_add_u32_e32 v0, v1, v0
	v_mov_b32_e32 v1, v33
	v_cmp_ne_u32_e32 vcc, 0, v8
                                        ; implicit-def: $vgpr2
	s_and_saveexec_b64 s[28:29], vcc
	s_xor_b64 s[28:29], exec, s[28:29]
; %bb.14468:                            ;   in Loop: Header=BB6_13186 Depth=3
	v_cmp_lt_u64_e32 vcc, s[88:89], v[0:1]
	v_add_u32_e32 v2, 15, v9
	v_cndmask_b32_e32 v2, v8, v2, vcc
	v_cndmask_b32_e64 v8, 0, 1, vcc
	v_lshrrev_b64 v[0:1], v8, v[0:1]
; %bb.14469:                            ;   in Loop: Header=BB6_13186 Depth=3
	s_andn2_saveexec_b64 s[28:29], s[28:29]
; %bb.14470:                            ;   in Loop: Header=BB6_13186 Depth=3
	v_bfe_u32 v2, v0, 23, 1
; %bb.14471:                            ;   in Loop: Header=BB6_13186 Depth=3
	s_or_b64 exec, exec, s[28:29]
	v_lshrrev_b64 v[0:1], 21, v[0:1]
	v_cmp_gt_i32_e32 vcc, 32, v2
	v_cndmask_b32_e32 v1, 0, v1, vcc
	v_cndmask_b32_e32 v0, 3, v0, vcc
	v_cmp_eq_u64_e64 s[28:29], 0, v[0:1]
	v_min_i32_e32 v1, 31, v2
	v_lshlrev_b32_e32 v1, 2, v1
	v_cmp_eq_u32_e32 vcc, 0, v2
	v_and_b32_e32 v1, 0xfc, v1
	v_and_or_b32 v0, v0, 3, v1
	s_and_b64 s[28:29], vcc, s[28:29]
	v_cndmask_b32_e64 v0, v0, 0, s[28:29]
	v_or_b32_e32 v0, v0, v3
	buffer_store_dword v0, off, s[0:3], s33 offset:212 ; 4-byte Folded Spill
.LBB6_14472:                            ;   in Loop: Header=BB6_13186 Depth=3
	s_or_b64 exec, exec, s[36:37]
                                        ; implicit-def: $vgpr3
.LBB6_14473:                            ;   in Loop: Header=BB6_13186 Depth=3
	s_andn2_saveexec_b64 s[28:29], s[34:35]
	s_cbranch_execz .LBB6_14475
; %bb.14474:                            ;   in Loop: Header=BB6_13186 Depth=3
	v_or_b32_e32 v0, 0x7b, v3
	buffer_store_dword v0, off, s[0:3], s33 offset:212 ; 4-byte Folded Spill
.LBB6_14475:                            ;   in Loop: Header=BB6_13186 Depth=3
	s_or_b64 exec, exec, s[28:29]
                                        ; implicit-def: $vgpr2
                                        ; implicit-def: $vgpr0_vgpr1
.LBB6_14476:                            ;   in Loop: Header=BB6_13186 Depth=3
	s_andn2_saveexec_b64 s[28:29], s[30:31]
	s_cbranch_execz .LBB6_14482
; %bb.14477:                            ;   in Loop: Header=BB6_13186 Depth=3
	v_cmp_ne_u64_e32 vcc, 0, v[0:1]
                                        ; implicit-def: $vgpr0
                                        ; kill: killed $vgpr0
	s_and_saveexec_b64 s[62:63], vcc
	s_xor_b64 vcc, exec, s[62:63]
	s_cbranch_execz .LBB6_14479
; %bb.14478:                            ;   in Loop: Header=BB6_13186 Depth=3
	v_or_b32_sdwa v0, v2, s44 dst_sel:DWORD dst_unused:UNUSED_PAD src0_sel:BYTE_3 src1_sel:DWORD
	buffer_store_dword v0, off, s[0:3], s33 offset:212 ; 4-byte Folded Spill
                                        ; implicit-def: $vgpr2
.LBB6_14479:                            ;   in Loop: Header=BB6_13186 Depth=3
	s_andn2_saveexec_b64 s[30:31], vcc
	s_cbranch_execz .LBB6_14481
; %bb.14480:                            ;   in Loop: Header=BB6_13186 Depth=3
	v_cmp_lt_i32_e32 vcc, -1, v2
	v_bfrev_b32_e32 v0, 0.5
	v_mov_b32_e32 v1, 0x7c
	v_cndmask_b32_e32 v0, v0, v1, vcc
	buffer_store_dword v0, off, s[0:3], s33 offset:212 ; 4-byte Folded Spill
.LBB6_14481:                            ;   in Loop: Header=BB6_13186 Depth=3
	s_or_b64 exec, exec, s[30:31]
.LBB6_14482:                            ;   in Loop: Header=BB6_13186 Depth=3
	s_or_b64 exec, exec, s[28:29]
	v_lshrrev_b32_e32 v0, 16, v11
	v_cmp_ne_u16_sdwa s[62:63], v0, v33 src0_sel:BYTE_0 src1_sel:DWORD
	v_mov_b32_e32 v1, 0
	s_and_saveexec_b64 s[28:29], s[62:63]
	s_cbranch_execz .LBB6_14490
; %bb.14483:                            ;   in Loop: Header=BB6_13186 Depth=3
	v_cmp_ne_u16_sdwa s[62:63], v0, s97 src0_sel:BYTE_0 src1_sel:DWORD
	v_bfrev_b32_e32 v1, 1
	s_and_saveexec_b64 s[30:31], s[62:63]
	s_cbranch_execz .LBB6_14489
; %bb.14484:                            ;   in Loop: Header=BB6_13186 Depth=3
	v_and_b32_e32 v1, 0x7c0000, v11
	v_bfe_u32 v2, v11, 16, 2
	v_cmp_ne_u32_e32 vcc, s45, v1
                                        ; implicit-def: $vgpr1
	s_and_saveexec_b64 s[62:63], vcc
	s_xor_b64 s[34:35], exec, s[62:63]
	s_cbranch_execz .LBB6_14486
; %bb.14485:                            ;   in Loop: Header=BB6_13186 Depth=3
	v_ffbh_u32_e32 v1, v2
	v_min_u32_e32 v8, 32, v1
	v_subrev_u32_e32 v1, 29, v8
	v_lshlrev_b64 v[0:1], v1, v[0:1]
	v_bfe_u32 v3, v11, 18, 5
	v_and_b32_e32 v0, 3, v0
	v_cmp_eq_u32_e32 vcc, 0, v3
	v_sub_u32_e32 v1, 30, v8
	v_cndmask_b32_e32 v0, v2, v0, vcc
	v_lshlrev_b32_e32 v2, 8, v11
	v_cndmask_b32_e32 v1, v3, v1, vcc
	v_and_b32_e32 v2, 0x80000000, v2
	v_lshl_add_u32 v1, v1, 23, v2
	v_lshl_or_b32 v0, v0, 21, v1
	v_add_u32_e32 v1, 0x38000000, v0
                                        ; implicit-def: $vgpr2
                                        ; implicit-def: $vgpr0
.LBB6_14486:                            ;   in Loop: Header=BB6_13186 Depth=3
	s_andn2_saveexec_b64 s[34:35], s[34:35]
; %bb.14487:                            ;   in Loop: Header=BB6_13186 Depth=3
	v_mov_b32_e32 v1, -1
	v_cmp_gt_i16_sdwa vcc, sext(v0), v1 src0_sel:BYTE_0 src1_sel:DWORD
	v_mov_b32_e32 v0, 0xff800000
	v_mov_b32_e32 v1, 0x7f800000
	v_cndmask_b32_e32 v0, v0, v1, vcc
	v_cmp_eq_u32_e32 vcc, 0, v2
	v_mov_b32_e32 v1, 0x7f800001
	v_cndmask_b32_e32 v1, v1, v0, vcc
; %bb.14488:                            ;   in Loop: Header=BB6_13186 Depth=3
	s_or_b64 exec, exec, s[34:35]
.LBB6_14489:                            ;   in Loop: Header=BB6_13186 Depth=3
	s_or_b64 exec, exec, s[30:31]
.LBB6_14490:                            ;   in Loop: Header=BB6_13186 Depth=3
	s_or_b64 exec, exec, s[28:29]
	v_mul_f32_e32 v2, v12, v1
	v_and_b32_e32 v8, 0x7f800000, v2
	v_mov_b32_e32 v9, v33
	v_cmp_ne_u64_e32 vcc, s[76:77], v[8:9]
	v_and_b32_e32 v0, 0x7fffff, v2
	v_mov_b32_e32 v1, v33
                                        ; implicit-def: $vgpr3
                                        ; kill: killed $vgpr3
	s_and_saveexec_b64 s[28:29], vcc
	s_xor_b64 s[30:31], exec, s[28:29]
	s_cbranch_execz .LBB6_14504
; %bb.14491:                            ;   in Loop: Header=BB6_13186 Depth=3
	v_and_b32_e32 v8, 0x7fffffff, v2
	v_mov_b32_e32 v9, v33
	v_cmp_gt_u64_e32 vcc, s[78:79], v[8:9]
	v_and_b32_sdwa v3, v2, s97 dst_sel:DWORD dst_unused:UNUSED_PAD src0_sel:BYTE_3 src1_sel:DWORD
                                        ; implicit-def: $vgpr7
                                        ; kill: killed $vgpr7
	s_and_saveexec_b64 s[28:29], vcc
	s_xor_b64 s[34:35], exec, s[28:29]
	s_cbranch_execz .LBB6_14501
; %bb.14492:                            ;   in Loop: Header=BB6_13186 Depth=3
	v_mov_b32_e32 v7, 0
	v_cmp_ne_u32_e32 vcc, 0, v2
	buffer_store_dword v7, off, s[0:3], s33 offset:236 ; 4-byte Folded Spill
	s_and_saveexec_b64 s[36:37], vcc
	s_cbranch_execz .LBB6_14500
; %bb.14493:                            ;   in Loop: Header=BB6_13186 Depth=3
	v_bfe_u32 v8, v2, 23, 8
	v_cmp_gt_u32_e64 s[28:29], s47, v8
	v_sub_u32_e32 v2, 0x71, v8
	v_cmp_eq_u32_e32 vcc, 0, v8
	v_cndmask_b32_e64 v2, 0, v2, s[28:29]
	v_mov_b32_e32 v9, 0x70
	v_cndmask_b32_e32 v9, v2, v9, vcc
	v_or_b32_e32 v13, 0x800000, v0
	v_add_u32_e32 v2, 21, v9
	v_cndmask_b32_e32 v0, v13, v0, vcc
	v_lshlrev_b64 v[13:14], v2, -1
	v_add_u32_e32 v2, 20, v9
	v_bfi_b32 v13, v13, 0, v0
	v_lshlrev_b64 v[15:16], v2, 1
	v_lshrrev_b64 v[0:1], v9, v[0:1]
	v_bfi_b32 v14, v14, 0, 0
	v_cmp_eq_u64_e64 s[28:29], v[13:14], v[15:16]
	v_mov_b32_e32 v2, v1
	v_mov_b32_e32 v1, v0
	s_and_saveexec_b64 s[38:39], s[28:29]
; %bb.14494:                            ;   in Loop: Header=BB6_13186 Depth=3
	v_bfe_u32 v1, v0, 21, 1
	v_add_co_u32_e64 v1, s[28:29], v0, v1
	v_add_co_u32_e64 v1, s[28:29], -1, v1
; %bb.14495:                            ;   in Loop: Header=BB6_13186 Depth=3
	s_or_b64 exec, exec, s[38:39]
	v_add_u32_e32 v2, 0xffffff81, v8
	v_mov_b32_e32 v8, 0xffffff82
	v_cndmask_b32_e32 v2, v2, v8, vcc
	v_lshrrev_b32_e32 v8, 23, v0
	v_add3_u32 v9, v9, v2, v8
	v_add_u32_e32 v8, 14, v9
	v_and_b32_e32 v1, 0x1fffff, v1
	v_add_u32_e32 v0, v1, v0
	v_mov_b32_e32 v1, v33
	v_cmp_ne_u32_e32 vcc, 0, v8
                                        ; implicit-def: $vgpr2
	s_and_saveexec_b64 s[28:29], vcc
	s_xor_b64 s[28:29], exec, s[28:29]
; %bb.14496:                            ;   in Loop: Header=BB6_13186 Depth=3
	v_cmp_lt_u64_e32 vcc, s[88:89], v[0:1]
	v_add_u32_e32 v2, 15, v9
	v_cndmask_b32_e32 v2, v8, v2, vcc
	v_cndmask_b32_e64 v8, 0, 1, vcc
	v_lshrrev_b64 v[0:1], v8, v[0:1]
; %bb.14497:                            ;   in Loop: Header=BB6_13186 Depth=3
	s_andn2_saveexec_b64 s[28:29], s[28:29]
; %bb.14498:                            ;   in Loop: Header=BB6_13186 Depth=3
	v_bfe_u32 v2, v0, 23, 1
; %bb.14499:                            ;   in Loop: Header=BB6_13186 Depth=3
	s_or_b64 exec, exec, s[28:29]
	v_lshrrev_b64 v[0:1], 21, v[0:1]
	v_cmp_gt_i32_e32 vcc, 32, v2
	v_cndmask_b32_e32 v1, 0, v1, vcc
	v_cndmask_b32_e32 v0, 3, v0, vcc
	v_cmp_eq_u64_e64 s[28:29], 0, v[0:1]
	v_min_i32_e32 v1, 31, v2
	v_lshlrev_b32_e32 v1, 2, v1
	v_cmp_eq_u32_e32 vcc, 0, v2
	v_and_b32_e32 v1, 0xfc, v1
	v_and_or_b32 v0, v0, 3, v1
	s_and_b64 s[28:29], vcc, s[28:29]
	v_cndmask_b32_e64 v0, v0, 0, s[28:29]
	v_or_b32_e32 v0, v0, v3
	buffer_store_dword v0, off, s[0:3], s33 offset:236 ; 4-byte Folded Spill
.LBB6_14500:                            ;   in Loop: Header=BB6_13186 Depth=3
	s_or_b64 exec, exec, s[36:37]
                                        ; implicit-def: $vgpr3
.LBB6_14501:                            ;   in Loop: Header=BB6_13186 Depth=3
	s_andn2_saveexec_b64 s[28:29], s[34:35]
	s_cbranch_execz .LBB6_14503
; %bb.14502:                            ;   in Loop: Header=BB6_13186 Depth=3
	v_or_b32_e32 v0, 0x7b, v3
	buffer_store_dword v0, off, s[0:3], s33 offset:236 ; 4-byte Folded Spill
.LBB6_14503:                            ;   in Loop: Header=BB6_13186 Depth=3
	s_or_b64 exec, exec, s[28:29]
                                        ; implicit-def: $vgpr2
                                        ; implicit-def: $vgpr0_vgpr1
.LBB6_14504:                            ;   in Loop: Header=BB6_13186 Depth=3
	s_andn2_saveexec_b64 s[28:29], s[30:31]
	s_cbranch_execz .LBB6_14510
; %bb.14505:                            ;   in Loop: Header=BB6_13186 Depth=3
	v_cmp_ne_u64_e32 vcc, 0, v[0:1]
                                        ; implicit-def: $vgpr0
                                        ; kill: killed $vgpr0
	s_and_saveexec_b64 s[62:63], vcc
	s_xor_b64 vcc, exec, s[62:63]
	s_cbranch_execz .LBB6_14507
; %bb.14506:                            ;   in Loop: Header=BB6_13186 Depth=3
	v_or_b32_sdwa v0, v2, s44 dst_sel:DWORD dst_unused:UNUSED_PAD src0_sel:BYTE_3 src1_sel:DWORD
	buffer_store_dword v0, off, s[0:3], s33 offset:236 ; 4-byte Folded Spill
                                        ; implicit-def: $vgpr2
.LBB6_14507:                            ;   in Loop: Header=BB6_13186 Depth=3
	s_andn2_saveexec_b64 s[30:31], vcc
	s_cbranch_execz .LBB6_14509
; %bb.14508:                            ;   in Loop: Header=BB6_13186 Depth=3
	v_cmp_lt_i32_e32 vcc, -1, v2
	v_bfrev_b32_e32 v0, 0.5
	v_mov_b32_e32 v1, 0x7c
	v_cndmask_b32_e32 v0, v0, v1, vcc
	buffer_store_dword v0, off, s[0:3], s33 offset:236 ; 4-byte Folded Spill
.LBB6_14509:                            ;   in Loop: Header=BB6_13186 Depth=3
	s_or_b64 exec, exec, s[30:31]
.LBB6_14510:                            ;   in Loop: Header=BB6_13186 Depth=3
	s_or_b64 exec, exec, s[28:29]
	v_cmp_lt_u64_e32 vcc, s[56:57], v[10:11]
	v_mov_b32_e32 v1, 0
	s_and_saveexec_b64 s[28:29], vcc
	s_cbranch_execz .LBB6_14518
; %bb.14511:                            ;   in Loop: Header=BB6_13186 Depth=3
	v_lshrrev_b32_e32 v0, 24, v11
	v_cmp_ne_u32_e32 vcc, s97, v0
	v_bfrev_b32_e32 v1, 1
	s_and_saveexec_b64 s[30:31], vcc
	s_cbranch_execz .LBB6_14517
; %bb.14512:                            ;   in Loop: Header=BB6_13186 Depth=3
	v_and_b32_e32 v1, 0x7c000000, v11
	v_bfe_u32 v2, v11, 24, 2
	v_cmp_ne_u32_e32 vcc, s68, v1
                                        ; implicit-def: $vgpr1
	s_and_saveexec_b64 s[62:63], vcc
	s_xor_b64 s[34:35], exec, s[62:63]
	s_cbranch_execz .LBB6_14514
; %bb.14513:                            ;   in Loop: Header=BB6_13186 Depth=3
	v_ffbh_u32_e32 v1, v2
	v_min_u32_e32 v8, 32, v1
	v_subrev_u32_e32 v1, 29, v8
	v_lshlrev_b64 v[0:1], v1, v[0:1]
	v_bfe_u32 v3, v11, 26, 5
	v_sub_u32_e32 v1, 30, v8
	v_and_b32_e32 v0, 3, v0
	v_cmp_eq_u32_e32 vcc, 0, v3
	v_cndmask_b32_e32 v1, v3, v1, vcc
	v_cndmask_b32_e32 v0, v2, v0, vcc
	v_and_b32_e32 v2, 0x80000000, v11
	v_lshl_add_u32 v1, v1, 23, v2
	v_lshl_or_b32 v0, v0, 21, v1
	v_add_u32_e32 v1, 0x38000000, v0
                                        ; implicit-def: $vgpr2
                                        ; implicit-def: $vgpr10_vgpr11
.LBB6_14514:                            ;   in Loop: Header=BB6_13186 Depth=3
	s_andn2_saveexec_b64 s[34:35], s[34:35]
; %bb.14515:                            ;   in Loop: Header=BB6_13186 Depth=3
	v_cmp_lt_i64_e32 vcc, -1, v[10:11]
	v_mov_b32_e32 v0, 0xff800000
	v_mov_b32_e32 v1, 0x7f800000
	v_cndmask_b32_e32 v0, v0, v1, vcc
	v_cmp_eq_u32_e32 vcc, 0, v2
	v_mov_b32_e32 v1, 0x7f800001
	v_cndmask_b32_e32 v1, v1, v0, vcc
; %bb.14516:                            ;   in Loop: Header=BB6_13186 Depth=3
	s_or_b64 exec, exec, s[34:35]
.LBB6_14517:                            ;   in Loop: Header=BB6_13186 Depth=3
	s_or_b64 exec, exec, s[30:31]
.LBB6_14518:                            ;   in Loop: Header=BB6_13186 Depth=3
	s_or_b64 exec, exec, s[28:29]
	v_mul_f32_e32 v2, v12, v1
	v_and_b32_e32 v8, 0x7f800000, v2
	v_mov_b32_e32 v9, v33
	v_cmp_ne_u64_e32 vcc, s[76:77], v[8:9]
	v_and_b32_e32 v0, 0x7fffff, v2
	v_mov_b32_e32 v1, v33
                                        ; implicit-def: $vgpr3
                                        ; kill: killed $vgpr3
	s_and_saveexec_b64 s[28:29], vcc
	s_xor_b64 s[30:31], exec, s[28:29]
	s_cbranch_execz .LBB6_14532
; %bb.14519:                            ;   in Loop: Header=BB6_13186 Depth=3
	v_and_b32_e32 v8, 0x7fffffff, v2
	v_mov_b32_e32 v9, v33
	v_cmp_gt_u64_e32 vcc, s[78:79], v[8:9]
	v_and_b32_sdwa v3, v2, s97 dst_sel:DWORD dst_unused:UNUSED_PAD src0_sel:BYTE_3 src1_sel:DWORD
                                        ; implicit-def: $vgpr7
                                        ; kill: killed $vgpr7
	s_and_saveexec_b64 s[28:29], vcc
	s_xor_b64 s[34:35], exec, s[28:29]
	s_cbranch_execz .LBB6_14529
; %bb.14520:                            ;   in Loop: Header=BB6_13186 Depth=3
	v_mov_b32_e32 v7, 0
	v_cmp_ne_u32_e32 vcc, 0, v2
	buffer_store_dword v7, off, s[0:3], s33 offset:268 ; 4-byte Folded Spill
	s_and_saveexec_b64 s[36:37], vcc
	s_cbranch_execz .LBB6_14528
; %bb.14521:                            ;   in Loop: Header=BB6_13186 Depth=3
	v_bfe_u32 v8, v2, 23, 8
	v_cmp_gt_u32_e64 s[28:29], s47, v8
	v_sub_u32_e32 v2, 0x71, v8
	v_cmp_eq_u32_e32 vcc, 0, v8
	v_cndmask_b32_e64 v2, 0, v2, s[28:29]
	v_mov_b32_e32 v9, 0x70
	v_cndmask_b32_e32 v9, v2, v9, vcc
	v_or_b32_e32 v10, 0x800000, v0
	v_add_u32_e32 v2, 21, v9
	v_cndmask_b32_e32 v0, v10, v0, vcc
	v_lshlrev_b64 v[10:11], v2, -1
	v_add_u32_e32 v2, 20, v9
	v_bfi_b32 v10, v10, 0, v0
	v_lshlrev_b64 v[13:14], v2, 1
	v_lshrrev_b64 v[0:1], v9, v[0:1]
	v_bfi_b32 v11, v11, 0, 0
	v_cmp_eq_u64_e64 s[28:29], v[10:11], v[13:14]
	v_mov_b32_e32 v2, v1
	v_mov_b32_e32 v1, v0
	s_and_saveexec_b64 s[38:39], s[28:29]
; %bb.14522:                            ;   in Loop: Header=BB6_13186 Depth=3
	v_bfe_u32 v1, v0, 21, 1
	v_add_co_u32_e64 v1, s[28:29], v0, v1
	v_add_co_u32_e64 v1, s[28:29], -1, v1
; %bb.14523:                            ;   in Loop: Header=BB6_13186 Depth=3
	s_or_b64 exec, exec, s[38:39]
	v_add_u32_e32 v2, 0xffffff81, v8
	v_mov_b32_e32 v8, 0xffffff82
	v_cndmask_b32_e32 v2, v2, v8, vcc
	v_lshrrev_b32_e32 v8, 23, v0
	v_add3_u32 v9, v9, v2, v8
	v_add_u32_e32 v8, 14, v9
	v_and_b32_e32 v1, 0x1fffff, v1
	v_add_u32_e32 v0, v1, v0
	v_mov_b32_e32 v1, v33
	v_cmp_ne_u32_e32 vcc, 0, v8
                                        ; implicit-def: $vgpr2
	s_and_saveexec_b64 s[28:29], vcc
	s_xor_b64 s[28:29], exec, s[28:29]
; %bb.14524:                            ;   in Loop: Header=BB6_13186 Depth=3
	v_cmp_lt_u64_e32 vcc, s[88:89], v[0:1]
	v_add_u32_e32 v2, 15, v9
	v_cndmask_b32_e32 v2, v8, v2, vcc
	v_cndmask_b32_e64 v8, 0, 1, vcc
	v_lshrrev_b64 v[0:1], v8, v[0:1]
; %bb.14525:                            ;   in Loop: Header=BB6_13186 Depth=3
	s_andn2_saveexec_b64 s[28:29], s[28:29]
; %bb.14526:                            ;   in Loop: Header=BB6_13186 Depth=3
	v_bfe_u32 v2, v0, 23, 1
; %bb.14527:                            ;   in Loop: Header=BB6_13186 Depth=3
	s_or_b64 exec, exec, s[28:29]
	v_lshrrev_b64 v[0:1], 21, v[0:1]
	v_cmp_gt_i32_e32 vcc, 32, v2
	v_cndmask_b32_e32 v1, 0, v1, vcc
	v_cndmask_b32_e32 v0, 3, v0, vcc
	v_cmp_eq_u64_e64 s[28:29], 0, v[0:1]
	v_min_i32_e32 v1, 31, v2
	v_lshlrev_b32_e32 v1, 2, v1
	v_cmp_eq_u32_e32 vcc, 0, v2
	v_and_b32_e32 v1, 0xfc, v1
	v_and_or_b32 v0, v0, 3, v1
	s_and_b64 s[28:29], vcc, s[28:29]
	v_cndmask_b32_e64 v0, v0, 0, s[28:29]
	v_or_b32_e32 v0, v0, v3
	buffer_store_dword v0, off, s[0:3], s33 offset:268 ; 4-byte Folded Spill
.LBB6_14528:                            ;   in Loop: Header=BB6_13186 Depth=3
	s_or_b64 exec, exec, s[36:37]
                                        ; implicit-def: $vgpr3
.LBB6_14529:                            ;   in Loop: Header=BB6_13186 Depth=3
	s_andn2_saveexec_b64 s[28:29], s[34:35]
	s_cbranch_execz .LBB6_14531
; %bb.14530:                            ;   in Loop: Header=BB6_13186 Depth=3
	v_or_b32_e32 v0, 0x7b, v3
	buffer_store_dword v0, off, s[0:3], s33 offset:268 ; 4-byte Folded Spill
.LBB6_14531:                            ;   in Loop: Header=BB6_13186 Depth=3
	s_or_b64 exec, exec, s[28:29]
                                        ; implicit-def: $vgpr2
                                        ; implicit-def: $vgpr0_vgpr1
.LBB6_14532:                            ;   in Loop: Header=BB6_13186 Depth=3
	s_andn2_saveexec_b64 s[28:29], s[30:31]
	s_cbranch_execz .LBB6_14538
; %bb.14533:                            ;   in Loop: Header=BB6_13186 Depth=3
	v_cmp_ne_u64_e32 vcc, 0, v[0:1]
                                        ; implicit-def: $vgpr0
                                        ; kill: killed $vgpr0
	s_and_saveexec_b64 s[62:63], vcc
	s_xor_b64 vcc, exec, s[62:63]
	s_cbranch_execz .LBB6_14535
; %bb.14534:                            ;   in Loop: Header=BB6_13186 Depth=3
	v_or_b32_sdwa v0, v2, s44 dst_sel:DWORD dst_unused:UNUSED_PAD src0_sel:BYTE_3 src1_sel:DWORD
	buffer_store_dword v0, off, s[0:3], s33 offset:268 ; 4-byte Folded Spill
                                        ; implicit-def: $vgpr2
.LBB6_14535:                            ;   in Loop: Header=BB6_13186 Depth=3
	s_andn2_saveexec_b64 s[30:31], vcc
	s_cbranch_execz .LBB6_14537
; %bb.14536:                            ;   in Loop: Header=BB6_13186 Depth=3
	v_cmp_lt_i32_e32 vcc, -1, v2
	v_bfrev_b32_e32 v0, 0.5
	v_mov_b32_e32 v1, 0x7c
	v_cndmask_b32_e32 v0, v0, v1, vcc
	buffer_store_dword v0, off, s[0:3], s33 offset:268 ; 4-byte Folded Spill
.LBB6_14537:                            ;   in Loop: Header=BB6_13186 Depth=3
	s_or_b64 exec, exec, s[30:31]
.LBB6_14538:                            ;   in Loop: Header=BB6_13186 Depth=3
	s_or_b64 exec, exec, s[28:29]
	global_load_dwordx4 v[8:11], v[60:61], off offset:3072 glc slc
	v_mov_b32_e32 v0, 0
	s_waitcnt vmcnt(0)
	v_cmp_ne_u16_sdwa s[62:63], v8, v33 src0_sel:BYTE_0 src1_sel:DWORD
	s_and_saveexec_b64 s[28:29], s[62:63]
	s_cbranch_execz .LBB6_14546
; %bb.14539:                            ;   in Loop: Header=BB6_13186 Depth=3
	v_cmp_ne_u16_sdwa s[62:63], sext(v8), s46 src0_sel:BYTE_0 src1_sel:DWORD
	v_bfrev_b32_e32 v0, 1
	s_and_saveexec_b64 s[30:31], s[62:63]
	s_cbranch_execz .LBB6_14545
; %bb.14540:                            ;   in Loop: Header=BB6_13186 Depth=3
	v_and_b32_e32 v0, 0x7c, v8
	v_and_b32_e32 v1, 3, v8
	v_cmp_ne_u32_e32 vcc, s86, v0
                                        ; implicit-def: $vgpr0
	s_and_saveexec_b64 s[62:63], vcc
	s_xor_b64 s[34:35], exec, s[62:63]
	s_cbranch_execz .LBB6_14542
; %bb.14541:                            ;   in Loop: Header=BB6_13186 Depth=3
	v_ffbh_u32_e32 v2, v1
	v_min_u32_e32 v13, 32, v2
	v_subrev_u32_e32 v2, 29, v13
	v_lshlrev_b64 v[2:3], v2, v[8:9]
	v_bfe_u32 v0, v8, 2, 5
	v_and_b32_e32 v2, 3, v2
	v_cmp_eq_u32_e32 vcc, 0, v0
	v_sub_u32_e32 v3, 30, v13
	v_cndmask_b32_e32 v1, v1, v2, vcc
	v_lshlrev_b32_e32 v2, 24, v8
	v_cndmask_b32_e32 v0, v0, v3, vcc
	v_and_b32_e32 v2, 0x80000000, v2
	v_lshl_add_u32 v0, v0, 23, v2
	v_lshl_or_b32 v0, v1, 21, v0
	v_add_u32_e32 v0, 0x38000000, v0
                                        ; implicit-def: $vgpr1
.LBB6_14542:                            ;   in Loop: Header=BB6_13186 Depth=3
	s_andn2_saveexec_b64 s[34:35], s[34:35]
; %bb.14543:                            ;   in Loop: Header=BB6_13186 Depth=3
	v_mov_b32_e32 v0, -1
	v_cmp_gt_i16_sdwa vcc, sext(v8), v0 src0_sel:BYTE_0 src1_sel:DWORD
	v_mov_b32_e32 v0, 0xff800000
	v_mov_b32_e32 v2, 0x7f800000
	v_cndmask_b32_e32 v0, v0, v2, vcc
	v_cmp_eq_u32_e32 vcc, 0, v1
	v_mov_b32_e32 v1, 0x7f800001
	v_cndmask_b32_e32 v0, v1, v0, vcc
; %bb.14544:                            ;   in Loop: Header=BB6_13186 Depth=3
	s_or_b64 exec, exec, s[34:35]
.LBB6_14545:                            ;   in Loop: Header=BB6_13186 Depth=3
	s_or_b64 exec, exec, s[30:31]
.LBB6_14546:                            ;   in Loop: Header=BB6_13186 Depth=3
	s_or_b64 exec, exec, s[28:29]
	v_mul_f32_e32 v2, v12, v0
	v_and_b32_e32 v13, 0x7f800000, v2
	v_mov_b32_e32 v14, v33
	v_cmp_ne_u64_e32 vcc, s[76:77], v[13:14]
	v_and_b32_e32 v0, 0x7fffff, v2
	v_mov_b32_e32 v1, v33
                                        ; implicit-def: $vgpr37
	s_and_saveexec_b64 s[28:29], vcc
	s_xor_b64 s[30:31], exec, s[28:29]
	s_cbranch_execz .LBB6_14560
; %bb.14547:                            ;   in Loop: Header=BB6_13186 Depth=3
	v_and_b32_e32 v13, 0x7fffffff, v2
	v_mov_b32_e32 v14, v33
	v_cmp_gt_u64_e32 vcc, s[78:79], v[13:14]
	v_and_b32_sdwa v3, v2, s97 dst_sel:DWORD dst_unused:UNUSED_PAD src0_sel:BYTE_3 src1_sel:DWORD
                                        ; implicit-def: $vgpr37
	s_and_saveexec_b64 s[28:29], vcc
	s_xor_b64 s[34:35], exec, s[28:29]
	s_cbranch_execz .LBB6_14557
; %bb.14548:                            ;   in Loop: Header=BB6_13186 Depth=3
	v_mov_b32_e32 v37, 0
	v_cmp_ne_u32_e32 vcc, 0, v2
	s_and_saveexec_b64 s[36:37], vcc
	s_cbranch_execz .LBB6_14556
; %bb.14549:                            ;   in Loop: Header=BB6_13186 Depth=3
	v_bfe_u32 v13, v2, 23, 8
	v_cmp_gt_u32_e64 s[28:29], s47, v13
	v_sub_u32_e32 v2, 0x71, v13
	v_cmp_eq_u32_e32 vcc, 0, v13
	v_cndmask_b32_e64 v2, 0, v2, s[28:29]
	v_mov_b32_e32 v14, 0x70
	v_cndmask_b32_e32 v14, v2, v14, vcc
	v_or_b32_e32 v15, 0x800000, v0
	v_add_u32_e32 v2, 21, v14
	v_cndmask_b32_e32 v0, v15, v0, vcc
	v_lshlrev_b64 v[15:16], v2, -1
	v_add_u32_e32 v2, 20, v14
	v_bfi_b32 v15, v15, 0, v0
	v_lshlrev_b64 v[17:18], v2, 1
	v_lshrrev_b64 v[0:1], v14, v[0:1]
	v_bfi_b32 v16, v16, 0, 0
	v_cmp_eq_u64_e64 s[28:29], v[15:16], v[17:18]
	v_mov_b32_e32 v2, v1
	v_mov_b32_e32 v1, v0
	s_and_saveexec_b64 s[38:39], s[28:29]
; %bb.14550:                            ;   in Loop: Header=BB6_13186 Depth=3
	v_bfe_u32 v1, v0, 21, 1
	v_add_co_u32_e64 v1, s[28:29], v0, v1
	v_add_co_u32_e64 v1, s[28:29], -1, v1
; %bb.14551:                            ;   in Loop: Header=BB6_13186 Depth=3
	s_or_b64 exec, exec, s[38:39]
	v_add_u32_e32 v2, 0xffffff81, v13
	v_mov_b32_e32 v13, 0xffffff82
	v_cndmask_b32_e32 v2, v2, v13, vcc
	v_lshrrev_b32_e32 v13, 23, v0
	v_add3_u32 v14, v14, v2, v13
	v_add_u32_e32 v13, 14, v14
	v_and_b32_e32 v1, 0x1fffff, v1
	v_add_u32_e32 v0, v1, v0
	v_mov_b32_e32 v1, v33
	v_cmp_ne_u32_e32 vcc, 0, v13
                                        ; implicit-def: $vgpr2
	s_and_saveexec_b64 s[28:29], vcc
	s_xor_b64 s[28:29], exec, s[28:29]
; %bb.14552:                            ;   in Loop: Header=BB6_13186 Depth=3
	v_cmp_lt_u64_e32 vcc, s[88:89], v[0:1]
	v_add_u32_e32 v2, 15, v14
	v_cndmask_b32_e32 v2, v13, v2, vcc
	v_cndmask_b32_e64 v13, 0, 1, vcc
	v_lshrrev_b64 v[0:1], v13, v[0:1]
; %bb.14553:                            ;   in Loop: Header=BB6_13186 Depth=3
	s_andn2_saveexec_b64 s[28:29], s[28:29]
; %bb.14554:                            ;   in Loop: Header=BB6_13186 Depth=3
	v_bfe_u32 v2, v0, 23, 1
; %bb.14555:                            ;   in Loop: Header=BB6_13186 Depth=3
	s_or_b64 exec, exec, s[28:29]
	v_lshrrev_b64 v[0:1], 21, v[0:1]
	v_cmp_gt_i32_e32 vcc, 32, v2
	v_cndmask_b32_e32 v1, 0, v1, vcc
	v_cndmask_b32_e32 v0, 3, v0, vcc
	v_cmp_eq_u64_e64 s[28:29], 0, v[0:1]
	v_min_i32_e32 v1, 31, v2
	v_lshlrev_b32_e32 v1, 2, v1
	v_cmp_eq_u32_e32 vcc, 0, v2
	v_and_b32_e32 v1, 0xfc, v1
	v_and_or_b32 v0, v0, 3, v1
	s_and_b64 s[28:29], vcc, s[28:29]
	v_cndmask_b32_e64 v0, v0, 0, s[28:29]
	v_or_b32_e32 v37, v0, v3
.LBB6_14556:                            ;   in Loop: Header=BB6_13186 Depth=3
	s_or_b64 exec, exec, s[36:37]
                                        ; implicit-def: $vgpr3
.LBB6_14557:                            ;   in Loop: Header=BB6_13186 Depth=3
	s_andn2_saveexec_b64 s[28:29], s[34:35]
; %bb.14558:                            ;   in Loop: Header=BB6_13186 Depth=3
	v_or_b32_e32 v37, 0x7b, v3
; %bb.14559:                            ;   in Loop: Header=BB6_13186 Depth=3
	s_or_b64 exec, exec, s[28:29]
                                        ; implicit-def: $vgpr2
                                        ; implicit-def: $vgpr0_vgpr1
.LBB6_14560:                            ;   in Loop: Header=BB6_13186 Depth=3
	s_andn2_saveexec_b64 s[28:29], s[30:31]
	s_cbranch_execz .LBB6_14566
; %bb.14561:                            ;   in Loop: Header=BB6_13186 Depth=3
	v_cmp_ne_u64_e32 vcc, 0, v[0:1]
                                        ; implicit-def: $vgpr37
	s_and_saveexec_b64 s[62:63], vcc
	s_xor_b64 vcc, exec, s[62:63]
; %bb.14562:                            ;   in Loop: Header=BB6_13186 Depth=3
	v_or_b32_sdwa v37, v2, s44 dst_sel:DWORD dst_unused:UNUSED_PAD src0_sel:BYTE_3 src1_sel:DWORD
                                        ; implicit-def: $vgpr2
; %bb.14563:                            ;   in Loop: Header=BB6_13186 Depth=3
	s_andn2_saveexec_b64 s[30:31], vcc
; %bb.14564:                            ;   in Loop: Header=BB6_13186 Depth=3
	v_cmp_lt_i32_e32 vcc, -1, v2
	v_bfrev_b32_e32 v0, 0.5
	v_mov_b32_e32 v1, 0x7c
	v_cndmask_b32_e32 v37, v0, v1, vcc
; %bb.14565:                            ;   in Loop: Header=BB6_13186 Depth=3
	s_or_b64 exec, exec, s[30:31]
.LBB6_14566:                            ;   in Loop: Header=BB6_13186 Depth=3
	s_or_b64 exec, exec, s[28:29]
	v_lshrrev_b16_e32 v0, 8, v8
	v_cmp_ne_u16_e32 vcc, 0, v0
	v_mov_b32_e32 v1, 0
	s_and_saveexec_b64 s[28:29], vcc
	s_cbranch_execz .LBB6_14574
; %bb.14567:                            ;   in Loop: Header=BB6_13186 Depth=3
	v_cmp_ne_u16_e32 vcc, s97, v0
	v_bfrev_b32_e32 v1, 1
	s_and_saveexec_b64 s[30:31], vcc
	s_cbranch_execz .LBB6_14573
; %bb.14568:                            ;   in Loop: Header=BB6_13186 Depth=3
	v_and_b32_e32 v1, 0x7c, v0
	v_and_b32_e32 v2, 3, v0
	v_cmp_ne_u32_e32 vcc, s86, v1
                                        ; implicit-def: $vgpr1
	s_and_saveexec_b64 s[62:63], vcc
	s_xor_b64 s[34:35], exec, s[62:63]
	s_cbranch_execz .LBB6_14570
; %bb.14569:                            ;   in Loop: Header=BB6_13186 Depth=3
	v_ffbh_u32_e32 v13, v2
	v_min_u32_e32 v13, 32, v13
	v_mov_b32_e32 v1, v33
	v_subrev_u32_e32 v14, 29, v13
	v_bfe_u32 v3, v0, 2, 5
	v_lshlrev_b64 v[0:1], v14, v[0:1]
	v_cmp_eq_u32_e32 vcc, 0, v3
	v_and_b32_e32 v0, 3, v0
	v_sub_u32_e32 v1, 30, v13
	v_cndmask_b32_e32 v0, v2, v0, vcc
	v_lshlrev_b32_e32 v2, 16, v8
	v_cndmask_b32_e32 v1, v3, v1, vcc
	v_and_b32_e32 v2, 0x80000000, v2
	v_lshl_add_u32 v1, v1, 23, v2
	v_lshl_or_b32 v0, v0, 21, v1
	v_add_u32_e32 v1, 0x38000000, v0
                                        ; implicit-def: $vgpr2
.LBB6_14570:                            ;   in Loop: Header=BB6_13186 Depth=3
	s_andn2_saveexec_b64 s[34:35], s[34:35]
; %bb.14571:                            ;   in Loop: Header=BB6_13186 Depth=3
	v_cmp_lt_i16_e32 vcc, -1, v8
	v_mov_b32_e32 v0, 0xff800000
	v_mov_b32_e32 v1, 0x7f800000
	v_cndmask_b32_e32 v0, v0, v1, vcc
	v_cmp_eq_u32_e32 vcc, 0, v2
	v_mov_b32_e32 v1, 0x7f800001
	v_cndmask_b32_e32 v1, v1, v0, vcc
; %bb.14572:                            ;   in Loop: Header=BB6_13186 Depth=3
	s_or_b64 exec, exec, s[34:35]
.LBB6_14573:                            ;   in Loop: Header=BB6_13186 Depth=3
	s_or_b64 exec, exec, s[30:31]
.LBB6_14574:                            ;   in Loop: Header=BB6_13186 Depth=3
	s_or_b64 exec, exec, s[28:29]
	v_mul_f32_e32 v2, v12, v1
	v_and_b32_e32 v13, 0x7f800000, v2
	v_mov_b32_e32 v14, v33
	v_cmp_ne_u64_e32 vcc, s[76:77], v[13:14]
	v_and_b32_e32 v0, 0x7fffff, v2
	v_mov_b32_e32 v1, v33
                                        ; implicit-def: $vgpr3
                                        ; kill: killed $vgpr3
	s_and_saveexec_b64 s[28:29], vcc
	s_xor_b64 s[30:31], exec, s[28:29]
	s_cbranch_execz .LBB6_14588
; %bb.14575:                            ;   in Loop: Header=BB6_13186 Depth=3
	v_and_b32_e32 v13, 0x7fffffff, v2
	v_mov_b32_e32 v14, v33
	v_cmp_gt_u64_e32 vcc, s[78:79], v[13:14]
	v_and_b32_sdwa v3, v2, s97 dst_sel:DWORD dst_unused:UNUSED_PAD src0_sel:BYTE_3 src1_sel:DWORD
                                        ; implicit-def: $vgpr7
                                        ; kill: killed $vgpr7
	s_and_saveexec_b64 s[28:29], vcc
	s_xor_b64 s[34:35], exec, s[28:29]
	s_cbranch_execz .LBB6_14585
; %bb.14576:                            ;   in Loop: Header=BB6_13186 Depth=3
	v_mov_b32_e32 v7, 0
	v_cmp_ne_u32_e32 vcc, 0, v2
	buffer_store_dword v7, off, s[0:3], s33 offset:180 ; 4-byte Folded Spill
	s_and_saveexec_b64 s[36:37], vcc
	s_cbranch_execz .LBB6_14584
; %bb.14577:                            ;   in Loop: Header=BB6_13186 Depth=3
	v_bfe_u32 v13, v2, 23, 8
	v_cmp_gt_u32_e64 s[28:29], s47, v13
	v_sub_u32_e32 v2, 0x71, v13
	v_cmp_eq_u32_e32 vcc, 0, v13
	v_cndmask_b32_e64 v2, 0, v2, s[28:29]
	v_mov_b32_e32 v14, 0x70
	v_cndmask_b32_e32 v14, v2, v14, vcc
	v_or_b32_e32 v15, 0x800000, v0
	v_add_u32_e32 v2, 21, v14
	v_cndmask_b32_e32 v0, v15, v0, vcc
	v_lshlrev_b64 v[15:16], v2, -1
	v_add_u32_e32 v2, 20, v14
	v_bfi_b32 v15, v15, 0, v0
	v_lshlrev_b64 v[17:18], v2, 1
	v_lshrrev_b64 v[0:1], v14, v[0:1]
	v_bfi_b32 v16, v16, 0, 0
	v_cmp_eq_u64_e64 s[28:29], v[15:16], v[17:18]
	v_mov_b32_e32 v2, v1
	v_mov_b32_e32 v1, v0
	s_and_saveexec_b64 s[38:39], s[28:29]
; %bb.14578:                            ;   in Loop: Header=BB6_13186 Depth=3
	v_bfe_u32 v1, v0, 21, 1
	v_add_co_u32_e64 v1, s[28:29], v0, v1
	v_add_co_u32_e64 v1, s[28:29], -1, v1
; %bb.14579:                            ;   in Loop: Header=BB6_13186 Depth=3
	s_or_b64 exec, exec, s[38:39]
	v_add_u32_e32 v2, 0xffffff81, v13
	v_mov_b32_e32 v13, 0xffffff82
	v_cndmask_b32_e32 v2, v2, v13, vcc
	v_lshrrev_b32_e32 v13, 23, v0
	v_add3_u32 v14, v14, v2, v13
	v_add_u32_e32 v13, 14, v14
	v_and_b32_e32 v1, 0x1fffff, v1
	v_add_u32_e32 v0, v1, v0
	v_mov_b32_e32 v1, v33
	v_cmp_ne_u32_e32 vcc, 0, v13
                                        ; implicit-def: $vgpr2
	s_and_saveexec_b64 s[28:29], vcc
	s_xor_b64 s[28:29], exec, s[28:29]
; %bb.14580:                            ;   in Loop: Header=BB6_13186 Depth=3
	v_cmp_lt_u64_e32 vcc, s[88:89], v[0:1]
	v_add_u32_e32 v2, 15, v14
	v_cndmask_b32_e32 v2, v13, v2, vcc
	v_cndmask_b32_e64 v13, 0, 1, vcc
	v_lshrrev_b64 v[0:1], v13, v[0:1]
; %bb.14581:                            ;   in Loop: Header=BB6_13186 Depth=3
	s_andn2_saveexec_b64 s[28:29], s[28:29]
; %bb.14582:                            ;   in Loop: Header=BB6_13186 Depth=3
	v_bfe_u32 v2, v0, 23, 1
; %bb.14583:                            ;   in Loop: Header=BB6_13186 Depth=3
	s_or_b64 exec, exec, s[28:29]
	v_lshrrev_b64 v[0:1], 21, v[0:1]
	v_cmp_gt_i32_e32 vcc, 32, v2
	v_cndmask_b32_e32 v1, 0, v1, vcc
	v_cndmask_b32_e32 v0, 3, v0, vcc
	v_cmp_eq_u64_e64 s[28:29], 0, v[0:1]
	v_min_i32_e32 v1, 31, v2
	v_lshlrev_b32_e32 v1, 2, v1
	v_cmp_eq_u32_e32 vcc, 0, v2
	v_and_b32_e32 v1, 0xfc, v1
	v_and_or_b32 v0, v0, 3, v1
	s_and_b64 s[28:29], vcc, s[28:29]
	v_cndmask_b32_e64 v0, v0, 0, s[28:29]
	v_or_b32_e32 v0, v0, v3
	buffer_store_dword v0, off, s[0:3], s33 offset:180 ; 4-byte Folded Spill
.LBB6_14584:                            ;   in Loop: Header=BB6_13186 Depth=3
	s_or_b64 exec, exec, s[36:37]
                                        ; implicit-def: $vgpr3
.LBB6_14585:                            ;   in Loop: Header=BB6_13186 Depth=3
	s_andn2_saveexec_b64 s[28:29], s[34:35]
	s_cbranch_execz .LBB6_14587
; %bb.14586:                            ;   in Loop: Header=BB6_13186 Depth=3
	v_or_b32_e32 v0, 0x7b, v3
	buffer_store_dword v0, off, s[0:3], s33 offset:180 ; 4-byte Folded Spill
.LBB6_14587:                            ;   in Loop: Header=BB6_13186 Depth=3
	s_or_b64 exec, exec, s[28:29]
                                        ; implicit-def: $vgpr2
                                        ; implicit-def: $vgpr0_vgpr1
.LBB6_14588:                            ;   in Loop: Header=BB6_13186 Depth=3
	s_andn2_saveexec_b64 s[28:29], s[30:31]
	s_cbranch_execz .LBB6_14594
; %bb.14589:                            ;   in Loop: Header=BB6_13186 Depth=3
	v_cmp_ne_u64_e32 vcc, 0, v[0:1]
                                        ; implicit-def: $vgpr0
                                        ; kill: killed $vgpr0
	s_and_saveexec_b64 s[62:63], vcc
	s_xor_b64 vcc, exec, s[62:63]
	s_cbranch_execz .LBB6_14591
; %bb.14590:                            ;   in Loop: Header=BB6_13186 Depth=3
	v_or_b32_sdwa v0, v2, s44 dst_sel:DWORD dst_unused:UNUSED_PAD src0_sel:BYTE_3 src1_sel:DWORD
	buffer_store_dword v0, off, s[0:3], s33 offset:180 ; 4-byte Folded Spill
                                        ; implicit-def: $vgpr2
.LBB6_14591:                            ;   in Loop: Header=BB6_13186 Depth=3
	s_andn2_saveexec_b64 s[30:31], vcc
	s_cbranch_execz .LBB6_14593
; %bb.14592:                            ;   in Loop: Header=BB6_13186 Depth=3
	v_cmp_lt_i32_e32 vcc, -1, v2
	v_bfrev_b32_e32 v0, 0.5
	v_mov_b32_e32 v1, 0x7c
	v_cndmask_b32_e32 v0, v0, v1, vcc
	buffer_store_dword v0, off, s[0:3], s33 offset:180 ; 4-byte Folded Spill
.LBB6_14593:                            ;   in Loop: Header=BB6_13186 Depth=3
	s_or_b64 exec, exec, s[30:31]
.LBB6_14594:                            ;   in Loop: Header=BB6_13186 Depth=3
	s_or_b64 exec, exec, s[28:29]
	v_lshrrev_b32_e32 v0, 16, v8
	v_cmp_ne_u16_sdwa s[62:63], v0, v33 src0_sel:BYTE_0 src1_sel:DWORD
	v_mov_b32_e32 v1, 0
	s_and_saveexec_b64 s[28:29], s[62:63]
	s_cbranch_execz .LBB6_14602
; %bb.14595:                            ;   in Loop: Header=BB6_13186 Depth=3
	v_cmp_ne_u16_sdwa s[62:63], v0, s97 src0_sel:BYTE_0 src1_sel:DWORD
	v_bfrev_b32_e32 v1, 1
	s_and_saveexec_b64 s[30:31], s[62:63]
	s_cbranch_execz .LBB6_14601
; %bb.14596:                            ;   in Loop: Header=BB6_13186 Depth=3
	v_and_b32_e32 v1, 0x7c0000, v8
	v_bfe_u32 v2, v8, 16, 2
	v_cmp_ne_u32_e32 vcc, s45, v1
                                        ; implicit-def: $vgpr1
	s_and_saveexec_b64 s[62:63], vcc
	s_xor_b64 s[34:35], exec, s[62:63]
	s_cbranch_execz .LBB6_14598
; %bb.14597:                            ;   in Loop: Header=BB6_13186 Depth=3
	v_ffbh_u32_e32 v1, v2
	v_min_u32_e32 v13, 32, v1
	v_subrev_u32_e32 v1, 29, v13
	v_lshlrev_b64 v[0:1], v1, v[0:1]
	v_bfe_u32 v3, v8, 18, 5
	v_and_b32_e32 v0, 3, v0
	v_cmp_eq_u32_e32 vcc, 0, v3
	v_sub_u32_e32 v1, 30, v13
	v_cndmask_b32_e32 v0, v2, v0, vcc
	v_lshlrev_b32_e32 v2, 8, v8
	v_cndmask_b32_e32 v1, v3, v1, vcc
	v_and_b32_e32 v2, 0x80000000, v2
	v_lshl_add_u32 v1, v1, 23, v2
	v_lshl_or_b32 v0, v0, 21, v1
	v_add_u32_e32 v1, 0x38000000, v0
                                        ; implicit-def: $vgpr2
                                        ; implicit-def: $vgpr0
.LBB6_14598:                            ;   in Loop: Header=BB6_13186 Depth=3
	s_andn2_saveexec_b64 s[34:35], s[34:35]
; %bb.14599:                            ;   in Loop: Header=BB6_13186 Depth=3
	v_mov_b32_e32 v1, -1
	v_cmp_gt_i16_sdwa vcc, sext(v0), v1 src0_sel:BYTE_0 src1_sel:DWORD
	v_mov_b32_e32 v0, 0xff800000
	v_mov_b32_e32 v1, 0x7f800000
	v_cndmask_b32_e32 v0, v0, v1, vcc
	v_cmp_eq_u32_e32 vcc, 0, v2
	v_mov_b32_e32 v1, 0x7f800001
	v_cndmask_b32_e32 v1, v1, v0, vcc
; %bb.14600:                            ;   in Loop: Header=BB6_13186 Depth=3
	s_or_b64 exec, exec, s[34:35]
.LBB6_14601:                            ;   in Loop: Header=BB6_13186 Depth=3
	s_or_b64 exec, exec, s[30:31]
.LBB6_14602:                            ;   in Loop: Header=BB6_13186 Depth=3
	s_or_b64 exec, exec, s[28:29]
	v_mul_f32_e32 v2, v12, v1
	v_and_b32_e32 v13, 0x7f800000, v2
	v_mov_b32_e32 v14, v33
	v_cmp_ne_u64_e32 vcc, s[76:77], v[13:14]
	v_and_b32_e32 v0, 0x7fffff, v2
	v_mov_b32_e32 v1, v33
                                        ; implicit-def: $vgpr3
                                        ; kill: killed $vgpr3
	s_and_saveexec_b64 s[28:29], vcc
	s_xor_b64 s[30:31], exec, s[28:29]
	s_cbranch_execz .LBB6_14616
; %bb.14603:                            ;   in Loop: Header=BB6_13186 Depth=3
	v_and_b32_e32 v13, 0x7fffffff, v2
	v_mov_b32_e32 v14, v33
	v_cmp_gt_u64_e32 vcc, s[78:79], v[13:14]
	v_and_b32_sdwa v3, v2, s97 dst_sel:DWORD dst_unused:UNUSED_PAD src0_sel:BYTE_3 src1_sel:DWORD
                                        ; implicit-def: $vgpr7
                                        ; kill: killed $vgpr7
	s_and_saveexec_b64 s[28:29], vcc
	s_xor_b64 s[34:35], exec, s[28:29]
	s_cbranch_execz .LBB6_14613
; %bb.14604:                            ;   in Loop: Header=BB6_13186 Depth=3
	v_mov_b32_e32 v7, 0
	v_cmp_ne_u32_e32 vcc, 0, v2
	buffer_store_dword v7, off, s[0:3], s33 offset:204 ; 4-byte Folded Spill
	s_and_saveexec_b64 s[36:37], vcc
	s_cbranch_execz .LBB6_14612
; %bb.14605:                            ;   in Loop: Header=BB6_13186 Depth=3
	v_bfe_u32 v13, v2, 23, 8
	v_cmp_gt_u32_e64 s[28:29], s47, v13
	v_sub_u32_e32 v2, 0x71, v13
	v_cmp_eq_u32_e32 vcc, 0, v13
	v_cndmask_b32_e64 v2, 0, v2, s[28:29]
	v_mov_b32_e32 v14, 0x70
	v_cndmask_b32_e32 v14, v2, v14, vcc
	v_or_b32_e32 v15, 0x800000, v0
	v_add_u32_e32 v2, 21, v14
	v_cndmask_b32_e32 v0, v15, v0, vcc
	v_lshlrev_b64 v[15:16], v2, -1
	v_add_u32_e32 v2, 20, v14
	v_bfi_b32 v15, v15, 0, v0
	v_lshlrev_b64 v[17:18], v2, 1
	v_lshrrev_b64 v[0:1], v14, v[0:1]
	v_bfi_b32 v16, v16, 0, 0
	v_cmp_eq_u64_e64 s[28:29], v[15:16], v[17:18]
	v_mov_b32_e32 v2, v1
	v_mov_b32_e32 v1, v0
	s_and_saveexec_b64 s[38:39], s[28:29]
; %bb.14606:                            ;   in Loop: Header=BB6_13186 Depth=3
	v_bfe_u32 v1, v0, 21, 1
	v_add_co_u32_e64 v1, s[28:29], v0, v1
	v_add_co_u32_e64 v1, s[28:29], -1, v1
; %bb.14607:                            ;   in Loop: Header=BB6_13186 Depth=3
	s_or_b64 exec, exec, s[38:39]
	v_add_u32_e32 v2, 0xffffff81, v13
	v_mov_b32_e32 v13, 0xffffff82
	v_cndmask_b32_e32 v2, v2, v13, vcc
	v_lshrrev_b32_e32 v13, 23, v0
	v_add3_u32 v14, v14, v2, v13
	v_add_u32_e32 v13, 14, v14
	v_and_b32_e32 v1, 0x1fffff, v1
	v_add_u32_e32 v0, v1, v0
	v_mov_b32_e32 v1, v33
	v_cmp_ne_u32_e32 vcc, 0, v13
                                        ; implicit-def: $vgpr2
	s_and_saveexec_b64 s[28:29], vcc
	s_xor_b64 s[28:29], exec, s[28:29]
; %bb.14608:                            ;   in Loop: Header=BB6_13186 Depth=3
	v_cmp_lt_u64_e32 vcc, s[88:89], v[0:1]
	v_add_u32_e32 v2, 15, v14
	v_cndmask_b32_e32 v2, v13, v2, vcc
	v_cndmask_b32_e64 v13, 0, 1, vcc
	v_lshrrev_b64 v[0:1], v13, v[0:1]
; %bb.14609:                            ;   in Loop: Header=BB6_13186 Depth=3
	s_andn2_saveexec_b64 s[28:29], s[28:29]
; %bb.14610:                            ;   in Loop: Header=BB6_13186 Depth=3
	v_bfe_u32 v2, v0, 23, 1
; %bb.14611:                            ;   in Loop: Header=BB6_13186 Depth=3
	s_or_b64 exec, exec, s[28:29]
	v_lshrrev_b64 v[0:1], 21, v[0:1]
	v_cmp_gt_i32_e32 vcc, 32, v2
	v_cndmask_b32_e32 v1, 0, v1, vcc
	v_cndmask_b32_e32 v0, 3, v0, vcc
	v_cmp_eq_u64_e64 s[28:29], 0, v[0:1]
	v_min_i32_e32 v1, 31, v2
	v_lshlrev_b32_e32 v1, 2, v1
	v_cmp_eq_u32_e32 vcc, 0, v2
	v_and_b32_e32 v1, 0xfc, v1
	v_and_or_b32 v0, v0, 3, v1
	s_and_b64 s[28:29], vcc, s[28:29]
	v_cndmask_b32_e64 v0, v0, 0, s[28:29]
	v_or_b32_e32 v0, v0, v3
	buffer_store_dword v0, off, s[0:3], s33 offset:204 ; 4-byte Folded Spill
.LBB6_14612:                            ;   in Loop: Header=BB6_13186 Depth=3
	s_or_b64 exec, exec, s[36:37]
                                        ; implicit-def: $vgpr3
.LBB6_14613:                            ;   in Loop: Header=BB6_13186 Depth=3
	s_andn2_saveexec_b64 s[28:29], s[34:35]
	s_cbranch_execz .LBB6_14615
; %bb.14614:                            ;   in Loop: Header=BB6_13186 Depth=3
	v_or_b32_e32 v0, 0x7b, v3
	buffer_store_dword v0, off, s[0:3], s33 offset:204 ; 4-byte Folded Spill
.LBB6_14615:                            ;   in Loop: Header=BB6_13186 Depth=3
	s_or_b64 exec, exec, s[28:29]
                                        ; implicit-def: $vgpr2
                                        ; implicit-def: $vgpr0_vgpr1
.LBB6_14616:                            ;   in Loop: Header=BB6_13186 Depth=3
	s_andn2_saveexec_b64 s[28:29], s[30:31]
	s_cbranch_execz .LBB6_14622
; %bb.14617:                            ;   in Loop: Header=BB6_13186 Depth=3
	v_cmp_ne_u64_e32 vcc, 0, v[0:1]
                                        ; implicit-def: $vgpr0
                                        ; kill: killed $vgpr0
	s_and_saveexec_b64 s[62:63], vcc
	s_xor_b64 vcc, exec, s[62:63]
	s_cbranch_execz .LBB6_14619
; %bb.14618:                            ;   in Loop: Header=BB6_13186 Depth=3
	v_or_b32_sdwa v0, v2, s44 dst_sel:DWORD dst_unused:UNUSED_PAD src0_sel:BYTE_3 src1_sel:DWORD
	buffer_store_dword v0, off, s[0:3], s33 offset:204 ; 4-byte Folded Spill
                                        ; implicit-def: $vgpr2
.LBB6_14619:                            ;   in Loop: Header=BB6_13186 Depth=3
	s_andn2_saveexec_b64 s[30:31], vcc
	s_cbranch_execz .LBB6_14621
; %bb.14620:                            ;   in Loop: Header=BB6_13186 Depth=3
	v_cmp_lt_i32_e32 vcc, -1, v2
	v_bfrev_b32_e32 v0, 0.5
	v_mov_b32_e32 v1, 0x7c
	v_cndmask_b32_e32 v0, v0, v1, vcc
	buffer_store_dword v0, off, s[0:3], s33 offset:204 ; 4-byte Folded Spill
.LBB6_14621:                            ;   in Loop: Header=BB6_13186 Depth=3
	s_or_b64 exec, exec, s[30:31]
.LBB6_14622:                            ;   in Loop: Header=BB6_13186 Depth=3
	s_or_b64 exec, exec, s[28:29]
	v_cmp_lt_u32_e32 vcc, s57, v8
	v_mov_b32_e32 v1, 0
	s_and_saveexec_b64 s[28:29], vcc
	s_cbranch_execz .LBB6_14630
; %bb.14623:                            ;   in Loop: Header=BB6_13186 Depth=3
	v_lshrrev_b32_e32 v0, 24, v8
	v_cmp_ne_u32_e32 vcc, s97, v0
	v_bfrev_b32_e32 v1, 1
	s_and_saveexec_b64 s[30:31], vcc
	s_cbranch_execz .LBB6_14629
; %bb.14624:                            ;   in Loop: Header=BB6_13186 Depth=3
	v_and_b32_e32 v1, 0x7c000000, v8
	v_bfe_u32 v2, v8, 24, 2
	v_cmp_ne_u32_e32 vcc, s68, v1
                                        ; implicit-def: $vgpr1
	s_and_saveexec_b64 s[62:63], vcc
	s_xor_b64 s[34:35], exec, s[62:63]
	s_cbranch_execz .LBB6_14626
; %bb.14625:                            ;   in Loop: Header=BB6_13186 Depth=3
	v_ffbh_u32_e32 v1, v2
	v_min_u32_e32 v13, 32, v1
	v_subrev_u32_e32 v1, 29, v13
	v_lshlrev_b64 v[0:1], v1, v[0:1]
	v_bfe_u32 v3, v8, 26, 5
	v_sub_u32_e32 v1, 30, v13
	v_and_b32_e32 v0, 3, v0
	v_cmp_eq_u32_e32 vcc, 0, v3
	v_cndmask_b32_e32 v1, v3, v1, vcc
	v_cndmask_b32_e32 v0, v2, v0, vcc
	v_and_b32_e32 v2, 0x80000000, v8
	v_lshl_add_u32 v1, v1, 23, v2
	v_lshl_or_b32 v0, v0, 21, v1
	v_add_u32_e32 v1, 0x38000000, v0
                                        ; implicit-def: $vgpr2
.LBB6_14626:                            ;   in Loop: Header=BB6_13186 Depth=3
	s_andn2_saveexec_b64 s[34:35], s[34:35]
; %bb.14627:                            ;   in Loop: Header=BB6_13186 Depth=3
	v_cmp_lt_i32_e32 vcc, -1, v8
	v_mov_b32_e32 v0, 0xff800000
	v_mov_b32_e32 v1, 0x7f800000
	v_cndmask_b32_e32 v0, v0, v1, vcc
	v_cmp_eq_u32_e32 vcc, 0, v2
	v_mov_b32_e32 v1, 0x7f800001
	v_cndmask_b32_e32 v1, v1, v0, vcc
; %bb.14628:                            ;   in Loop: Header=BB6_13186 Depth=3
	s_or_b64 exec, exec, s[34:35]
.LBB6_14629:                            ;   in Loop: Header=BB6_13186 Depth=3
	s_or_b64 exec, exec, s[30:31]
.LBB6_14630:                            ;   in Loop: Header=BB6_13186 Depth=3
	s_or_b64 exec, exec, s[28:29]
	v_mul_f32_e32 v2, v12, v1
	v_and_b32_e32 v13, 0x7f800000, v2
	v_mov_b32_e32 v14, v33
	v_cmp_ne_u64_e32 vcc, s[76:77], v[13:14]
	v_and_b32_e32 v0, 0x7fffff, v2
	v_mov_b32_e32 v1, v33
                                        ; implicit-def: $vgpr3
                                        ; kill: killed $vgpr3
	s_and_saveexec_b64 s[28:29], vcc
	s_xor_b64 s[30:31], exec, s[28:29]
	s_cbranch_execz .LBB6_14644
; %bb.14631:                            ;   in Loop: Header=BB6_13186 Depth=3
	v_and_b32_e32 v13, 0x7fffffff, v2
	v_mov_b32_e32 v14, v33
	v_cmp_gt_u64_e32 vcc, s[78:79], v[13:14]
	v_and_b32_sdwa v3, v2, s97 dst_sel:DWORD dst_unused:UNUSED_PAD src0_sel:BYTE_3 src1_sel:DWORD
                                        ; implicit-def: $vgpr7
                                        ; kill: killed $vgpr7
	s_and_saveexec_b64 s[28:29], vcc
	s_xor_b64 s[34:35], exec, s[28:29]
	s_cbranch_execz .LBB6_14641
; %bb.14632:                            ;   in Loop: Header=BB6_13186 Depth=3
	v_mov_b32_e32 v7, 0
	v_cmp_ne_u32_e32 vcc, 0, v2
	buffer_store_dword v7, off, s[0:3], s33 offset:228 ; 4-byte Folded Spill
	s_and_saveexec_b64 s[36:37], vcc
	s_cbranch_execz .LBB6_14640
; %bb.14633:                            ;   in Loop: Header=BB6_13186 Depth=3
	v_bfe_u32 v13, v2, 23, 8
	v_cmp_gt_u32_e64 s[28:29], s47, v13
	v_sub_u32_e32 v2, 0x71, v13
	v_cmp_eq_u32_e32 vcc, 0, v13
	v_cndmask_b32_e64 v2, 0, v2, s[28:29]
	v_mov_b32_e32 v14, 0x70
	v_cndmask_b32_e32 v14, v2, v14, vcc
	v_or_b32_e32 v15, 0x800000, v0
	v_add_u32_e32 v2, 21, v14
	v_cndmask_b32_e32 v0, v15, v0, vcc
	v_lshlrev_b64 v[15:16], v2, -1
	v_add_u32_e32 v2, 20, v14
	v_bfi_b32 v15, v15, 0, v0
	v_lshlrev_b64 v[17:18], v2, 1
	v_lshrrev_b64 v[0:1], v14, v[0:1]
	v_bfi_b32 v16, v16, 0, 0
	v_cmp_eq_u64_e64 s[28:29], v[15:16], v[17:18]
	v_mov_b32_e32 v2, v1
	v_mov_b32_e32 v1, v0
	s_and_saveexec_b64 s[38:39], s[28:29]
; %bb.14634:                            ;   in Loop: Header=BB6_13186 Depth=3
	v_bfe_u32 v1, v0, 21, 1
	v_add_co_u32_e64 v1, s[28:29], v0, v1
	v_add_co_u32_e64 v1, s[28:29], -1, v1
; %bb.14635:                            ;   in Loop: Header=BB6_13186 Depth=3
	s_or_b64 exec, exec, s[38:39]
	v_add_u32_e32 v2, 0xffffff81, v13
	v_mov_b32_e32 v13, 0xffffff82
	v_cndmask_b32_e32 v2, v2, v13, vcc
	v_lshrrev_b32_e32 v13, 23, v0
	v_add3_u32 v14, v14, v2, v13
	v_add_u32_e32 v13, 14, v14
	v_and_b32_e32 v1, 0x1fffff, v1
	v_add_u32_e32 v0, v1, v0
	v_mov_b32_e32 v1, v33
	v_cmp_ne_u32_e32 vcc, 0, v13
                                        ; implicit-def: $vgpr2
	s_and_saveexec_b64 s[28:29], vcc
	s_xor_b64 s[28:29], exec, s[28:29]
; %bb.14636:                            ;   in Loop: Header=BB6_13186 Depth=3
	v_cmp_lt_u64_e32 vcc, s[88:89], v[0:1]
	v_add_u32_e32 v2, 15, v14
	v_cndmask_b32_e32 v2, v13, v2, vcc
	v_cndmask_b32_e64 v13, 0, 1, vcc
	v_lshrrev_b64 v[0:1], v13, v[0:1]
; %bb.14637:                            ;   in Loop: Header=BB6_13186 Depth=3
	s_andn2_saveexec_b64 s[28:29], s[28:29]
; %bb.14638:                            ;   in Loop: Header=BB6_13186 Depth=3
	v_bfe_u32 v2, v0, 23, 1
; %bb.14639:                            ;   in Loop: Header=BB6_13186 Depth=3
	s_or_b64 exec, exec, s[28:29]
	v_lshrrev_b64 v[0:1], 21, v[0:1]
	v_cmp_gt_i32_e32 vcc, 32, v2
	v_cndmask_b32_e32 v1, 0, v1, vcc
	v_cndmask_b32_e32 v0, 3, v0, vcc
	v_cmp_eq_u64_e64 s[28:29], 0, v[0:1]
	v_min_i32_e32 v1, 31, v2
	v_lshlrev_b32_e32 v1, 2, v1
	v_cmp_eq_u32_e32 vcc, 0, v2
	v_and_b32_e32 v1, 0xfc, v1
	v_and_or_b32 v0, v0, 3, v1
	s_and_b64 s[28:29], vcc, s[28:29]
	v_cndmask_b32_e64 v0, v0, 0, s[28:29]
	v_or_b32_e32 v0, v0, v3
	buffer_store_dword v0, off, s[0:3], s33 offset:228 ; 4-byte Folded Spill
.LBB6_14640:                            ;   in Loop: Header=BB6_13186 Depth=3
	s_or_b64 exec, exec, s[36:37]
                                        ; implicit-def: $vgpr3
.LBB6_14641:                            ;   in Loop: Header=BB6_13186 Depth=3
	s_andn2_saveexec_b64 s[28:29], s[34:35]
	s_cbranch_execz .LBB6_14643
; %bb.14642:                            ;   in Loop: Header=BB6_13186 Depth=3
	v_or_b32_e32 v0, 0x7b, v3
	buffer_store_dword v0, off, s[0:3], s33 offset:228 ; 4-byte Folded Spill
.LBB6_14643:                            ;   in Loop: Header=BB6_13186 Depth=3
	s_or_b64 exec, exec, s[28:29]
                                        ; implicit-def: $vgpr2
                                        ; implicit-def: $vgpr0_vgpr1
.LBB6_14644:                            ;   in Loop: Header=BB6_13186 Depth=3
	s_andn2_saveexec_b64 s[28:29], s[30:31]
	s_cbranch_execz .LBB6_14650
; %bb.14645:                            ;   in Loop: Header=BB6_13186 Depth=3
	v_cmp_ne_u64_e32 vcc, 0, v[0:1]
                                        ; implicit-def: $vgpr0
                                        ; kill: killed $vgpr0
	s_and_saveexec_b64 s[62:63], vcc
	s_xor_b64 vcc, exec, s[62:63]
	s_cbranch_execz .LBB6_14647
; %bb.14646:                            ;   in Loop: Header=BB6_13186 Depth=3
	v_or_b32_sdwa v0, v2, s44 dst_sel:DWORD dst_unused:UNUSED_PAD src0_sel:BYTE_3 src1_sel:DWORD
	buffer_store_dword v0, off, s[0:3], s33 offset:228 ; 4-byte Folded Spill
                                        ; implicit-def: $vgpr2
.LBB6_14647:                            ;   in Loop: Header=BB6_13186 Depth=3
	s_andn2_saveexec_b64 s[30:31], vcc
	s_cbranch_execz .LBB6_14649
; %bb.14648:                            ;   in Loop: Header=BB6_13186 Depth=3
	v_cmp_lt_i32_e32 vcc, -1, v2
	v_bfrev_b32_e32 v0, 0.5
	v_mov_b32_e32 v1, 0x7c
	v_cndmask_b32_e32 v0, v0, v1, vcc
	buffer_store_dword v0, off, s[0:3], s33 offset:228 ; 4-byte Folded Spill
.LBB6_14649:                            ;   in Loop: Header=BB6_13186 Depth=3
	s_or_b64 exec, exec, s[30:31]
.LBB6_14650:                            ;   in Loop: Header=BB6_13186 Depth=3
	s_or_b64 exec, exec, s[28:29]
	v_mov_b32_e32 v0, v9
	v_mov_b32_e32 v1, v33
	v_cmp_ne_u16_sdwa s[62:63], v9, v33 src0_sel:BYTE_0 src1_sel:DWORD
	v_mov_b32_e32 v2, 0
	s_and_saveexec_b64 s[28:29], s[62:63]
	s_cbranch_execz .LBB6_14658
; %bb.14651:                            ;   in Loop: Header=BB6_13186 Depth=3
	v_cmp_ne_u16_sdwa s[62:63], v9, s97 src0_sel:BYTE_0 src1_sel:DWORD
	v_bfrev_b32_e32 v2, 1
	s_and_saveexec_b64 s[30:31], s[62:63]
	s_cbranch_execz .LBB6_14657
; %bb.14652:                            ;   in Loop: Header=BB6_13186 Depth=3
	v_and_b32_e32 v2, 0x7c, v9
	v_and_b32_e32 v3, 3, v9
	v_cmp_ne_u32_e32 vcc, s86, v2
                                        ; implicit-def: $vgpr2
	s_and_saveexec_b64 s[62:63], vcc
	s_xor_b64 s[34:35], exec, s[62:63]
	s_cbranch_execz .LBB6_14654
; %bb.14653:                            ;   in Loop: Header=BB6_13186 Depth=3
	v_ffbh_u32_e32 v2, v3
	v_min_u32_e32 v14, 32, v2
	v_subrev_u32_e32 v2, 29, v14
	v_lshlrev_b64 v[1:2], v2, v[0:1]
	v_bfe_u32 v13, v9, 2, 5
	v_and_b32_e32 v1, 3, v1
	v_cmp_eq_u32_e32 vcc, 0, v13
	v_sub_u32_e32 v2, 30, v14
	v_cndmask_b32_e32 v1, v3, v1, vcc
	v_lshlrev_b32_e32 v3, 24, v9
	v_cndmask_b32_e32 v2, v13, v2, vcc
	v_and_b32_e32 v3, 0x80000000, v3
	v_lshl_add_u32 v2, v2, 23, v3
	v_lshl_or_b32 v1, v1, 21, v2
	v_add_u32_e32 v2, 0x38000000, v1
                                        ; implicit-def: $vgpr3
.LBB6_14654:                            ;   in Loop: Header=BB6_13186 Depth=3
	s_andn2_saveexec_b64 s[34:35], s[34:35]
; %bb.14655:                            ;   in Loop: Header=BB6_13186 Depth=3
	v_mov_b32_e32 v1, -1
	v_cmp_gt_i16_sdwa vcc, sext(v9), v1 src0_sel:BYTE_0 src1_sel:DWORD
	v_mov_b32_e32 v1, 0xff800000
	v_mov_b32_e32 v2, 0x7f800000
	v_cndmask_b32_e32 v1, v1, v2, vcc
	v_cmp_eq_u32_e32 vcc, 0, v3
	v_mov_b32_e32 v2, 0x7f800001
	v_cndmask_b32_e32 v2, v2, v1, vcc
; %bb.14656:                            ;   in Loop: Header=BB6_13186 Depth=3
	s_or_b64 exec, exec, s[34:35]
.LBB6_14657:                            ;   in Loop: Header=BB6_13186 Depth=3
	s_or_b64 exec, exec, s[30:31]
.LBB6_14658:                            ;   in Loop: Header=BB6_13186 Depth=3
	s_or_b64 exec, exec, s[28:29]
	v_mul_f32_e32 v3, v12, v2
	v_and_b32_e32 v13, 0x7f800000, v3
	v_mov_b32_e32 v14, v33
	v_cmp_ne_u64_e32 vcc, s[76:77], v[13:14]
	v_and_b32_e32 v1, 0x7fffff, v3
	v_mov_b32_e32 v2, v33
                                        ; implicit-def: $vgpr34
	s_and_saveexec_b64 s[28:29], vcc
	s_xor_b64 s[30:31], exec, s[28:29]
	s_cbranch_execz .LBB6_14672
; %bb.14659:                            ;   in Loop: Header=BB6_13186 Depth=3
	v_and_b32_e32 v13, 0x7fffffff, v3
	v_mov_b32_e32 v14, v33
	v_cmp_gt_u64_e32 vcc, s[78:79], v[13:14]
	v_and_b32_sdwa v13, v3, s97 dst_sel:DWORD dst_unused:UNUSED_PAD src0_sel:BYTE_3 src1_sel:DWORD
                                        ; implicit-def: $vgpr34
	s_and_saveexec_b64 s[28:29], vcc
	s_xor_b64 s[34:35], exec, s[28:29]
	s_cbranch_execz .LBB6_14669
; %bb.14660:                            ;   in Loop: Header=BB6_13186 Depth=3
	v_mov_b32_e32 v34, 0
	v_cmp_ne_u32_e32 vcc, 0, v3
	s_and_saveexec_b64 s[36:37], vcc
	s_cbranch_execz .LBB6_14668
; %bb.14661:                            ;   in Loop: Header=BB6_13186 Depth=3
	v_bfe_u32 v14, v3, 23, 8
	v_cmp_gt_u32_e64 s[28:29], s47, v14
	v_sub_u32_e32 v3, 0x71, v14
	v_cmp_eq_u32_e32 vcc, 0, v14
	v_cndmask_b32_e64 v3, 0, v3, s[28:29]
	v_mov_b32_e32 v15, 0x70
	v_cndmask_b32_e32 v15, v3, v15, vcc
	v_or_b32_e32 v16, 0x800000, v1
	v_add_u32_e32 v3, 21, v15
	v_cndmask_b32_e32 v1, v16, v1, vcc
	v_lshlrev_b64 v[16:17], v3, -1
	v_add_u32_e32 v3, 20, v15
	v_bfi_b32 v16, v16, 0, v1
	v_lshlrev_b64 v[18:19], v3, 1
	v_lshrrev_b64 v[1:2], v15, v[1:2]
	v_bfi_b32 v17, v17, 0, 0
	v_cmp_eq_u64_e64 s[28:29], v[16:17], v[18:19]
	v_mov_b32_e32 v3, v2
	v_mov_b32_e32 v2, v1
	s_and_saveexec_b64 s[38:39], s[28:29]
; %bb.14662:                            ;   in Loop: Header=BB6_13186 Depth=3
	v_bfe_u32 v2, v1, 21, 1
	v_add_co_u32_e64 v2, s[28:29], v1, v2
	v_add_co_u32_e64 v2, s[28:29], -1, v2
; %bb.14663:                            ;   in Loop: Header=BB6_13186 Depth=3
	s_or_b64 exec, exec, s[38:39]
	v_add_u32_e32 v3, 0xffffff81, v14
	v_mov_b32_e32 v14, 0xffffff82
	v_cndmask_b32_e32 v3, v3, v14, vcc
	v_lshrrev_b32_e32 v14, 23, v1
	v_add3_u32 v15, v15, v3, v14
	v_add_u32_e32 v14, 14, v15
	v_and_b32_e32 v2, 0x1fffff, v2
	v_add_u32_e32 v1, v2, v1
	v_mov_b32_e32 v2, v33
	v_cmp_ne_u32_e32 vcc, 0, v14
                                        ; implicit-def: $vgpr3
	s_and_saveexec_b64 s[28:29], vcc
	s_xor_b64 s[28:29], exec, s[28:29]
; %bb.14664:                            ;   in Loop: Header=BB6_13186 Depth=3
	v_cmp_lt_u64_e32 vcc, s[88:89], v[1:2]
	v_add_u32_e32 v3, 15, v15
	v_cndmask_b32_e32 v3, v14, v3, vcc
	v_cndmask_b32_e64 v14, 0, 1, vcc
	v_lshrrev_b64 v[1:2], v14, v[1:2]
; %bb.14665:                            ;   in Loop: Header=BB6_13186 Depth=3
	s_andn2_saveexec_b64 s[28:29], s[28:29]
; %bb.14666:                            ;   in Loop: Header=BB6_13186 Depth=3
	v_bfe_u32 v3, v1, 23, 1
; %bb.14667:                            ;   in Loop: Header=BB6_13186 Depth=3
	s_or_b64 exec, exec, s[28:29]
	v_lshrrev_b64 v[1:2], 21, v[1:2]
	v_cmp_gt_i32_e32 vcc, 32, v3
	v_cndmask_b32_e32 v2, 0, v2, vcc
	v_cndmask_b32_e32 v1, 3, v1, vcc
	v_cmp_eq_u64_e64 s[28:29], 0, v[1:2]
	v_min_i32_e32 v2, 31, v3
	v_lshlrev_b32_e32 v2, 2, v2
	v_cmp_eq_u32_e32 vcc, 0, v3
	v_and_b32_e32 v2, 0xfc, v2
	v_and_or_b32 v1, v1, 3, v2
	s_and_b64 s[28:29], vcc, s[28:29]
	v_cndmask_b32_e64 v1, v1, 0, s[28:29]
	v_or_b32_e32 v34, v1, v13
.LBB6_14668:                            ;   in Loop: Header=BB6_13186 Depth=3
	s_or_b64 exec, exec, s[36:37]
                                        ; implicit-def: $vgpr13
.LBB6_14669:                            ;   in Loop: Header=BB6_13186 Depth=3
	s_andn2_saveexec_b64 s[28:29], s[34:35]
; %bb.14670:                            ;   in Loop: Header=BB6_13186 Depth=3
	v_or_b32_e32 v34, 0x7b, v13
; %bb.14671:                            ;   in Loop: Header=BB6_13186 Depth=3
	s_or_b64 exec, exec, s[28:29]
                                        ; implicit-def: $vgpr3
                                        ; implicit-def: $vgpr1_vgpr2
.LBB6_14672:                            ;   in Loop: Header=BB6_13186 Depth=3
	s_andn2_saveexec_b64 s[28:29], s[30:31]
	s_cbranch_execz .LBB6_14678
; %bb.14673:                            ;   in Loop: Header=BB6_13186 Depth=3
	v_cmp_ne_u64_e32 vcc, 0, v[1:2]
                                        ; implicit-def: $vgpr34
	s_and_saveexec_b64 s[62:63], vcc
	s_xor_b64 vcc, exec, s[62:63]
; %bb.14674:                            ;   in Loop: Header=BB6_13186 Depth=3
	v_or_b32_sdwa v34, v3, s44 dst_sel:DWORD dst_unused:UNUSED_PAD src0_sel:BYTE_3 src1_sel:DWORD
                                        ; implicit-def: $vgpr3
; %bb.14675:                            ;   in Loop: Header=BB6_13186 Depth=3
	s_andn2_saveexec_b64 s[30:31], vcc
; %bb.14676:                            ;   in Loop: Header=BB6_13186 Depth=3
	v_cmp_lt_i32_e32 vcc, -1, v3
	v_bfrev_b32_e32 v1, 0.5
	v_mov_b32_e32 v2, 0x7c
	v_cndmask_b32_e32 v34, v1, v2, vcc
; %bb.14677:                            ;   in Loop: Header=BB6_13186 Depth=3
	s_or_b64 exec, exec, s[30:31]
.LBB6_14678:                            ;   in Loop: Header=BB6_13186 Depth=3
	s_or_b64 exec, exec, s[28:29]
	v_lshrrev_b16_e32 v1, 8, v0
	v_cmp_ne_u16_e32 vcc, 0, v1
	v_mov_b32_e32 v2, 0
	s_and_saveexec_b64 s[28:29], vcc
	s_cbranch_execz .LBB6_14686
; %bb.14679:                            ;   in Loop: Header=BB6_13186 Depth=3
	v_cmp_ne_u16_e32 vcc, s97, v1
	v_bfrev_b32_e32 v2, 1
	s_and_saveexec_b64 s[30:31], vcc
	s_cbranch_execz .LBB6_14685
; %bb.14680:                            ;   in Loop: Header=BB6_13186 Depth=3
	v_and_b32_e32 v2, 0x7c, v1
	v_and_b32_e32 v3, 3, v1
	v_cmp_ne_u32_e32 vcc, s86, v2
                                        ; implicit-def: $vgpr2
	s_and_saveexec_b64 s[62:63], vcc
	s_xor_b64 s[34:35], exec, s[62:63]
	s_cbranch_execz .LBB6_14682
; %bb.14681:                            ;   in Loop: Header=BB6_13186 Depth=3
	v_ffbh_u32_e32 v14, v3
	v_min_u32_e32 v14, 32, v14
	v_mov_b32_e32 v2, v33
	v_subrev_u32_e32 v15, 29, v14
	v_bfe_u32 v13, v1, 2, 5
	v_lshlrev_b64 v[1:2], v15, v[1:2]
	v_sub_u32_e32 v2, 30, v14
	v_cmp_eq_u32_e32 vcc, 0, v13
	v_lshlrev_b32_e32 v0, 16, v0
	v_and_b32_e32 v1, 3, v1
	v_cndmask_b32_e32 v2, v13, v2, vcc
	v_and_b32_e32 v0, 0x80000000, v0
	v_cndmask_b32_e32 v1, v3, v1, vcc
	v_lshl_add_u32 v0, v2, 23, v0
	v_lshl_or_b32 v0, v1, 21, v0
	v_add_u32_e32 v2, 0x38000000, v0
                                        ; implicit-def: $vgpr3
                                        ; implicit-def: $vgpr0_vgpr1
.LBB6_14682:                            ;   in Loop: Header=BB6_13186 Depth=3
	s_andn2_saveexec_b64 s[34:35], s[34:35]
; %bb.14683:                            ;   in Loop: Header=BB6_13186 Depth=3
	v_cmp_lt_i16_e32 vcc, -1, v0
	v_mov_b32_e32 v0, 0xff800000
	v_mov_b32_e32 v1, 0x7f800000
	v_cndmask_b32_e32 v0, v0, v1, vcc
	v_cmp_eq_u32_e32 vcc, 0, v3
	v_mov_b32_e32 v1, 0x7f800001
	v_cndmask_b32_e32 v2, v1, v0, vcc
; %bb.14684:                            ;   in Loop: Header=BB6_13186 Depth=3
	s_or_b64 exec, exec, s[34:35]
.LBB6_14685:                            ;   in Loop: Header=BB6_13186 Depth=3
	s_or_b64 exec, exec, s[30:31]
.LBB6_14686:                            ;   in Loop: Header=BB6_13186 Depth=3
	s_or_b64 exec, exec, s[28:29]
	v_mul_f32_e32 v2, v12, v2
	v_and_b32_e32 v13, 0x7f800000, v2
	v_mov_b32_e32 v14, v33
	v_cmp_ne_u64_e32 vcc, s[76:77], v[13:14]
	v_and_b32_e32 v0, 0x7fffff, v2
	v_mov_b32_e32 v1, v33
                                        ; implicit-def: $vgpr59
	s_and_saveexec_b64 s[28:29], vcc
	s_xor_b64 s[30:31], exec, s[28:29]
	s_cbranch_execz .LBB6_14700
; %bb.14687:                            ;   in Loop: Header=BB6_13186 Depth=3
	v_and_b32_e32 v13, 0x7fffffff, v2
	v_mov_b32_e32 v14, v33
	v_cmp_gt_u64_e32 vcc, s[78:79], v[13:14]
	v_and_b32_sdwa v3, v2, s97 dst_sel:DWORD dst_unused:UNUSED_PAD src0_sel:BYTE_3 src1_sel:DWORD
                                        ; implicit-def: $vgpr59
	s_and_saveexec_b64 s[28:29], vcc
	s_xor_b64 s[34:35], exec, s[28:29]
	s_cbranch_execz .LBB6_14697
; %bb.14688:                            ;   in Loop: Header=BB6_13186 Depth=3
	v_mov_b32_e32 v59, 0
	v_cmp_ne_u32_e32 vcc, 0, v2
	s_and_saveexec_b64 s[36:37], vcc
	s_cbranch_execz .LBB6_14696
; %bb.14689:                            ;   in Loop: Header=BB6_13186 Depth=3
	v_bfe_u32 v13, v2, 23, 8
	v_cmp_gt_u32_e64 s[28:29], s47, v13
	v_sub_u32_e32 v2, 0x71, v13
	v_cmp_eq_u32_e32 vcc, 0, v13
	v_cndmask_b32_e64 v2, 0, v2, s[28:29]
	v_mov_b32_e32 v14, 0x70
	v_cndmask_b32_e32 v14, v2, v14, vcc
	v_or_b32_e32 v15, 0x800000, v0
	v_add_u32_e32 v2, 21, v14
	v_cndmask_b32_e32 v0, v15, v0, vcc
	v_lshlrev_b64 v[15:16], v2, -1
	v_add_u32_e32 v2, 20, v14
	v_bfi_b32 v15, v15, 0, v0
	v_lshlrev_b64 v[17:18], v2, 1
	v_lshrrev_b64 v[0:1], v14, v[0:1]
	v_bfi_b32 v16, v16, 0, 0
	v_cmp_eq_u64_e64 s[28:29], v[15:16], v[17:18]
	v_mov_b32_e32 v2, v1
	v_mov_b32_e32 v1, v0
	s_and_saveexec_b64 s[38:39], s[28:29]
; %bb.14690:                            ;   in Loop: Header=BB6_13186 Depth=3
	v_bfe_u32 v1, v0, 21, 1
	v_add_co_u32_e64 v1, s[28:29], v0, v1
	v_add_co_u32_e64 v1, s[28:29], -1, v1
; %bb.14691:                            ;   in Loop: Header=BB6_13186 Depth=3
	s_or_b64 exec, exec, s[38:39]
	v_add_u32_e32 v2, 0xffffff81, v13
	v_mov_b32_e32 v13, 0xffffff82
	v_cndmask_b32_e32 v2, v2, v13, vcc
	v_lshrrev_b32_e32 v13, 23, v0
	v_add3_u32 v14, v14, v2, v13
	v_add_u32_e32 v13, 14, v14
	v_and_b32_e32 v1, 0x1fffff, v1
	v_add_u32_e32 v0, v1, v0
	v_mov_b32_e32 v1, v33
	v_cmp_ne_u32_e32 vcc, 0, v13
                                        ; implicit-def: $vgpr2
	s_and_saveexec_b64 s[28:29], vcc
	s_xor_b64 s[28:29], exec, s[28:29]
; %bb.14692:                            ;   in Loop: Header=BB6_13186 Depth=3
	v_cmp_lt_u64_e32 vcc, s[88:89], v[0:1]
	v_add_u32_e32 v2, 15, v14
	v_cndmask_b32_e32 v2, v13, v2, vcc
	v_cndmask_b32_e64 v13, 0, 1, vcc
	v_lshrrev_b64 v[0:1], v13, v[0:1]
; %bb.14693:                            ;   in Loop: Header=BB6_13186 Depth=3
	s_andn2_saveexec_b64 s[28:29], s[28:29]
; %bb.14694:                            ;   in Loop: Header=BB6_13186 Depth=3
	v_bfe_u32 v2, v0, 23, 1
; %bb.14695:                            ;   in Loop: Header=BB6_13186 Depth=3
	s_or_b64 exec, exec, s[28:29]
	v_lshrrev_b64 v[0:1], 21, v[0:1]
	v_cmp_gt_i32_e32 vcc, 32, v2
	v_cndmask_b32_e32 v1, 0, v1, vcc
	v_cndmask_b32_e32 v0, 3, v0, vcc
	v_cmp_eq_u64_e64 s[28:29], 0, v[0:1]
	v_min_i32_e32 v1, 31, v2
	v_lshlrev_b32_e32 v1, 2, v1
	v_cmp_eq_u32_e32 vcc, 0, v2
	v_and_b32_e32 v1, 0xfc, v1
	v_and_or_b32 v0, v0, 3, v1
	s_and_b64 s[28:29], vcc, s[28:29]
	v_cndmask_b32_e64 v0, v0, 0, s[28:29]
	v_or_b32_e32 v59, v0, v3
.LBB6_14696:                            ;   in Loop: Header=BB6_13186 Depth=3
	s_or_b64 exec, exec, s[36:37]
                                        ; implicit-def: $vgpr3
.LBB6_14697:                            ;   in Loop: Header=BB6_13186 Depth=3
	s_andn2_saveexec_b64 s[28:29], s[34:35]
; %bb.14698:                            ;   in Loop: Header=BB6_13186 Depth=3
	v_or_b32_e32 v59, 0x7b, v3
; %bb.14699:                            ;   in Loop: Header=BB6_13186 Depth=3
	s_or_b64 exec, exec, s[28:29]
                                        ; implicit-def: $vgpr2
                                        ; implicit-def: $vgpr0_vgpr1
.LBB6_14700:                            ;   in Loop: Header=BB6_13186 Depth=3
	s_andn2_saveexec_b64 s[28:29], s[30:31]
	s_cbranch_execz .LBB6_14706
; %bb.14701:                            ;   in Loop: Header=BB6_13186 Depth=3
	v_cmp_ne_u64_e32 vcc, 0, v[0:1]
                                        ; implicit-def: $vgpr59
	s_and_saveexec_b64 s[62:63], vcc
	s_xor_b64 vcc, exec, s[62:63]
; %bb.14702:                            ;   in Loop: Header=BB6_13186 Depth=3
	v_or_b32_sdwa v59, v2, s44 dst_sel:DWORD dst_unused:UNUSED_PAD src0_sel:BYTE_3 src1_sel:DWORD
                                        ; implicit-def: $vgpr2
; %bb.14703:                            ;   in Loop: Header=BB6_13186 Depth=3
	s_andn2_saveexec_b64 s[30:31], vcc
; %bb.14704:                            ;   in Loop: Header=BB6_13186 Depth=3
	v_cmp_lt_i32_e32 vcc, -1, v2
	v_bfrev_b32_e32 v0, 0.5
	v_mov_b32_e32 v1, 0x7c
	v_cndmask_b32_e32 v59, v0, v1, vcc
; %bb.14705:                            ;   in Loop: Header=BB6_13186 Depth=3
	s_or_b64 exec, exec, s[30:31]
.LBB6_14706:                            ;   in Loop: Header=BB6_13186 Depth=3
	s_or_b64 exec, exec, s[28:29]
	v_lshrrev_b32_e32 v0, 16, v9
	v_cmp_ne_u16_sdwa s[62:63], v0, v33 src0_sel:BYTE_0 src1_sel:DWORD
	v_mov_b32_e32 v1, 0
	s_and_saveexec_b64 s[28:29], s[62:63]
	s_cbranch_execz .LBB6_14714
; %bb.14707:                            ;   in Loop: Header=BB6_13186 Depth=3
	v_cmp_ne_u16_sdwa s[62:63], v0, s97 src0_sel:BYTE_0 src1_sel:DWORD
	v_bfrev_b32_e32 v1, 1
	s_and_saveexec_b64 s[30:31], s[62:63]
	s_cbranch_execz .LBB6_14713
; %bb.14708:                            ;   in Loop: Header=BB6_13186 Depth=3
	v_and_b32_e32 v1, 0x7c0000, v9
	v_bfe_u32 v2, v9, 16, 2
	v_cmp_ne_u32_e32 vcc, s45, v1
                                        ; implicit-def: $vgpr1
	s_and_saveexec_b64 s[62:63], vcc
	s_xor_b64 s[34:35], exec, s[62:63]
	s_cbranch_execz .LBB6_14710
; %bb.14709:                            ;   in Loop: Header=BB6_13186 Depth=3
	v_ffbh_u32_e32 v1, v2
	v_min_u32_e32 v13, 32, v1
	v_subrev_u32_e32 v1, 29, v13
	v_lshlrev_b64 v[0:1], v1, v[0:1]
	v_bfe_u32 v3, v9, 18, 5
	v_and_b32_e32 v0, 3, v0
	v_cmp_eq_u32_e32 vcc, 0, v3
	v_sub_u32_e32 v1, 30, v13
	v_cndmask_b32_e32 v0, v2, v0, vcc
	v_lshlrev_b32_e32 v2, 8, v9
	v_cndmask_b32_e32 v1, v3, v1, vcc
	v_and_b32_e32 v2, 0x80000000, v2
	v_lshl_add_u32 v1, v1, 23, v2
	v_lshl_or_b32 v0, v0, 21, v1
	v_add_u32_e32 v1, 0x38000000, v0
                                        ; implicit-def: $vgpr2
                                        ; implicit-def: $vgpr0
.LBB6_14710:                            ;   in Loop: Header=BB6_13186 Depth=3
	s_andn2_saveexec_b64 s[34:35], s[34:35]
; %bb.14711:                            ;   in Loop: Header=BB6_13186 Depth=3
	v_mov_b32_e32 v1, -1
	v_cmp_gt_i16_sdwa vcc, sext(v0), v1 src0_sel:BYTE_0 src1_sel:DWORD
	v_mov_b32_e32 v0, 0xff800000
	v_mov_b32_e32 v1, 0x7f800000
	v_cndmask_b32_e32 v0, v0, v1, vcc
	v_cmp_eq_u32_e32 vcc, 0, v2
	v_mov_b32_e32 v1, 0x7f800001
	v_cndmask_b32_e32 v1, v1, v0, vcc
; %bb.14712:                            ;   in Loop: Header=BB6_13186 Depth=3
	s_or_b64 exec, exec, s[34:35]
.LBB6_14713:                            ;   in Loop: Header=BB6_13186 Depth=3
	s_or_b64 exec, exec, s[30:31]
.LBB6_14714:                            ;   in Loop: Header=BB6_13186 Depth=3
	s_or_b64 exec, exec, s[28:29]
	v_mul_f32_e32 v2, v12, v1
	v_and_b32_e32 v13, 0x7f800000, v2
	v_mov_b32_e32 v14, v33
	v_cmp_ne_u64_e32 vcc, s[76:77], v[13:14]
	v_and_b32_e32 v0, 0x7fffff, v2
	v_mov_b32_e32 v1, v33
                                        ; implicit-def: $vgpr3
                                        ; kill: killed $vgpr3
	s_and_saveexec_b64 s[28:29], vcc
	s_xor_b64 s[30:31], exec, s[28:29]
	s_cbranch_execz .LBB6_14728
; %bb.14715:                            ;   in Loop: Header=BB6_13186 Depth=3
	v_and_b32_e32 v13, 0x7fffffff, v2
	v_mov_b32_e32 v14, v33
	v_cmp_gt_u64_e32 vcc, s[78:79], v[13:14]
	v_and_b32_sdwa v3, v2, s97 dst_sel:DWORD dst_unused:UNUSED_PAD src0_sel:BYTE_3 src1_sel:DWORD
                                        ; implicit-def: $vgpr7
                                        ; kill: killed $vgpr7
	s_and_saveexec_b64 s[28:29], vcc
	s_xor_b64 s[34:35], exec, s[28:29]
	s_cbranch_execz .LBB6_14725
; %bb.14716:                            ;   in Loop: Header=BB6_13186 Depth=3
	v_mov_b32_e32 v7, 0
	v_cmp_ne_u32_e32 vcc, 0, v2
	buffer_store_dword v7, off, s[0:3], s33 offset:172 ; 4-byte Folded Spill
	s_and_saveexec_b64 s[36:37], vcc
	s_cbranch_execz .LBB6_14724
; %bb.14717:                            ;   in Loop: Header=BB6_13186 Depth=3
	v_bfe_u32 v13, v2, 23, 8
	v_cmp_gt_u32_e64 s[28:29], s47, v13
	v_sub_u32_e32 v2, 0x71, v13
	v_cmp_eq_u32_e32 vcc, 0, v13
	v_cndmask_b32_e64 v2, 0, v2, s[28:29]
	v_mov_b32_e32 v14, 0x70
	v_cndmask_b32_e32 v14, v2, v14, vcc
	v_or_b32_e32 v15, 0x800000, v0
	v_add_u32_e32 v2, 21, v14
	v_cndmask_b32_e32 v0, v15, v0, vcc
	v_lshlrev_b64 v[15:16], v2, -1
	v_add_u32_e32 v2, 20, v14
	v_bfi_b32 v15, v15, 0, v0
	v_lshlrev_b64 v[17:18], v2, 1
	v_lshrrev_b64 v[0:1], v14, v[0:1]
	v_bfi_b32 v16, v16, 0, 0
	v_cmp_eq_u64_e64 s[28:29], v[15:16], v[17:18]
	v_mov_b32_e32 v2, v1
	v_mov_b32_e32 v1, v0
	s_and_saveexec_b64 s[38:39], s[28:29]
; %bb.14718:                            ;   in Loop: Header=BB6_13186 Depth=3
	v_bfe_u32 v1, v0, 21, 1
	v_add_co_u32_e64 v1, s[28:29], v0, v1
	v_add_co_u32_e64 v1, s[28:29], -1, v1
; %bb.14719:                            ;   in Loop: Header=BB6_13186 Depth=3
	s_or_b64 exec, exec, s[38:39]
	v_add_u32_e32 v2, 0xffffff81, v13
	v_mov_b32_e32 v13, 0xffffff82
	v_cndmask_b32_e32 v2, v2, v13, vcc
	v_lshrrev_b32_e32 v13, 23, v0
	v_add3_u32 v14, v14, v2, v13
	v_add_u32_e32 v13, 14, v14
	v_and_b32_e32 v1, 0x1fffff, v1
	v_add_u32_e32 v0, v1, v0
	v_mov_b32_e32 v1, v33
	v_cmp_ne_u32_e32 vcc, 0, v13
                                        ; implicit-def: $vgpr2
	s_and_saveexec_b64 s[28:29], vcc
	s_xor_b64 s[28:29], exec, s[28:29]
; %bb.14720:                            ;   in Loop: Header=BB6_13186 Depth=3
	v_cmp_lt_u64_e32 vcc, s[88:89], v[0:1]
	v_add_u32_e32 v2, 15, v14
	v_cndmask_b32_e32 v2, v13, v2, vcc
	v_cndmask_b32_e64 v13, 0, 1, vcc
	v_lshrrev_b64 v[0:1], v13, v[0:1]
; %bb.14721:                            ;   in Loop: Header=BB6_13186 Depth=3
	s_andn2_saveexec_b64 s[28:29], s[28:29]
; %bb.14722:                            ;   in Loop: Header=BB6_13186 Depth=3
	v_bfe_u32 v2, v0, 23, 1
; %bb.14723:                            ;   in Loop: Header=BB6_13186 Depth=3
	s_or_b64 exec, exec, s[28:29]
	v_lshrrev_b64 v[0:1], 21, v[0:1]
	v_cmp_gt_i32_e32 vcc, 32, v2
	v_cndmask_b32_e32 v1, 0, v1, vcc
	v_cndmask_b32_e32 v0, 3, v0, vcc
	v_cmp_eq_u64_e64 s[28:29], 0, v[0:1]
	v_min_i32_e32 v1, 31, v2
	v_lshlrev_b32_e32 v1, 2, v1
	v_cmp_eq_u32_e32 vcc, 0, v2
	v_and_b32_e32 v1, 0xfc, v1
	v_and_or_b32 v0, v0, 3, v1
	s_and_b64 s[28:29], vcc, s[28:29]
	v_cndmask_b32_e64 v0, v0, 0, s[28:29]
	v_or_b32_e32 v0, v0, v3
	buffer_store_dword v0, off, s[0:3], s33 offset:172 ; 4-byte Folded Spill
.LBB6_14724:                            ;   in Loop: Header=BB6_13186 Depth=3
	s_or_b64 exec, exec, s[36:37]
                                        ; implicit-def: $vgpr3
.LBB6_14725:                            ;   in Loop: Header=BB6_13186 Depth=3
	s_andn2_saveexec_b64 s[28:29], s[34:35]
	s_cbranch_execz .LBB6_14727
; %bb.14726:                            ;   in Loop: Header=BB6_13186 Depth=3
	v_or_b32_e32 v0, 0x7b, v3
	buffer_store_dword v0, off, s[0:3], s33 offset:172 ; 4-byte Folded Spill
.LBB6_14727:                            ;   in Loop: Header=BB6_13186 Depth=3
	s_or_b64 exec, exec, s[28:29]
                                        ; implicit-def: $vgpr2
                                        ; implicit-def: $vgpr0_vgpr1
.LBB6_14728:                            ;   in Loop: Header=BB6_13186 Depth=3
	s_andn2_saveexec_b64 s[28:29], s[30:31]
	s_cbranch_execz .LBB6_14734
; %bb.14729:                            ;   in Loop: Header=BB6_13186 Depth=3
	v_cmp_ne_u64_e32 vcc, 0, v[0:1]
                                        ; implicit-def: $vgpr0
                                        ; kill: killed $vgpr0
	s_and_saveexec_b64 s[62:63], vcc
	s_xor_b64 vcc, exec, s[62:63]
	s_cbranch_execz .LBB6_14731
; %bb.14730:                            ;   in Loop: Header=BB6_13186 Depth=3
	v_or_b32_sdwa v0, v2, s44 dst_sel:DWORD dst_unused:UNUSED_PAD src0_sel:BYTE_3 src1_sel:DWORD
	buffer_store_dword v0, off, s[0:3], s33 offset:172 ; 4-byte Folded Spill
                                        ; implicit-def: $vgpr2
.LBB6_14731:                            ;   in Loop: Header=BB6_13186 Depth=3
	s_andn2_saveexec_b64 s[30:31], vcc
	s_cbranch_execz .LBB6_14733
; %bb.14732:                            ;   in Loop: Header=BB6_13186 Depth=3
	v_cmp_lt_i32_e32 vcc, -1, v2
	v_bfrev_b32_e32 v0, 0.5
	v_mov_b32_e32 v1, 0x7c
	v_cndmask_b32_e32 v0, v0, v1, vcc
	buffer_store_dword v0, off, s[0:3], s33 offset:172 ; 4-byte Folded Spill
.LBB6_14733:                            ;   in Loop: Header=BB6_13186 Depth=3
	s_or_b64 exec, exec, s[30:31]
.LBB6_14734:                            ;   in Loop: Header=BB6_13186 Depth=3
	s_or_b64 exec, exec, s[28:29]
	v_cmp_lt_u64_e32 vcc, s[56:57], v[8:9]
	v_mov_b32_e32 v1, 0
	s_and_saveexec_b64 s[28:29], vcc
	s_cbranch_execz .LBB6_14742
; %bb.14735:                            ;   in Loop: Header=BB6_13186 Depth=3
	v_lshrrev_b32_e32 v0, 24, v9
	v_cmp_ne_u32_e32 vcc, s97, v0
	v_bfrev_b32_e32 v1, 1
	s_and_saveexec_b64 s[30:31], vcc
	s_cbranch_execz .LBB6_14741
; %bb.14736:                            ;   in Loop: Header=BB6_13186 Depth=3
	v_and_b32_e32 v1, 0x7c000000, v9
	v_bfe_u32 v2, v9, 24, 2
	v_cmp_ne_u32_e32 vcc, s68, v1
                                        ; implicit-def: $vgpr1
	s_and_saveexec_b64 s[62:63], vcc
	s_xor_b64 s[34:35], exec, s[62:63]
	s_cbranch_execz .LBB6_14738
; %bb.14737:                            ;   in Loop: Header=BB6_13186 Depth=3
	v_ffbh_u32_e32 v1, v2
	v_min_u32_e32 v13, 32, v1
	v_subrev_u32_e32 v1, 29, v13
	v_lshlrev_b64 v[0:1], v1, v[0:1]
	v_bfe_u32 v3, v9, 26, 5
	v_sub_u32_e32 v1, 30, v13
	v_and_b32_e32 v0, 3, v0
	v_cmp_eq_u32_e32 vcc, 0, v3
	v_cndmask_b32_e32 v1, v3, v1, vcc
	v_cndmask_b32_e32 v0, v2, v0, vcc
	v_and_b32_e32 v2, 0x80000000, v9
	v_lshl_add_u32 v1, v1, 23, v2
	v_lshl_or_b32 v0, v0, 21, v1
	v_add_u32_e32 v1, 0x38000000, v0
                                        ; implicit-def: $vgpr2
.LBB6_14738:                            ;   in Loop: Header=BB6_13186 Depth=3
	s_andn2_saveexec_b64 s[34:35], s[34:35]
; %bb.14739:                            ;   in Loop: Header=BB6_13186 Depth=3
	v_cmp_lt_i64_e32 vcc, -1, v[8:9]
	v_mov_b32_e32 v0, 0xff800000
	v_mov_b32_e32 v1, 0x7f800000
	v_cndmask_b32_e32 v0, v0, v1, vcc
	v_cmp_eq_u32_e32 vcc, 0, v2
	v_mov_b32_e32 v1, 0x7f800001
	v_cndmask_b32_e32 v1, v1, v0, vcc
; %bb.14740:                            ;   in Loop: Header=BB6_13186 Depth=3
	s_or_b64 exec, exec, s[34:35]
.LBB6_14741:                            ;   in Loop: Header=BB6_13186 Depth=3
	s_or_b64 exec, exec, s[30:31]
.LBB6_14742:                            ;   in Loop: Header=BB6_13186 Depth=3
	s_or_b64 exec, exec, s[28:29]
	v_mul_f32_e32 v2, v12, v1
	v_and_b32_e32 v8, 0x7f800000, v2
	v_mov_b32_e32 v9, v33
	v_cmp_ne_u64_e32 vcc, s[76:77], v[8:9]
	v_and_b32_e32 v0, 0x7fffff, v2
	v_mov_b32_e32 v1, v33
                                        ; implicit-def: $vgpr3
                                        ; kill: killed $vgpr3
	s_and_saveexec_b64 s[28:29], vcc
	s_xor_b64 s[30:31], exec, s[28:29]
	s_cbranch_execz .LBB6_14756
; %bb.14743:                            ;   in Loop: Header=BB6_13186 Depth=3
	v_and_b32_e32 v8, 0x7fffffff, v2
	v_mov_b32_e32 v9, v33
	v_cmp_gt_u64_e32 vcc, s[78:79], v[8:9]
	v_and_b32_sdwa v3, v2, s97 dst_sel:DWORD dst_unused:UNUSED_PAD src0_sel:BYTE_3 src1_sel:DWORD
                                        ; implicit-def: $vgpr7
                                        ; kill: killed $vgpr7
	s_and_saveexec_b64 s[28:29], vcc
	s_xor_b64 s[34:35], exec, s[28:29]
	s_cbranch_execz .LBB6_14753
; %bb.14744:                            ;   in Loop: Header=BB6_13186 Depth=3
	v_mov_b32_e32 v7, 0
	v_cmp_ne_u32_e32 vcc, 0, v2
	buffer_store_dword v7, off, s[0:3], s33 offset:196 ; 4-byte Folded Spill
	s_and_saveexec_b64 s[36:37], vcc
	s_cbranch_execz .LBB6_14752
; %bb.14745:                            ;   in Loop: Header=BB6_13186 Depth=3
	v_bfe_u32 v8, v2, 23, 8
	v_cmp_gt_u32_e64 s[28:29], s47, v8
	v_sub_u32_e32 v2, 0x71, v8
	v_cmp_eq_u32_e32 vcc, 0, v8
	v_cndmask_b32_e64 v2, 0, v2, s[28:29]
	v_mov_b32_e32 v9, 0x70
	v_cndmask_b32_e32 v9, v2, v9, vcc
	v_or_b32_e32 v13, 0x800000, v0
	v_add_u32_e32 v2, 21, v9
	v_cndmask_b32_e32 v0, v13, v0, vcc
	v_lshlrev_b64 v[13:14], v2, -1
	v_add_u32_e32 v2, 20, v9
	v_bfi_b32 v13, v13, 0, v0
	v_lshlrev_b64 v[15:16], v2, 1
	v_lshrrev_b64 v[0:1], v9, v[0:1]
	v_bfi_b32 v14, v14, 0, 0
	v_cmp_eq_u64_e64 s[28:29], v[13:14], v[15:16]
	v_mov_b32_e32 v2, v1
	v_mov_b32_e32 v1, v0
	s_and_saveexec_b64 s[38:39], s[28:29]
; %bb.14746:                            ;   in Loop: Header=BB6_13186 Depth=3
	v_bfe_u32 v1, v0, 21, 1
	v_add_co_u32_e64 v1, s[28:29], v0, v1
	v_add_co_u32_e64 v1, s[28:29], -1, v1
; %bb.14747:                            ;   in Loop: Header=BB6_13186 Depth=3
	s_or_b64 exec, exec, s[38:39]
	v_add_u32_e32 v2, 0xffffff81, v8
	v_mov_b32_e32 v8, 0xffffff82
	v_cndmask_b32_e32 v2, v2, v8, vcc
	v_lshrrev_b32_e32 v8, 23, v0
	v_add3_u32 v9, v9, v2, v8
	v_add_u32_e32 v8, 14, v9
	v_and_b32_e32 v1, 0x1fffff, v1
	v_add_u32_e32 v0, v1, v0
	v_mov_b32_e32 v1, v33
	v_cmp_ne_u32_e32 vcc, 0, v8
                                        ; implicit-def: $vgpr2
	s_and_saveexec_b64 s[28:29], vcc
	s_xor_b64 s[28:29], exec, s[28:29]
; %bb.14748:                            ;   in Loop: Header=BB6_13186 Depth=3
	v_cmp_lt_u64_e32 vcc, s[88:89], v[0:1]
	v_add_u32_e32 v2, 15, v9
	v_cndmask_b32_e32 v2, v8, v2, vcc
	v_cndmask_b32_e64 v8, 0, 1, vcc
	v_lshrrev_b64 v[0:1], v8, v[0:1]
; %bb.14749:                            ;   in Loop: Header=BB6_13186 Depth=3
	s_andn2_saveexec_b64 s[28:29], s[28:29]
; %bb.14750:                            ;   in Loop: Header=BB6_13186 Depth=3
	v_bfe_u32 v2, v0, 23, 1
; %bb.14751:                            ;   in Loop: Header=BB6_13186 Depth=3
	s_or_b64 exec, exec, s[28:29]
	v_lshrrev_b64 v[0:1], 21, v[0:1]
	v_cmp_gt_i32_e32 vcc, 32, v2
	v_cndmask_b32_e32 v1, 0, v1, vcc
	v_cndmask_b32_e32 v0, 3, v0, vcc
	v_cmp_eq_u64_e64 s[28:29], 0, v[0:1]
	v_min_i32_e32 v1, 31, v2
	v_lshlrev_b32_e32 v1, 2, v1
	v_cmp_eq_u32_e32 vcc, 0, v2
	v_and_b32_e32 v1, 0xfc, v1
	v_and_or_b32 v0, v0, 3, v1
	s_and_b64 s[28:29], vcc, s[28:29]
	v_cndmask_b32_e64 v0, v0, 0, s[28:29]
	v_or_b32_e32 v0, v0, v3
	buffer_store_dword v0, off, s[0:3], s33 offset:196 ; 4-byte Folded Spill
.LBB6_14752:                            ;   in Loop: Header=BB6_13186 Depth=3
	s_or_b64 exec, exec, s[36:37]
                                        ; implicit-def: $vgpr3
.LBB6_14753:                            ;   in Loop: Header=BB6_13186 Depth=3
	s_andn2_saveexec_b64 s[28:29], s[34:35]
	s_cbranch_execz .LBB6_14755
; %bb.14754:                            ;   in Loop: Header=BB6_13186 Depth=3
	v_or_b32_e32 v0, 0x7b, v3
	buffer_store_dword v0, off, s[0:3], s33 offset:196 ; 4-byte Folded Spill
.LBB6_14755:                            ;   in Loop: Header=BB6_13186 Depth=3
	s_or_b64 exec, exec, s[28:29]
                                        ; implicit-def: $vgpr2
                                        ; implicit-def: $vgpr0_vgpr1
.LBB6_14756:                            ;   in Loop: Header=BB6_13186 Depth=3
	s_andn2_saveexec_b64 s[28:29], s[30:31]
	s_cbranch_execz .LBB6_14762
; %bb.14757:                            ;   in Loop: Header=BB6_13186 Depth=3
	v_cmp_ne_u64_e32 vcc, 0, v[0:1]
                                        ; implicit-def: $vgpr0
                                        ; kill: killed $vgpr0
	s_and_saveexec_b64 s[62:63], vcc
	s_xor_b64 vcc, exec, s[62:63]
	s_cbranch_execz .LBB6_14759
; %bb.14758:                            ;   in Loop: Header=BB6_13186 Depth=3
	v_or_b32_sdwa v0, v2, s44 dst_sel:DWORD dst_unused:UNUSED_PAD src0_sel:BYTE_3 src1_sel:DWORD
	buffer_store_dword v0, off, s[0:3], s33 offset:196 ; 4-byte Folded Spill
                                        ; implicit-def: $vgpr2
.LBB6_14759:                            ;   in Loop: Header=BB6_13186 Depth=3
	s_andn2_saveexec_b64 s[30:31], vcc
	s_cbranch_execz .LBB6_14761
; %bb.14760:                            ;   in Loop: Header=BB6_13186 Depth=3
	v_cmp_lt_i32_e32 vcc, -1, v2
	v_bfrev_b32_e32 v0, 0.5
	v_mov_b32_e32 v1, 0x7c
	v_cndmask_b32_e32 v0, v0, v1, vcc
	buffer_store_dword v0, off, s[0:3], s33 offset:196 ; 4-byte Folded Spill
.LBB6_14761:                            ;   in Loop: Header=BB6_13186 Depth=3
	s_or_b64 exec, exec, s[30:31]
.LBB6_14762:                            ;   in Loop: Header=BB6_13186 Depth=3
	s_or_b64 exec, exec, s[28:29]
	v_cmp_ne_u16_sdwa s[62:63], v10, v33 src0_sel:BYTE_0 src1_sel:DWORD
	v_mov_b32_e32 v0, 0
	s_and_saveexec_b64 s[28:29], s[62:63]
	s_cbranch_execz .LBB6_14770
; %bb.14763:                            ;   in Loop: Header=BB6_13186 Depth=3
	v_cmp_ne_u16_sdwa s[62:63], sext(v10), s46 src0_sel:BYTE_0 src1_sel:DWORD
	v_bfrev_b32_e32 v0, 1
	s_and_saveexec_b64 s[30:31], s[62:63]
	s_cbranch_execz .LBB6_14769
; %bb.14764:                            ;   in Loop: Header=BB6_13186 Depth=3
	v_and_b32_e32 v0, 0x7c, v10
	v_and_b32_e32 v1, 3, v10
	v_cmp_ne_u32_e32 vcc, s86, v0
                                        ; implicit-def: $vgpr0
	s_and_saveexec_b64 s[62:63], vcc
	s_xor_b64 s[34:35], exec, s[62:63]
	s_cbranch_execz .LBB6_14766
; %bb.14765:                            ;   in Loop: Header=BB6_13186 Depth=3
	v_ffbh_u32_e32 v2, v1
	v_min_u32_e32 v8, 32, v2
	v_subrev_u32_e32 v2, 29, v8
	v_lshlrev_b64 v[2:3], v2, v[10:11]
	v_bfe_u32 v0, v10, 2, 5
	v_and_b32_e32 v2, 3, v2
	v_cmp_eq_u32_e32 vcc, 0, v0
	v_sub_u32_e32 v3, 30, v8
	v_cndmask_b32_e32 v1, v1, v2, vcc
	v_lshlrev_b32_e32 v2, 24, v10
	v_cndmask_b32_e32 v0, v0, v3, vcc
	v_and_b32_e32 v2, 0x80000000, v2
	v_lshl_add_u32 v0, v0, 23, v2
	v_lshl_or_b32 v0, v1, 21, v0
	v_add_u32_e32 v0, 0x38000000, v0
                                        ; implicit-def: $vgpr1
.LBB6_14766:                            ;   in Loop: Header=BB6_13186 Depth=3
	s_andn2_saveexec_b64 s[34:35], s[34:35]
; %bb.14767:                            ;   in Loop: Header=BB6_13186 Depth=3
	v_mov_b32_e32 v0, -1
	v_cmp_gt_i16_sdwa vcc, sext(v10), v0 src0_sel:BYTE_0 src1_sel:DWORD
	v_mov_b32_e32 v0, 0xff800000
	v_mov_b32_e32 v2, 0x7f800000
	v_cndmask_b32_e32 v0, v0, v2, vcc
	v_cmp_eq_u32_e32 vcc, 0, v1
	v_mov_b32_e32 v1, 0x7f800001
	v_cndmask_b32_e32 v0, v1, v0, vcc
; %bb.14768:                            ;   in Loop: Header=BB6_13186 Depth=3
	s_or_b64 exec, exec, s[34:35]
.LBB6_14769:                            ;   in Loop: Header=BB6_13186 Depth=3
	s_or_b64 exec, exec, s[30:31]
.LBB6_14770:                            ;   in Loop: Header=BB6_13186 Depth=3
	s_or_b64 exec, exec, s[28:29]
	v_mul_f32_e32 v2, v12, v0
	v_and_b32_e32 v8, 0x7f800000, v2
	v_mov_b32_e32 v9, v33
	v_cmp_ne_u64_e32 vcc, s[76:77], v[8:9]
	v_and_b32_e32 v0, 0x7fffff, v2
	v_mov_b32_e32 v1, v33
                                        ; implicit-def: $vgpr30
	s_and_saveexec_b64 s[28:29], vcc
	s_xor_b64 s[30:31], exec, s[28:29]
	s_cbranch_execz .LBB6_14784
; %bb.14771:                            ;   in Loop: Header=BB6_13186 Depth=3
	v_and_b32_e32 v8, 0x7fffffff, v2
	v_mov_b32_e32 v9, v33
	v_cmp_gt_u64_e32 vcc, s[78:79], v[8:9]
	v_and_b32_sdwa v3, v2, s97 dst_sel:DWORD dst_unused:UNUSED_PAD src0_sel:BYTE_3 src1_sel:DWORD
                                        ; implicit-def: $vgpr30
	s_and_saveexec_b64 s[28:29], vcc
	s_xor_b64 s[34:35], exec, s[28:29]
	s_cbranch_execz .LBB6_14781
; %bb.14772:                            ;   in Loop: Header=BB6_13186 Depth=3
	v_mov_b32_e32 v30, 0
	v_cmp_ne_u32_e32 vcc, 0, v2
	s_and_saveexec_b64 s[36:37], vcc
	s_cbranch_execz .LBB6_14780
; %bb.14773:                            ;   in Loop: Header=BB6_13186 Depth=3
	v_bfe_u32 v8, v2, 23, 8
	v_cmp_gt_u32_e64 s[28:29], s47, v8
	v_sub_u32_e32 v2, 0x71, v8
	v_cmp_eq_u32_e32 vcc, 0, v8
	v_cndmask_b32_e64 v2, 0, v2, s[28:29]
	v_mov_b32_e32 v9, 0x70
	v_cndmask_b32_e32 v9, v2, v9, vcc
	v_or_b32_e32 v13, 0x800000, v0
	v_add_u32_e32 v2, 21, v9
	v_cndmask_b32_e32 v0, v13, v0, vcc
	v_lshlrev_b64 v[13:14], v2, -1
	v_add_u32_e32 v2, 20, v9
	v_bfi_b32 v13, v13, 0, v0
	v_lshlrev_b64 v[15:16], v2, 1
	v_lshrrev_b64 v[0:1], v9, v[0:1]
	v_bfi_b32 v14, v14, 0, 0
	v_cmp_eq_u64_e64 s[28:29], v[13:14], v[15:16]
	v_mov_b32_e32 v2, v1
	v_mov_b32_e32 v1, v0
	s_and_saveexec_b64 s[38:39], s[28:29]
; %bb.14774:                            ;   in Loop: Header=BB6_13186 Depth=3
	v_bfe_u32 v1, v0, 21, 1
	v_add_co_u32_e64 v1, s[28:29], v0, v1
	v_add_co_u32_e64 v1, s[28:29], -1, v1
; %bb.14775:                            ;   in Loop: Header=BB6_13186 Depth=3
	s_or_b64 exec, exec, s[38:39]
	v_add_u32_e32 v2, 0xffffff81, v8
	v_mov_b32_e32 v8, 0xffffff82
	v_cndmask_b32_e32 v2, v2, v8, vcc
	v_lshrrev_b32_e32 v8, 23, v0
	v_add3_u32 v9, v9, v2, v8
	v_add_u32_e32 v8, 14, v9
	v_and_b32_e32 v1, 0x1fffff, v1
	v_add_u32_e32 v0, v1, v0
	v_mov_b32_e32 v1, v33
	v_cmp_ne_u32_e32 vcc, 0, v8
                                        ; implicit-def: $vgpr2
	s_and_saveexec_b64 s[28:29], vcc
	s_xor_b64 s[28:29], exec, s[28:29]
; %bb.14776:                            ;   in Loop: Header=BB6_13186 Depth=3
	v_cmp_lt_u64_e32 vcc, s[88:89], v[0:1]
	v_add_u32_e32 v2, 15, v9
	v_cndmask_b32_e32 v2, v8, v2, vcc
	v_cndmask_b32_e64 v8, 0, 1, vcc
	v_lshrrev_b64 v[0:1], v8, v[0:1]
; %bb.14777:                            ;   in Loop: Header=BB6_13186 Depth=3
	s_andn2_saveexec_b64 s[28:29], s[28:29]
; %bb.14778:                            ;   in Loop: Header=BB6_13186 Depth=3
	v_bfe_u32 v2, v0, 23, 1
; %bb.14779:                            ;   in Loop: Header=BB6_13186 Depth=3
	s_or_b64 exec, exec, s[28:29]
	v_lshrrev_b64 v[0:1], 21, v[0:1]
	v_cmp_gt_i32_e32 vcc, 32, v2
	v_cndmask_b32_e32 v1, 0, v1, vcc
	v_cndmask_b32_e32 v0, 3, v0, vcc
	v_cmp_eq_u64_e64 s[28:29], 0, v[0:1]
	v_min_i32_e32 v1, 31, v2
	v_lshlrev_b32_e32 v1, 2, v1
	v_cmp_eq_u32_e32 vcc, 0, v2
	v_and_b32_e32 v1, 0xfc, v1
	v_and_or_b32 v0, v0, 3, v1
	s_and_b64 s[28:29], vcc, s[28:29]
	v_cndmask_b32_e64 v0, v0, 0, s[28:29]
	v_or_b32_e32 v30, v0, v3
.LBB6_14780:                            ;   in Loop: Header=BB6_13186 Depth=3
	s_or_b64 exec, exec, s[36:37]
                                        ; implicit-def: $vgpr3
.LBB6_14781:                            ;   in Loop: Header=BB6_13186 Depth=3
	s_andn2_saveexec_b64 s[28:29], s[34:35]
; %bb.14782:                            ;   in Loop: Header=BB6_13186 Depth=3
	v_or_b32_e32 v30, 0x7b, v3
; %bb.14783:                            ;   in Loop: Header=BB6_13186 Depth=3
	s_or_b64 exec, exec, s[28:29]
                                        ; implicit-def: $vgpr2
                                        ; implicit-def: $vgpr0_vgpr1
.LBB6_14784:                            ;   in Loop: Header=BB6_13186 Depth=3
	s_andn2_saveexec_b64 s[28:29], s[30:31]
	s_cbranch_execz .LBB6_14790
; %bb.14785:                            ;   in Loop: Header=BB6_13186 Depth=3
	v_cmp_ne_u64_e32 vcc, 0, v[0:1]
                                        ; implicit-def: $vgpr30
	s_and_saveexec_b64 s[62:63], vcc
	s_xor_b64 vcc, exec, s[62:63]
; %bb.14786:                            ;   in Loop: Header=BB6_13186 Depth=3
	v_or_b32_sdwa v30, v2, s44 dst_sel:DWORD dst_unused:UNUSED_PAD src0_sel:BYTE_3 src1_sel:DWORD
                                        ; implicit-def: $vgpr2
; %bb.14787:                            ;   in Loop: Header=BB6_13186 Depth=3
	s_andn2_saveexec_b64 s[30:31], vcc
; %bb.14788:                            ;   in Loop: Header=BB6_13186 Depth=3
	v_cmp_lt_i32_e32 vcc, -1, v2
	v_bfrev_b32_e32 v0, 0.5
	v_mov_b32_e32 v1, 0x7c
	v_cndmask_b32_e32 v30, v0, v1, vcc
; %bb.14789:                            ;   in Loop: Header=BB6_13186 Depth=3
	s_or_b64 exec, exec, s[30:31]
.LBB6_14790:                            ;   in Loop: Header=BB6_13186 Depth=3
	s_or_b64 exec, exec, s[28:29]
	v_lshrrev_b16_e32 v0, 8, v10
	v_cmp_ne_u16_e32 vcc, 0, v0
	v_mov_b32_e32 v1, 0
	s_and_saveexec_b64 s[28:29], vcc
	s_cbranch_execz .LBB6_14798
; %bb.14791:                            ;   in Loop: Header=BB6_13186 Depth=3
	v_cmp_ne_u16_e32 vcc, s97, v0
	v_bfrev_b32_e32 v1, 1
	s_and_saveexec_b64 s[30:31], vcc
	s_cbranch_execz .LBB6_14797
; %bb.14792:                            ;   in Loop: Header=BB6_13186 Depth=3
	v_and_b32_e32 v1, 0x7c, v0
	v_and_b32_e32 v2, 3, v0
	v_cmp_ne_u32_e32 vcc, s86, v1
                                        ; implicit-def: $vgpr1
	s_and_saveexec_b64 s[62:63], vcc
	s_xor_b64 s[34:35], exec, s[62:63]
	s_cbranch_execz .LBB6_14794
; %bb.14793:                            ;   in Loop: Header=BB6_13186 Depth=3
	v_ffbh_u32_e32 v8, v2
	v_min_u32_e32 v8, 32, v8
	v_mov_b32_e32 v1, v33
	v_subrev_u32_e32 v9, 29, v8
	v_bfe_u32 v3, v0, 2, 5
	v_lshlrev_b64 v[0:1], v9, v[0:1]
	v_cmp_eq_u32_e32 vcc, 0, v3
	v_and_b32_e32 v0, 3, v0
	v_sub_u32_e32 v1, 30, v8
	v_cndmask_b32_e32 v0, v2, v0, vcc
	v_lshlrev_b32_e32 v2, 16, v10
	v_cndmask_b32_e32 v1, v3, v1, vcc
	v_and_b32_e32 v2, 0x80000000, v2
	v_lshl_add_u32 v1, v1, 23, v2
	v_lshl_or_b32 v0, v0, 21, v1
	v_add_u32_e32 v1, 0x38000000, v0
                                        ; implicit-def: $vgpr2
.LBB6_14794:                            ;   in Loop: Header=BB6_13186 Depth=3
	s_andn2_saveexec_b64 s[34:35], s[34:35]
; %bb.14795:                            ;   in Loop: Header=BB6_13186 Depth=3
	v_cmp_lt_i16_e32 vcc, -1, v10
	v_mov_b32_e32 v0, 0xff800000
	v_mov_b32_e32 v1, 0x7f800000
	v_cndmask_b32_e32 v0, v0, v1, vcc
	v_cmp_eq_u32_e32 vcc, 0, v2
	v_mov_b32_e32 v1, 0x7f800001
	v_cndmask_b32_e32 v1, v1, v0, vcc
; %bb.14796:                            ;   in Loop: Header=BB6_13186 Depth=3
	s_or_b64 exec, exec, s[34:35]
.LBB6_14797:                            ;   in Loop: Header=BB6_13186 Depth=3
	s_or_b64 exec, exec, s[30:31]
.LBB6_14798:                            ;   in Loop: Header=BB6_13186 Depth=3
	s_or_b64 exec, exec, s[28:29]
	v_mul_f32_e32 v2, v12, v1
	v_and_b32_e32 v8, 0x7f800000, v2
	v_mov_b32_e32 v9, v33
	v_cmp_ne_u64_e32 vcc, s[76:77], v[8:9]
	v_and_b32_e32 v0, 0x7fffff, v2
	v_mov_b32_e32 v1, v33
                                        ; implicit-def: $vgpr3
                                        ; kill: killed $vgpr3
	s_and_saveexec_b64 s[28:29], vcc
	s_xor_b64 s[30:31], exec, s[28:29]
	s_cbranch_execz .LBB6_14812
; %bb.14799:                            ;   in Loop: Header=BB6_13186 Depth=3
	v_and_b32_e32 v8, 0x7fffffff, v2
	v_mov_b32_e32 v9, v33
	v_cmp_gt_u64_e32 vcc, s[78:79], v[8:9]
	v_and_b32_sdwa v3, v2, s97 dst_sel:DWORD dst_unused:UNUSED_PAD src0_sel:BYTE_3 src1_sel:DWORD
                                        ; implicit-def: $vgpr8
                                        ; kill: killed $vgpr8
	s_and_saveexec_b64 s[28:29], vcc
	s_xor_b64 s[34:35], exec, s[28:29]
	s_cbranch_execz .LBB6_14809
; %bb.14800:                            ;   in Loop: Header=BB6_13186 Depth=3
	v_mov_b32_e32 v8, 0
	v_cmp_ne_u32_e32 vcc, 0, v2
	buffer_store_dword v8, off, s[0:3], s33 offset:132 ; 4-byte Folded Spill
	s_and_saveexec_b64 s[36:37], vcc
	s_cbranch_execz .LBB6_14808
; %bb.14801:                            ;   in Loop: Header=BB6_13186 Depth=3
	v_bfe_u32 v8, v2, 23, 8
	v_cmp_gt_u32_e64 s[28:29], s47, v8
	v_sub_u32_e32 v2, 0x71, v8
	v_cmp_eq_u32_e32 vcc, 0, v8
	v_cndmask_b32_e64 v2, 0, v2, s[28:29]
	v_mov_b32_e32 v9, 0x70
	v_cndmask_b32_e32 v9, v2, v9, vcc
	v_or_b32_e32 v13, 0x800000, v0
	v_add_u32_e32 v2, 21, v9
	v_cndmask_b32_e32 v0, v13, v0, vcc
	v_lshlrev_b64 v[13:14], v2, -1
	v_add_u32_e32 v2, 20, v9
	v_bfi_b32 v13, v13, 0, v0
	v_lshlrev_b64 v[15:16], v2, 1
	v_lshrrev_b64 v[0:1], v9, v[0:1]
	v_bfi_b32 v14, v14, 0, 0
	v_cmp_eq_u64_e64 s[28:29], v[13:14], v[15:16]
	v_mov_b32_e32 v2, v1
	v_mov_b32_e32 v1, v0
	s_and_saveexec_b64 s[38:39], s[28:29]
; %bb.14802:                            ;   in Loop: Header=BB6_13186 Depth=3
	v_bfe_u32 v1, v0, 21, 1
	v_add_co_u32_e64 v1, s[28:29], v0, v1
	v_add_co_u32_e64 v1, s[28:29], -1, v1
; %bb.14803:                            ;   in Loop: Header=BB6_13186 Depth=3
	s_or_b64 exec, exec, s[38:39]
	v_add_u32_e32 v2, 0xffffff81, v8
	v_mov_b32_e32 v8, 0xffffff82
	v_cndmask_b32_e32 v2, v2, v8, vcc
	v_lshrrev_b32_e32 v8, 23, v0
	v_add3_u32 v9, v9, v2, v8
	v_add_u32_e32 v8, 14, v9
	v_and_b32_e32 v1, 0x1fffff, v1
	v_add_u32_e32 v0, v1, v0
	v_mov_b32_e32 v1, v33
	v_cmp_ne_u32_e32 vcc, 0, v8
                                        ; implicit-def: $vgpr2
	s_and_saveexec_b64 s[28:29], vcc
	s_xor_b64 s[28:29], exec, s[28:29]
; %bb.14804:                            ;   in Loop: Header=BB6_13186 Depth=3
	v_cmp_lt_u64_e32 vcc, s[88:89], v[0:1]
	v_add_u32_e32 v2, 15, v9
	v_cndmask_b32_e32 v2, v8, v2, vcc
	v_cndmask_b32_e64 v8, 0, 1, vcc
	v_lshrrev_b64 v[0:1], v8, v[0:1]
; %bb.14805:                            ;   in Loop: Header=BB6_13186 Depth=3
	s_andn2_saveexec_b64 s[28:29], s[28:29]
; %bb.14806:                            ;   in Loop: Header=BB6_13186 Depth=3
	v_bfe_u32 v2, v0, 23, 1
; %bb.14807:                            ;   in Loop: Header=BB6_13186 Depth=3
	s_or_b64 exec, exec, s[28:29]
	v_lshrrev_b64 v[0:1], 21, v[0:1]
	v_cmp_gt_i32_e32 vcc, 32, v2
	v_cndmask_b32_e32 v1, 0, v1, vcc
	v_cndmask_b32_e32 v0, 3, v0, vcc
	v_cmp_eq_u64_e64 s[28:29], 0, v[0:1]
	v_min_i32_e32 v1, 31, v2
	v_lshlrev_b32_e32 v1, 2, v1
	v_cmp_eq_u32_e32 vcc, 0, v2
	v_and_b32_e32 v1, 0xfc, v1
	v_and_or_b32 v0, v0, 3, v1
	s_and_b64 s[28:29], vcc, s[28:29]
	v_cndmask_b32_e64 v0, v0, 0, s[28:29]
	v_or_b32_e32 v0, v0, v3
	buffer_store_dword v0, off, s[0:3], s33 offset:132 ; 4-byte Folded Spill
.LBB6_14808:                            ;   in Loop: Header=BB6_13186 Depth=3
	s_or_b64 exec, exec, s[36:37]
                                        ; implicit-def: $vgpr3
.LBB6_14809:                            ;   in Loop: Header=BB6_13186 Depth=3
	s_andn2_saveexec_b64 s[28:29], s[34:35]
	s_cbranch_execz .LBB6_14811
; %bb.14810:                            ;   in Loop: Header=BB6_13186 Depth=3
	v_or_b32_e32 v0, 0x7b, v3
	buffer_store_dword v0, off, s[0:3], s33 offset:132 ; 4-byte Folded Spill
.LBB6_14811:                            ;   in Loop: Header=BB6_13186 Depth=3
	s_or_b64 exec, exec, s[28:29]
                                        ; implicit-def: $vgpr2
                                        ; implicit-def: $vgpr0_vgpr1
.LBB6_14812:                            ;   in Loop: Header=BB6_13186 Depth=3
	s_andn2_saveexec_b64 s[28:29], s[30:31]
	s_cbranch_execz .LBB6_14818
; %bb.14813:                            ;   in Loop: Header=BB6_13186 Depth=3
	v_cmp_ne_u64_e32 vcc, 0, v[0:1]
                                        ; implicit-def: $vgpr0
                                        ; kill: killed $vgpr0
	s_and_saveexec_b64 s[62:63], vcc
	s_xor_b64 vcc, exec, s[62:63]
	s_cbranch_execz .LBB6_14815
; %bb.14814:                            ;   in Loop: Header=BB6_13186 Depth=3
	v_or_b32_sdwa v0, v2, s44 dst_sel:DWORD dst_unused:UNUSED_PAD src0_sel:BYTE_3 src1_sel:DWORD
	buffer_store_dword v0, off, s[0:3], s33 offset:132 ; 4-byte Folded Spill
                                        ; implicit-def: $vgpr2
.LBB6_14815:                            ;   in Loop: Header=BB6_13186 Depth=3
	s_andn2_saveexec_b64 s[30:31], vcc
	s_cbranch_execz .LBB6_14817
; %bb.14816:                            ;   in Loop: Header=BB6_13186 Depth=3
	v_cmp_lt_i32_e32 vcc, -1, v2
	v_bfrev_b32_e32 v0, 0.5
	v_mov_b32_e32 v1, 0x7c
	v_cndmask_b32_e32 v0, v0, v1, vcc
	buffer_store_dword v0, off, s[0:3], s33 offset:132 ; 4-byte Folded Spill
.LBB6_14817:                            ;   in Loop: Header=BB6_13186 Depth=3
	s_or_b64 exec, exec, s[30:31]
.LBB6_14818:                            ;   in Loop: Header=BB6_13186 Depth=3
	s_or_b64 exec, exec, s[28:29]
	v_lshrrev_b32_e32 v0, 16, v10
	v_cmp_ne_u16_sdwa s[62:63], v0, v33 src0_sel:BYTE_0 src1_sel:DWORD
	v_mov_b32_e32 v1, 0
	s_and_saveexec_b64 s[28:29], s[62:63]
	s_cbranch_execz .LBB6_14826
; %bb.14819:                            ;   in Loop: Header=BB6_13186 Depth=3
	v_cmp_ne_u16_sdwa s[62:63], v0, s97 src0_sel:BYTE_0 src1_sel:DWORD
	v_bfrev_b32_e32 v1, 1
	s_and_saveexec_b64 s[30:31], s[62:63]
	s_cbranch_execz .LBB6_14825
; %bb.14820:                            ;   in Loop: Header=BB6_13186 Depth=3
	v_and_b32_e32 v1, 0x7c0000, v10
	v_bfe_u32 v2, v10, 16, 2
	v_cmp_ne_u32_e32 vcc, s45, v1
                                        ; implicit-def: $vgpr1
	s_and_saveexec_b64 s[62:63], vcc
	s_xor_b64 s[34:35], exec, s[62:63]
	s_cbranch_execz .LBB6_14822
; %bb.14821:                            ;   in Loop: Header=BB6_13186 Depth=3
	v_ffbh_u32_e32 v1, v2
	v_min_u32_e32 v8, 32, v1
	v_subrev_u32_e32 v1, 29, v8
	v_lshlrev_b64 v[0:1], v1, v[0:1]
	v_bfe_u32 v3, v10, 18, 5
	v_and_b32_e32 v0, 3, v0
	v_cmp_eq_u32_e32 vcc, 0, v3
	v_sub_u32_e32 v1, 30, v8
	v_cndmask_b32_e32 v0, v2, v0, vcc
	v_lshlrev_b32_e32 v2, 8, v10
	v_cndmask_b32_e32 v1, v3, v1, vcc
	v_and_b32_e32 v2, 0x80000000, v2
	v_lshl_add_u32 v1, v1, 23, v2
	v_lshl_or_b32 v0, v0, 21, v1
	v_add_u32_e32 v1, 0x38000000, v0
                                        ; implicit-def: $vgpr2
                                        ; implicit-def: $vgpr0
.LBB6_14822:                            ;   in Loop: Header=BB6_13186 Depth=3
	s_andn2_saveexec_b64 s[34:35], s[34:35]
; %bb.14823:                            ;   in Loop: Header=BB6_13186 Depth=3
	v_mov_b32_e32 v1, -1
	v_cmp_gt_i16_sdwa vcc, sext(v0), v1 src0_sel:BYTE_0 src1_sel:DWORD
	v_mov_b32_e32 v0, 0xff800000
	v_mov_b32_e32 v1, 0x7f800000
	v_cndmask_b32_e32 v0, v0, v1, vcc
	v_cmp_eq_u32_e32 vcc, 0, v2
	v_mov_b32_e32 v1, 0x7f800001
	v_cndmask_b32_e32 v1, v1, v0, vcc
; %bb.14824:                            ;   in Loop: Header=BB6_13186 Depth=3
	s_or_b64 exec, exec, s[34:35]
.LBB6_14825:                            ;   in Loop: Header=BB6_13186 Depth=3
	s_or_b64 exec, exec, s[30:31]
.LBB6_14826:                            ;   in Loop: Header=BB6_13186 Depth=3
	s_or_b64 exec, exec, s[28:29]
	v_mul_f32_e32 v2, v12, v1
	v_and_b32_e32 v8, 0x7f800000, v2
	v_mov_b32_e32 v9, v33
	v_cmp_ne_u64_e32 vcc, s[76:77], v[8:9]
	v_and_b32_e32 v0, 0x7fffff, v2
	v_mov_b32_e32 v1, v33
                                        ; implicit-def: $vgpr3
                                        ; kill: killed $vgpr3
	s_and_saveexec_b64 s[28:29], vcc
	s_xor_b64 s[30:31], exec, s[28:29]
	s_cbranch_execz .LBB6_14840
; %bb.14827:                            ;   in Loop: Header=BB6_13186 Depth=3
	v_and_b32_e32 v8, 0x7fffffff, v2
	v_mov_b32_e32 v9, v33
	v_cmp_gt_u64_e32 vcc, s[78:79], v[8:9]
	v_and_b32_sdwa v3, v2, s97 dst_sel:DWORD dst_unused:UNUSED_PAD src0_sel:BYTE_3 src1_sel:DWORD
                                        ; implicit-def: $vgpr8
                                        ; kill: killed $vgpr8
	s_and_saveexec_b64 s[28:29], vcc
	s_xor_b64 s[34:35], exec, s[28:29]
	s_cbranch_execz .LBB6_14837
; %bb.14828:                            ;   in Loop: Header=BB6_13186 Depth=3
	v_mov_b32_e32 v8, 0
	v_cmp_ne_u32_e32 vcc, 0, v2
	buffer_store_dword v8, off, s[0:3], s33 offset:148 ; 4-byte Folded Spill
	s_and_saveexec_b64 s[36:37], vcc
	s_cbranch_execz .LBB6_14836
; %bb.14829:                            ;   in Loop: Header=BB6_13186 Depth=3
	v_bfe_u32 v8, v2, 23, 8
	v_cmp_gt_u32_e64 s[28:29], s47, v8
	v_sub_u32_e32 v2, 0x71, v8
	v_cmp_eq_u32_e32 vcc, 0, v8
	v_cndmask_b32_e64 v2, 0, v2, s[28:29]
	v_mov_b32_e32 v9, 0x70
	v_cndmask_b32_e32 v9, v2, v9, vcc
	v_or_b32_e32 v13, 0x800000, v0
	v_add_u32_e32 v2, 21, v9
	v_cndmask_b32_e32 v0, v13, v0, vcc
	v_lshlrev_b64 v[13:14], v2, -1
	v_add_u32_e32 v2, 20, v9
	v_bfi_b32 v13, v13, 0, v0
	v_lshlrev_b64 v[15:16], v2, 1
	v_lshrrev_b64 v[0:1], v9, v[0:1]
	v_bfi_b32 v14, v14, 0, 0
	v_cmp_eq_u64_e64 s[28:29], v[13:14], v[15:16]
	v_mov_b32_e32 v2, v1
	v_mov_b32_e32 v1, v0
	s_and_saveexec_b64 s[38:39], s[28:29]
; %bb.14830:                            ;   in Loop: Header=BB6_13186 Depth=3
	v_bfe_u32 v1, v0, 21, 1
	v_add_co_u32_e64 v1, s[28:29], v0, v1
	v_add_co_u32_e64 v1, s[28:29], -1, v1
; %bb.14831:                            ;   in Loop: Header=BB6_13186 Depth=3
	s_or_b64 exec, exec, s[38:39]
	v_add_u32_e32 v2, 0xffffff81, v8
	v_mov_b32_e32 v8, 0xffffff82
	v_cndmask_b32_e32 v2, v2, v8, vcc
	v_lshrrev_b32_e32 v8, 23, v0
	v_add3_u32 v9, v9, v2, v8
	v_add_u32_e32 v8, 14, v9
	v_and_b32_e32 v1, 0x1fffff, v1
	v_add_u32_e32 v0, v1, v0
	v_mov_b32_e32 v1, v33
	v_cmp_ne_u32_e32 vcc, 0, v8
                                        ; implicit-def: $vgpr2
	s_and_saveexec_b64 s[28:29], vcc
	s_xor_b64 s[28:29], exec, s[28:29]
; %bb.14832:                            ;   in Loop: Header=BB6_13186 Depth=3
	v_cmp_lt_u64_e32 vcc, s[88:89], v[0:1]
	v_add_u32_e32 v2, 15, v9
	v_cndmask_b32_e32 v2, v8, v2, vcc
	v_cndmask_b32_e64 v8, 0, 1, vcc
	v_lshrrev_b64 v[0:1], v8, v[0:1]
; %bb.14833:                            ;   in Loop: Header=BB6_13186 Depth=3
	s_andn2_saveexec_b64 s[28:29], s[28:29]
; %bb.14834:                            ;   in Loop: Header=BB6_13186 Depth=3
	v_bfe_u32 v2, v0, 23, 1
; %bb.14835:                            ;   in Loop: Header=BB6_13186 Depth=3
	s_or_b64 exec, exec, s[28:29]
	v_lshrrev_b64 v[0:1], 21, v[0:1]
	v_cmp_gt_i32_e32 vcc, 32, v2
	v_cndmask_b32_e32 v1, 0, v1, vcc
	v_cndmask_b32_e32 v0, 3, v0, vcc
	v_cmp_eq_u64_e64 s[28:29], 0, v[0:1]
	v_min_i32_e32 v1, 31, v2
	v_lshlrev_b32_e32 v1, 2, v1
	v_cmp_eq_u32_e32 vcc, 0, v2
	v_and_b32_e32 v1, 0xfc, v1
	v_and_or_b32 v0, v0, 3, v1
	s_and_b64 s[28:29], vcc, s[28:29]
	v_cndmask_b32_e64 v0, v0, 0, s[28:29]
	v_or_b32_e32 v0, v0, v3
	buffer_store_dword v0, off, s[0:3], s33 offset:148 ; 4-byte Folded Spill
.LBB6_14836:                            ;   in Loop: Header=BB6_13186 Depth=3
	s_or_b64 exec, exec, s[36:37]
                                        ; implicit-def: $vgpr3
.LBB6_14837:                            ;   in Loop: Header=BB6_13186 Depth=3
	s_andn2_saveexec_b64 s[28:29], s[34:35]
	s_cbranch_execz .LBB6_14839
; %bb.14838:                            ;   in Loop: Header=BB6_13186 Depth=3
	v_or_b32_e32 v0, 0x7b, v3
	buffer_store_dword v0, off, s[0:3], s33 offset:148 ; 4-byte Folded Spill
.LBB6_14839:                            ;   in Loop: Header=BB6_13186 Depth=3
	s_or_b64 exec, exec, s[28:29]
                                        ; implicit-def: $vgpr2
                                        ; implicit-def: $vgpr0_vgpr1
.LBB6_14840:                            ;   in Loop: Header=BB6_13186 Depth=3
	s_andn2_saveexec_b64 s[28:29], s[30:31]
	s_cbranch_execz .LBB6_14846
; %bb.14841:                            ;   in Loop: Header=BB6_13186 Depth=3
	v_cmp_ne_u64_e32 vcc, 0, v[0:1]
                                        ; implicit-def: $vgpr0
                                        ; kill: killed $vgpr0
	s_and_saveexec_b64 s[62:63], vcc
	s_xor_b64 vcc, exec, s[62:63]
	s_cbranch_execz .LBB6_14843
; %bb.14842:                            ;   in Loop: Header=BB6_13186 Depth=3
	v_or_b32_sdwa v0, v2, s44 dst_sel:DWORD dst_unused:UNUSED_PAD src0_sel:BYTE_3 src1_sel:DWORD
	buffer_store_dword v0, off, s[0:3], s33 offset:148 ; 4-byte Folded Spill
                                        ; implicit-def: $vgpr2
.LBB6_14843:                            ;   in Loop: Header=BB6_13186 Depth=3
	s_andn2_saveexec_b64 s[30:31], vcc
	s_cbranch_execz .LBB6_14845
; %bb.14844:                            ;   in Loop: Header=BB6_13186 Depth=3
	v_cmp_lt_i32_e32 vcc, -1, v2
	v_bfrev_b32_e32 v0, 0.5
	v_mov_b32_e32 v1, 0x7c
	v_cndmask_b32_e32 v0, v0, v1, vcc
	buffer_store_dword v0, off, s[0:3], s33 offset:148 ; 4-byte Folded Spill
.LBB6_14845:                            ;   in Loop: Header=BB6_13186 Depth=3
	s_or_b64 exec, exec, s[30:31]
.LBB6_14846:                            ;   in Loop: Header=BB6_13186 Depth=3
	s_or_b64 exec, exec, s[28:29]
	v_cmp_lt_u32_e32 vcc, s57, v10
	v_mov_b32_e32 v1, 0
	s_and_saveexec_b64 s[28:29], vcc
	s_cbranch_execz .LBB6_14854
; %bb.14847:                            ;   in Loop: Header=BB6_13186 Depth=3
	v_lshrrev_b32_e32 v0, 24, v10
	v_cmp_ne_u32_e32 vcc, s97, v0
	v_bfrev_b32_e32 v1, 1
	s_and_saveexec_b64 s[30:31], vcc
	s_cbranch_execz .LBB6_14853
; %bb.14848:                            ;   in Loop: Header=BB6_13186 Depth=3
	v_and_b32_e32 v1, 0x7c000000, v10
	v_bfe_u32 v2, v10, 24, 2
	v_cmp_ne_u32_e32 vcc, s68, v1
                                        ; implicit-def: $vgpr1
	s_and_saveexec_b64 s[62:63], vcc
	s_xor_b64 s[34:35], exec, s[62:63]
	s_cbranch_execz .LBB6_14850
; %bb.14849:                            ;   in Loop: Header=BB6_13186 Depth=3
	v_ffbh_u32_e32 v1, v2
	v_min_u32_e32 v8, 32, v1
	v_subrev_u32_e32 v1, 29, v8
	v_lshlrev_b64 v[0:1], v1, v[0:1]
	v_bfe_u32 v3, v10, 26, 5
	v_sub_u32_e32 v1, 30, v8
	v_and_b32_e32 v0, 3, v0
	v_cmp_eq_u32_e32 vcc, 0, v3
	v_cndmask_b32_e32 v1, v3, v1, vcc
	v_cndmask_b32_e32 v0, v2, v0, vcc
	v_and_b32_e32 v2, 0x80000000, v10
	v_lshl_add_u32 v1, v1, 23, v2
	v_lshl_or_b32 v0, v0, 21, v1
	v_add_u32_e32 v1, 0x38000000, v0
                                        ; implicit-def: $vgpr2
.LBB6_14850:                            ;   in Loop: Header=BB6_13186 Depth=3
	s_andn2_saveexec_b64 s[34:35], s[34:35]
; %bb.14851:                            ;   in Loop: Header=BB6_13186 Depth=3
	v_cmp_lt_i32_e32 vcc, -1, v10
	v_mov_b32_e32 v0, 0xff800000
	v_mov_b32_e32 v1, 0x7f800000
	v_cndmask_b32_e32 v0, v0, v1, vcc
	v_cmp_eq_u32_e32 vcc, 0, v2
	v_mov_b32_e32 v1, 0x7f800001
	v_cndmask_b32_e32 v1, v1, v0, vcc
; %bb.14852:                            ;   in Loop: Header=BB6_13186 Depth=3
	s_or_b64 exec, exec, s[34:35]
.LBB6_14853:                            ;   in Loop: Header=BB6_13186 Depth=3
	s_or_b64 exec, exec, s[30:31]
.LBB6_14854:                            ;   in Loop: Header=BB6_13186 Depth=3
	s_or_b64 exec, exec, s[28:29]
	v_mul_f32_e32 v2, v12, v1
	v_and_b32_e32 v8, 0x7f800000, v2
	v_mov_b32_e32 v9, v33
	v_cmp_ne_u64_e32 vcc, s[76:77], v[8:9]
	v_and_b32_e32 v0, 0x7fffff, v2
	v_mov_b32_e32 v1, v33
                                        ; implicit-def: $vgpr3
                                        ; kill: killed $vgpr3
	s_and_saveexec_b64 s[28:29], vcc
	s_xor_b64 s[30:31], exec, s[28:29]
	s_cbranch_execz .LBB6_14868
; %bb.14855:                            ;   in Loop: Header=BB6_13186 Depth=3
	v_and_b32_e32 v8, 0x7fffffff, v2
	v_mov_b32_e32 v9, v33
	v_cmp_gt_u64_e32 vcc, s[78:79], v[8:9]
	v_and_b32_sdwa v3, v2, s97 dst_sel:DWORD dst_unused:UNUSED_PAD src0_sel:BYTE_3 src1_sel:DWORD
                                        ; implicit-def: $vgpr7
                                        ; kill: killed $vgpr7
	s_and_saveexec_b64 s[28:29], vcc
	s_xor_b64 s[34:35], exec, s[28:29]
	s_cbranch_execz .LBB6_14865
; %bb.14856:                            ;   in Loop: Header=BB6_13186 Depth=3
	v_mov_b32_e32 v7, 0
	v_cmp_ne_u32_e32 vcc, 0, v2
	buffer_store_dword v7, off, s[0:3], s33 offset:164 ; 4-byte Folded Spill
	s_and_saveexec_b64 s[36:37], vcc
	s_cbranch_execz .LBB6_14864
; %bb.14857:                            ;   in Loop: Header=BB6_13186 Depth=3
	v_bfe_u32 v8, v2, 23, 8
	v_cmp_gt_u32_e64 s[28:29], s47, v8
	v_sub_u32_e32 v2, 0x71, v8
	v_cmp_eq_u32_e32 vcc, 0, v8
	v_cndmask_b32_e64 v2, 0, v2, s[28:29]
	v_mov_b32_e32 v9, 0x70
	v_cndmask_b32_e32 v9, v2, v9, vcc
	v_or_b32_e32 v13, 0x800000, v0
	v_add_u32_e32 v2, 21, v9
	v_cndmask_b32_e32 v0, v13, v0, vcc
	v_lshlrev_b64 v[13:14], v2, -1
	v_add_u32_e32 v2, 20, v9
	v_bfi_b32 v13, v13, 0, v0
	v_lshlrev_b64 v[15:16], v2, 1
	v_lshrrev_b64 v[0:1], v9, v[0:1]
	v_bfi_b32 v14, v14, 0, 0
	v_cmp_eq_u64_e64 s[28:29], v[13:14], v[15:16]
	v_mov_b32_e32 v2, v1
	v_mov_b32_e32 v1, v0
	s_and_saveexec_b64 s[38:39], s[28:29]
; %bb.14858:                            ;   in Loop: Header=BB6_13186 Depth=3
	v_bfe_u32 v1, v0, 21, 1
	v_add_co_u32_e64 v1, s[28:29], v0, v1
	v_add_co_u32_e64 v1, s[28:29], -1, v1
; %bb.14859:                            ;   in Loop: Header=BB6_13186 Depth=3
	s_or_b64 exec, exec, s[38:39]
	v_add_u32_e32 v2, 0xffffff81, v8
	v_mov_b32_e32 v8, 0xffffff82
	v_cndmask_b32_e32 v2, v2, v8, vcc
	v_lshrrev_b32_e32 v8, 23, v0
	v_add3_u32 v9, v9, v2, v8
	v_add_u32_e32 v8, 14, v9
	v_and_b32_e32 v1, 0x1fffff, v1
	v_add_u32_e32 v0, v1, v0
	v_mov_b32_e32 v1, v33
	v_cmp_ne_u32_e32 vcc, 0, v8
                                        ; implicit-def: $vgpr2
	s_and_saveexec_b64 s[28:29], vcc
	s_xor_b64 s[28:29], exec, s[28:29]
; %bb.14860:                            ;   in Loop: Header=BB6_13186 Depth=3
	v_cmp_lt_u64_e32 vcc, s[88:89], v[0:1]
	v_add_u32_e32 v2, 15, v9
	v_cndmask_b32_e32 v2, v8, v2, vcc
	v_cndmask_b32_e64 v8, 0, 1, vcc
	v_lshrrev_b64 v[0:1], v8, v[0:1]
; %bb.14861:                            ;   in Loop: Header=BB6_13186 Depth=3
	s_andn2_saveexec_b64 s[28:29], s[28:29]
; %bb.14862:                            ;   in Loop: Header=BB6_13186 Depth=3
	v_bfe_u32 v2, v0, 23, 1
; %bb.14863:                            ;   in Loop: Header=BB6_13186 Depth=3
	s_or_b64 exec, exec, s[28:29]
	v_lshrrev_b64 v[0:1], 21, v[0:1]
	v_cmp_gt_i32_e32 vcc, 32, v2
	v_cndmask_b32_e32 v1, 0, v1, vcc
	v_cndmask_b32_e32 v0, 3, v0, vcc
	v_cmp_eq_u64_e64 s[28:29], 0, v[0:1]
	v_min_i32_e32 v1, 31, v2
	v_lshlrev_b32_e32 v1, 2, v1
	v_cmp_eq_u32_e32 vcc, 0, v2
	v_and_b32_e32 v1, 0xfc, v1
	v_and_or_b32 v0, v0, 3, v1
	s_and_b64 s[28:29], vcc, s[28:29]
	v_cndmask_b32_e64 v0, v0, 0, s[28:29]
	v_or_b32_e32 v0, v0, v3
	buffer_store_dword v0, off, s[0:3], s33 offset:164 ; 4-byte Folded Spill
.LBB6_14864:                            ;   in Loop: Header=BB6_13186 Depth=3
	s_or_b64 exec, exec, s[36:37]
                                        ; implicit-def: $vgpr3
.LBB6_14865:                            ;   in Loop: Header=BB6_13186 Depth=3
	s_andn2_saveexec_b64 s[28:29], s[34:35]
	s_cbranch_execz .LBB6_14867
; %bb.14866:                            ;   in Loop: Header=BB6_13186 Depth=3
	v_or_b32_e32 v0, 0x7b, v3
	buffer_store_dword v0, off, s[0:3], s33 offset:164 ; 4-byte Folded Spill
.LBB6_14867:                            ;   in Loop: Header=BB6_13186 Depth=3
	s_or_b64 exec, exec, s[28:29]
                                        ; implicit-def: $vgpr2
                                        ; implicit-def: $vgpr0_vgpr1
.LBB6_14868:                            ;   in Loop: Header=BB6_13186 Depth=3
	s_andn2_saveexec_b64 s[28:29], s[30:31]
	s_cbranch_execz .LBB6_14874
; %bb.14869:                            ;   in Loop: Header=BB6_13186 Depth=3
	v_cmp_ne_u64_e32 vcc, 0, v[0:1]
                                        ; implicit-def: $vgpr0
                                        ; kill: killed $vgpr0
	s_and_saveexec_b64 s[62:63], vcc
	s_xor_b64 vcc, exec, s[62:63]
	s_cbranch_execz .LBB6_14871
; %bb.14870:                            ;   in Loop: Header=BB6_13186 Depth=3
	v_or_b32_sdwa v0, v2, s44 dst_sel:DWORD dst_unused:UNUSED_PAD src0_sel:BYTE_3 src1_sel:DWORD
	buffer_store_dword v0, off, s[0:3], s33 offset:164 ; 4-byte Folded Spill
                                        ; implicit-def: $vgpr2
.LBB6_14871:                            ;   in Loop: Header=BB6_13186 Depth=3
	s_andn2_saveexec_b64 s[30:31], vcc
	s_cbranch_execz .LBB6_14873
; %bb.14872:                            ;   in Loop: Header=BB6_13186 Depth=3
	v_cmp_lt_i32_e32 vcc, -1, v2
	v_bfrev_b32_e32 v0, 0.5
	v_mov_b32_e32 v1, 0x7c
	v_cndmask_b32_e32 v0, v0, v1, vcc
	buffer_store_dword v0, off, s[0:3], s33 offset:164 ; 4-byte Folded Spill
.LBB6_14873:                            ;   in Loop: Header=BB6_13186 Depth=3
	s_or_b64 exec, exec, s[30:31]
.LBB6_14874:                            ;   in Loop: Header=BB6_13186 Depth=3
	s_or_b64 exec, exec, s[28:29]
	v_mov_b32_e32 v0, v11
	v_mov_b32_e32 v1, v33
	v_cmp_ne_u16_sdwa s[62:63], v11, v33 src0_sel:BYTE_0 src1_sel:DWORD
	v_mov_b32_e32 v2, 0
	s_and_saveexec_b64 s[28:29], s[62:63]
	s_cbranch_execz .LBB6_14882
; %bb.14875:                            ;   in Loop: Header=BB6_13186 Depth=3
	v_cmp_ne_u16_sdwa s[62:63], v11, s97 src0_sel:BYTE_0 src1_sel:DWORD
	v_bfrev_b32_e32 v2, 1
	s_and_saveexec_b64 s[30:31], s[62:63]
	s_cbranch_execz .LBB6_14881
; %bb.14876:                            ;   in Loop: Header=BB6_13186 Depth=3
	v_and_b32_e32 v2, 0x7c, v11
	v_and_b32_e32 v3, 3, v11
	v_cmp_ne_u32_e32 vcc, s86, v2
                                        ; implicit-def: $vgpr2
	s_and_saveexec_b64 s[62:63], vcc
	s_xor_b64 s[34:35], exec, s[62:63]
	s_cbranch_execz .LBB6_14878
; %bb.14877:                            ;   in Loop: Header=BB6_13186 Depth=3
	v_ffbh_u32_e32 v2, v3
	v_min_u32_e32 v9, 32, v2
	v_subrev_u32_e32 v2, 29, v9
	v_lshlrev_b64 v[1:2], v2, v[0:1]
	v_bfe_u32 v8, v11, 2, 5
	v_and_b32_e32 v1, 3, v1
	v_cmp_eq_u32_e32 vcc, 0, v8
	v_sub_u32_e32 v2, 30, v9
	v_cndmask_b32_e32 v1, v3, v1, vcc
	v_lshlrev_b32_e32 v3, 24, v11
	v_cndmask_b32_e32 v2, v8, v2, vcc
	v_and_b32_e32 v3, 0x80000000, v3
	v_lshl_add_u32 v2, v2, 23, v3
	v_lshl_or_b32 v1, v1, 21, v2
	v_add_u32_e32 v2, 0x38000000, v1
                                        ; implicit-def: $vgpr3
.LBB6_14878:                            ;   in Loop: Header=BB6_13186 Depth=3
	s_andn2_saveexec_b64 s[34:35], s[34:35]
; %bb.14879:                            ;   in Loop: Header=BB6_13186 Depth=3
	v_mov_b32_e32 v1, -1
	v_cmp_gt_i16_sdwa vcc, sext(v11), v1 src0_sel:BYTE_0 src1_sel:DWORD
	v_mov_b32_e32 v1, 0xff800000
	v_mov_b32_e32 v2, 0x7f800000
	v_cndmask_b32_e32 v1, v1, v2, vcc
	v_cmp_eq_u32_e32 vcc, 0, v3
	v_mov_b32_e32 v2, 0x7f800001
	v_cndmask_b32_e32 v2, v2, v1, vcc
; %bb.14880:                            ;   in Loop: Header=BB6_13186 Depth=3
	s_or_b64 exec, exec, s[34:35]
.LBB6_14881:                            ;   in Loop: Header=BB6_13186 Depth=3
	s_or_b64 exec, exec, s[30:31]
.LBB6_14882:                            ;   in Loop: Header=BB6_13186 Depth=3
	s_or_b64 exec, exec, s[28:29]
	v_mul_f32_e32 v3, v12, v2
	v_and_b32_e32 v8, 0x7f800000, v3
	v_mov_b32_e32 v9, v33
	v_cmp_ne_u64_e32 vcc, s[76:77], v[8:9]
	v_and_b32_e32 v1, 0x7fffff, v3
	v_mov_b32_e32 v2, v33
                                        ; implicit-def: $vgpr24
	s_and_saveexec_b64 s[28:29], vcc
	s_xor_b64 s[30:31], exec, s[28:29]
	s_cbranch_execz .LBB6_14896
; %bb.14883:                            ;   in Loop: Header=BB6_13186 Depth=3
	v_and_b32_e32 v8, 0x7fffffff, v3
	v_mov_b32_e32 v9, v33
	v_cmp_gt_u64_e32 vcc, s[78:79], v[8:9]
	v_and_b32_sdwa v8, v3, s97 dst_sel:DWORD dst_unused:UNUSED_PAD src0_sel:BYTE_3 src1_sel:DWORD
                                        ; implicit-def: $vgpr24
	s_and_saveexec_b64 s[28:29], vcc
	s_xor_b64 s[34:35], exec, s[28:29]
	s_cbranch_execz .LBB6_14893
; %bb.14884:                            ;   in Loop: Header=BB6_13186 Depth=3
	v_mov_b32_e32 v24, 0
	v_cmp_ne_u32_e32 vcc, 0, v3
	s_and_saveexec_b64 s[36:37], vcc
	s_cbranch_execz .LBB6_14892
; %bb.14885:                            ;   in Loop: Header=BB6_13186 Depth=3
	v_bfe_u32 v9, v3, 23, 8
	v_cmp_gt_u32_e64 s[28:29], s47, v9
	v_sub_u32_e32 v3, 0x71, v9
	v_cmp_eq_u32_e32 vcc, 0, v9
	v_cndmask_b32_e64 v3, 0, v3, s[28:29]
	v_mov_b32_e32 v13, 0x70
	v_cndmask_b32_e32 v13, v3, v13, vcc
	v_or_b32_e32 v14, 0x800000, v1
	v_add_u32_e32 v3, 21, v13
	v_cndmask_b32_e32 v1, v14, v1, vcc
	v_lshlrev_b64 v[14:15], v3, -1
	v_add_u32_e32 v3, 20, v13
	v_bfi_b32 v14, v14, 0, v1
	v_lshlrev_b64 v[16:17], v3, 1
	v_lshrrev_b64 v[1:2], v13, v[1:2]
	v_bfi_b32 v15, v15, 0, 0
	v_cmp_eq_u64_e64 s[28:29], v[14:15], v[16:17]
	v_mov_b32_e32 v3, v2
	v_mov_b32_e32 v2, v1
	s_and_saveexec_b64 s[38:39], s[28:29]
; %bb.14886:                            ;   in Loop: Header=BB6_13186 Depth=3
	v_bfe_u32 v2, v1, 21, 1
	v_add_co_u32_e64 v2, s[28:29], v1, v2
	v_add_co_u32_e64 v2, s[28:29], -1, v2
; %bb.14887:                            ;   in Loop: Header=BB6_13186 Depth=3
	s_or_b64 exec, exec, s[38:39]
	v_add_u32_e32 v3, 0xffffff81, v9
	v_mov_b32_e32 v9, 0xffffff82
	v_cndmask_b32_e32 v3, v3, v9, vcc
	v_lshrrev_b32_e32 v9, 23, v1
	v_add3_u32 v13, v13, v3, v9
	v_add_u32_e32 v9, 14, v13
	v_and_b32_e32 v2, 0x1fffff, v2
	v_add_u32_e32 v1, v2, v1
	v_mov_b32_e32 v2, v33
	v_cmp_ne_u32_e32 vcc, 0, v9
                                        ; implicit-def: $vgpr3
	s_and_saveexec_b64 s[28:29], vcc
	s_xor_b64 s[28:29], exec, s[28:29]
; %bb.14888:                            ;   in Loop: Header=BB6_13186 Depth=3
	v_cmp_lt_u64_e32 vcc, s[88:89], v[1:2]
	v_add_u32_e32 v3, 15, v13
	v_cndmask_b32_e32 v3, v9, v3, vcc
	v_cndmask_b32_e64 v9, 0, 1, vcc
	v_lshrrev_b64 v[1:2], v9, v[1:2]
; %bb.14889:                            ;   in Loop: Header=BB6_13186 Depth=3
	s_andn2_saveexec_b64 s[28:29], s[28:29]
; %bb.14890:                            ;   in Loop: Header=BB6_13186 Depth=3
	v_bfe_u32 v3, v1, 23, 1
; %bb.14891:                            ;   in Loop: Header=BB6_13186 Depth=3
	s_or_b64 exec, exec, s[28:29]
	v_lshrrev_b64 v[1:2], 21, v[1:2]
	v_cmp_gt_i32_e32 vcc, 32, v3
	v_cndmask_b32_e32 v2, 0, v2, vcc
	v_cndmask_b32_e32 v1, 3, v1, vcc
	v_cmp_eq_u64_e64 s[28:29], 0, v[1:2]
	v_min_i32_e32 v2, 31, v3
	v_lshlrev_b32_e32 v2, 2, v2
	v_cmp_eq_u32_e32 vcc, 0, v3
	v_and_b32_e32 v2, 0xfc, v2
	v_and_or_b32 v1, v1, 3, v2
	s_and_b64 s[28:29], vcc, s[28:29]
	v_cndmask_b32_e64 v1, v1, 0, s[28:29]
	v_or_b32_e32 v24, v1, v8
.LBB6_14892:                            ;   in Loop: Header=BB6_13186 Depth=3
	s_or_b64 exec, exec, s[36:37]
                                        ; implicit-def: $vgpr8
.LBB6_14893:                            ;   in Loop: Header=BB6_13186 Depth=3
	s_andn2_saveexec_b64 s[28:29], s[34:35]
; %bb.14894:                            ;   in Loop: Header=BB6_13186 Depth=3
	v_or_b32_e32 v24, 0x7b, v8
; %bb.14895:                            ;   in Loop: Header=BB6_13186 Depth=3
	s_or_b64 exec, exec, s[28:29]
                                        ; implicit-def: $vgpr3
                                        ; implicit-def: $vgpr1_vgpr2
.LBB6_14896:                            ;   in Loop: Header=BB6_13186 Depth=3
	s_andn2_saveexec_b64 s[28:29], s[30:31]
	s_cbranch_execz .LBB6_14902
; %bb.14897:                            ;   in Loop: Header=BB6_13186 Depth=3
	v_cmp_ne_u64_e32 vcc, 0, v[1:2]
                                        ; implicit-def: $vgpr24
	s_and_saveexec_b64 s[62:63], vcc
	s_xor_b64 vcc, exec, s[62:63]
; %bb.14898:                            ;   in Loop: Header=BB6_13186 Depth=3
	v_or_b32_sdwa v24, v3, s44 dst_sel:DWORD dst_unused:UNUSED_PAD src0_sel:BYTE_3 src1_sel:DWORD
                                        ; implicit-def: $vgpr3
; %bb.14899:                            ;   in Loop: Header=BB6_13186 Depth=3
	s_andn2_saveexec_b64 s[30:31], vcc
; %bb.14900:                            ;   in Loop: Header=BB6_13186 Depth=3
	v_cmp_lt_i32_e32 vcc, -1, v3
	v_bfrev_b32_e32 v1, 0.5
	v_mov_b32_e32 v2, 0x7c
	v_cndmask_b32_e32 v24, v1, v2, vcc
; %bb.14901:                            ;   in Loop: Header=BB6_13186 Depth=3
	s_or_b64 exec, exec, s[30:31]
.LBB6_14902:                            ;   in Loop: Header=BB6_13186 Depth=3
	s_or_b64 exec, exec, s[28:29]
	v_lshrrev_b16_e32 v1, 8, v0
	v_cmp_ne_u16_e32 vcc, 0, v1
	v_mov_b32_e32 v2, 0
	s_and_saveexec_b64 s[28:29], vcc
	s_cbranch_execz .LBB6_14910
; %bb.14903:                            ;   in Loop: Header=BB6_13186 Depth=3
	v_cmp_ne_u16_e32 vcc, s97, v1
	v_bfrev_b32_e32 v2, 1
	s_and_saveexec_b64 s[30:31], vcc
	s_cbranch_execz .LBB6_14909
; %bb.14904:                            ;   in Loop: Header=BB6_13186 Depth=3
	v_and_b32_e32 v2, 0x7c, v1
	v_and_b32_e32 v3, 3, v1
	v_cmp_ne_u32_e32 vcc, s86, v2
                                        ; implicit-def: $vgpr2
	s_and_saveexec_b64 s[62:63], vcc
	s_xor_b64 s[34:35], exec, s[62:63]
	s_cbranch_execz .LBB6_14906
; %bb.14905:                            ;   in Loop: Header=BB6_13186 Depth=3
	v_ffbh_u32_e32 v9, v3
	v_min_u32_e32 v9, 32, v9
	v_mov_b32_e32 v2, v33
	v_subrev_u32_e32 v13, 29, v9
	v_bfe_u32 v8, v1, 2, 5
	v_lshlrev_b64 v[1:2], v13, v[1:2]
	v_sub_u32_e32 v2, 30, v9
	v_cmp_eq_u32_e32 vcc, 0, v8
	v_lshlrev_b32_e32 v0, 16, v0
	v_and_b32_e32 v1, 3, v1
	v_cndmask_b32_e32 v2, v8, v2, vcc
	v_and_b32_e32 v0, 0x80000000, v0
	v_cndmask_b32_e32 v1, v3, v1, vcc
	v_lshl_add_u32 v0, v2, 23, v0
	v_lshl_or_b32 v0, v1, 21, v0
	v_add_u32_e32 v2, 0x38000000, v0
                                        ; implicit-def: $vgpr3
                                        ; implicit-def: $vgpr0_vgpr1
.LBB6_14906:                            ;   in Loop: Header=BB6_13186 Depth=3
	s_andn2_saveexec_b64 s[34:35], s[34:35]
; %bb.14907:                            ;   in Loop: Header=BB6_13186 Depth=3
	v_cmp_lt_i16_e32 vcc, -1, v0
	v_mov_b32_e32 v0, 0xff800000
	v_mov_b32_e32 v1, 0x7f800000
	v_cndmask_b32_e32 v0, v0, v1, vcc
	v_cmp_eq_u32_e32 vcc, 0, v3
	v_mov_b32_e32 v1, 0x7f800001
	v_cndmask_b32_e32 v2, v1, v0, vcc
; %bb.14908:                            ;   in Loop: Header=BB6_13186 Depth=3
	s_or_b64 exec, exec, s[34:35]
.LBB6_14909:                            ;   in Loop: Header=BB6_13186 Depth=3
	s_or_b64 exec, exec, s[30:31]
.LBB6_14910:                            ;   in Loop: Header=BB6_13186 Depth=3
	s_or_b64 exec, exec, s[28:29]
	v_mul_f32_e32 v2, v12, v2
	v_and_b32_e32 v8, 0x7f800000, v2
	v_mov_b32_e32 v9, v33
	v_cmp_ne_u64_e32 vcc, s[76:77], v[8:9]
	v_and_b32_e32 v0, 0x7fffff, v2
	v_mov_b32_e32 v1, v33
                                        ; implicit-def: $vgpr3
                                        ; kill: killed $vgpr3
	s_and_saveexec_b64 s[28:29], vcc
	s_xor_b64 s[30:31], exec, s[28:29]
	s_cbranch_execz .LBB6_14924
; %bb.14911:                            ;   in Loop: Header=BB6_13186 Depth=3
	v_and_b32_e32 v8, 0x7fffffff, v2
	v_mov_b32_e32 v9, v33
	v_cmp_gt_u64_e32 vcc, s[78:79], v[8:9]
	v_and_b32_sdwa v3, v2, s97 dst_sel:DWORD dst_unused:UNUSED_PAD src0_sel:BYTE_3 src1_sel:DWORD
                                        ; implicit-def: $vgpr8
                                        ; kill: killed $vgpr8
	s_and_saveexec_b64 s[28:29], vcc
	s_xor_b64 s[34:35], exec, s[28:29]
	s_cbranch_execz .LBB6_14921
; %bb.14912:                            ;   in Loop: Header=BB6_13186 Depth=3
	v_mov_b32_e32 v8, 0
	v_cmp_ne_u32_e32 vcc, 0, v2
	buffer_store_dword v8, off, s[0:3], s33 offset:108 ; 4-byte Folded Spill
	s_and_saveexec_b64 s[36:37], vcc
	s_cbranch_execz .LBB6_14920
; %bb.14913:                            ;   in Loop: Header=BB6_13186 Depth=3
	v_bfe_u32 v8, v2, 23, 8
	v_cmp_gt_u32_e64 s[28:29], s47, v8
	v_sub_u32_e32 v2, 0x71, v8
	v_cmp_eq_u32_e32 vcc, 0, v8
	v_cndmask_b32_e64 v2, 0, v2, s[28:29]
	v_mov_b32_e32 v9, 0x70
	v_cndmask_b32_e32 v9, v2, v9, vcc
	v_or_b32_e32 v13, 0x800000, v0
	v_add_u32_e32 v2, 21, v9
	v_cndmask_b32_e32 v0, v13, v0, vcc
	v_lshlrev_b64 v[13:14], v2, -1
	v_add_u32_e32 v2, 20, v9
	v_bfi_b32 v13, v13, 0, v0
	v_lshlrev_b64 v[15:16], v2, 1
	v_lshrrev_b64 v[0:1], v9, v[0:1]
	v_bfi_b32 v14, v14, 0, 0
	v_cmp_eq_u64_e64 s[28:29], v[13:14], v[15:16]
	v_mov_b32_e32 v2, v1
	v_mov_b32_e32 v1, v0
	s_and_saveexec_b64 s[38:39], s[28:29]
; %bb.14914:                            ;   in Loop: Header=BB6_13186 Depth=3
	v_bfe_u32 v1, v0, 21, 1
	v_add_co_u32_e64 v1, s[28:29], v0, v1
	v_add_co_u32_e64 v1, s[28:29], -1, v1
; %bb.14915:                            ;   in Loop: Header=BB6_13186 Depth=3
	s_or_b64 exec, exec, s[38:39]
	v_add_u32_e32 v2, 0xffffff81, v8
	v_mov_b32_e32 v8, 0xffffff82
	v_cndmask_b32_e32 v2, v2, v8, vcc
	v_lshrrev_b32_e32 v8, 23, v0
	v_add3_u32 v9, v9, v2, v8
	v_add_u32_e32 v8, 14, v9
	v_and_b32_e32 v1, 0x1fffff, v1
	v_add_u32_e32 v0, v1, v0
	v_mov_b32_e32 v1, v33
	v_cmp_ne_u32_e32 vcc, 0, v8
                                        ; implicit-def: $vgpr2
	s_and_saveexec_b64 s[28:29], vcc
	s_xor_b64 s[28:29], exec, s[28:29]
; %bb.14916:                            ;   in Loop: Header=BB6_13186 Depth=3
	v_cmp_lt_u64_e32 vcc, s[88:89], v[0:1]
	v_add_u32_e32 v2, 15, v9
	v_cndmask_b32_e32 v2, v8, v2, vcc
	v_cndmask_b32_e64 v8, 0, 1, vcc
	v_lshrrev_b64 v[0:1], v8, v[0:1]
; %bb.14917:                            ;   in Loop: Header=BB6_13186 Depth=3
	s_andn2_saveexec_b64 s[28:29], s[28:29]
; %bb.14918:                            ;   in Loop: Header=BB6_13186 Depth=3
	v_bfe_u32 v2, v0, 23, 1
; %bb.14919:                            ;   in Loop: Header=BB6_13186 Depth=3
	s_or_b64 exec, exec, s[28:29]
	v_lshrrev_b64 v[0:1], 21, v[0:1]
	v_cmp_gt_i32_e32 vcc, 32, v2
	v_cndmask_b32_e32 v1, 0, v1, vcc
	v_cndmask_b32_e32 v0, 3, v0, vcc
	v_cmp_eq_u64_e64 s[28:29], 0, v[0:1]
	v_min_i32_e32 v1, 31, v2
	v_lshlrev_b32_e32 v1, 2, v1
	v_cmp_eq_u32_e32 vcc, 0, v2
	v_and_b32_e32 v1, 0xfc, v1
	v_and_or_b32 v0, v0, 3, v1
	s_and_b64 s[28:29], vcc, s[28:29]
	v_cndmask_b32_e64 v0, v0, 0, s[28:29]
	v_or_b32_e32 v0, v0, v3
	buffer_store_dword v0, off, s[0:3], s33 offset:108 ; 4-byte Folded Spill
.LBB6_14920:                            ;   in Loop: Header=BB6_13186 Depth=3
	s_or_b64 exec, exec, s[36:37]
                                        ; implicit-def: $vgpr3
.LBB6_14921:                            ;   in Loop: Header=BB6_13186 Depth=3
	s_andn2_saveexec_b64 s[28:29], s[34:35]
	s_cbranch_execz .LBB6_14923
; %bb.14922:                            ;   in Loop: Header=BB6_13186 Depth=3
	v_or_b32_e32 v0, 0x7b, v3
	buffer_store_dword v0, off, s[0:3], s33 offset:108 ; 4-byte Folded Spill
.LBB6_14923:                            ;   in Loop: Header=BB6_13186 Depth=3
	s_or_b64 exec, exec, s[28:29]
                                        ; implicit-def: $vgpr2
                                        ; implicit-def: $vgpr0_vgpr1
.LBB6_14924:                            ;   in Loop: Header=BB6_13186 Depth=3
	s_andn2_saveexec_b64 s[28:29], s[30:31]
	s_cbranch_execz .LBB6_14930
; %bb.14925:                            ;   in Loop: Header=BB6_13186 Depth=3
	v_cmp_ne_u64_e32 vcc, 0, v[0:1]
                                        ; implicit-def: $vgpr0
                                        ; kill: killed $vgpr0
	s_and_saveexec_b64 s[62:63], vcc
	s_xor_b64 vcc, exec, s[62:63]
	s_cbranch_execz .LBB6_14927
; %bb.14926:                            ;   in Loop: Header=BB6_13186 Depth=3
	v_or_b32_sdwa v0, v2, s44 dst_sel:DWORD dst_unused:UNUSED_PAD src0_sel:BYTE_3 src1_sel:DWORD
	buffer_store_dword v0, off, s[0:3], s33 offset:108 ; 4-byte Folded Spill
                                        ; implicit-def: $vgpr2
.LBB6_14927:                            ;   in Loop: Header=BB6_13186 Depth=3
	s_andn2_saveexec_b64 s[30:31], vcc
	s_cbranch_execz .LBB6_14929
; %bb.14928:                            ;   in Loop: Header=BB6_13186 Depth=3
	v_cmp_lt_i32_e32 vcc, -1, v2
	v_bfrev_b32_e32 v0, 0.5
	v_mov_b32_e32 v1, 0x7c
	v_cndmask_b32_e32 v0, v0, v1, vcc
	buffer_store_dword v0, off, s[0:3], s33 offset:108 ; 4-byte Folded Spill
.LBB6_14929:                            ;   in Loop: Header=BB6_13186 Depth=3
	s_or_b64 exec, exec, s[30:31]
.LBB6_14930:                            ;   in Loop: Header=BB6_13186 Depth=3
	s_or_b64 exec, exec, s[28:29]
	v_lshrrev_b32_e32 v0, 16, v11
	v_cmp_ne_u16_sdwa s[62:63], v0, v33 src0_sel:BYTE_0 src1_sel:DWORD
	v_mov_b32_e32 v1, 0
	s_and_saveexec_b64 s[28:29], s[62:63]
	s_cbranch_execz .LBB6_14938
; %bb.14931:                            ;   in Loop: Header=BB6_13186 Depth=3
	v_cmp_ne_u16_sdwa s[62:63], v0, s97 src0_sel:BYTE_0 src1_sel:DWORD
	v_bfrev_b32_e32 v1, 1
	s_and_saveexec_b64 s[30:31], s[62:63]
	s_cbranch_execz .LBB6_14937
; %bb.14932:                            ;   in Loop: Header=BB6_13186 Depth=3
	v_and_b32_e32 v1, 0x7c0000, v11
	v_bfe_u32 v2, v11, 16, 2
	v_cmp_ne_u32_e32 vcc, s45, v1
                                        ; implicit-def: $vgpr1
	s_and_saveexec_b64 s[62:63], vcc
	s_xor_b64 s[34:35], exec, s[62:63]
	s_cbranch_execz .LBB6_14934
; %bb.14933:                            ;   in Loop: Header=BB6_13186 Depth=3
	v_ffbh_u32_e32 v1, v2
	v_min_u32_e32 v8, 32, v1
	v_subrev_u32_e32 v1, 29, v8
	v_lshlrev_b64 v[0:1], v1, v[0:1]
	v_bfe_u32 v3, v11, 18, 5
	v_and_b32_e32 v0, 3, v0
	v_cmp_eq_u32_e32 vcc, 0, v3
	v_sub_u32_e32 v1, 30, v8
	v_cndmask_b32_e32 v0, v2, v0, vcc
	v_lshlrev_b32_e32 v2, 8, v11
	v_cndmask_b32_e32 v1, v3, v1, vcc
	v_and_b32_e32 v2, 0x80000000, v2
	v_lshl_add_u32 v1, v1, 23, v2
	v_lshl_or_b32 v0, v0, 21, v1
	v_add_u32_e32 v1, 0x38000000, v0
                                        ; implicit-def: $vgpr2
                                        ; implicit-def: $vgpr0
.LBB6_14934:                            ;   in Loop: Header=BB6_13186 Depth=3
	s_andn2_saveexec_b64 s[34:35], s[34:35]
; %bb.14935:                            ;   in Loop: Header=BB6_13186 Depth=3
	v_mov_b32_e32 v1, -1
	v_cmp_gt_i16_sdwa vcc, sext(v0), v1 src0_sel:BYTE_0 src1_sel:DWORD
	v_mov_b32_e32 v0, 0xff800000
	v_mov_b32_e32 v1, 0x7f800000
	v_cndmask_b32_e32 v0, v0, v1, vcc
	v_cmp_eq_u32_e32 vcc, 0, v2
	v_mov_b32_e32 v1, 0x7f800001
	v_cndmask_b32_e32 v1, v1, v0, vcc
; %bb.14936:                            ;   in Loop: Header=BB6_13186 Depth=3
	s_or_b64 exec, exec, s[34:35]
.LBB6_14937:                            ;   in Loop: Header=BB6_13186 Depth=3
	s_or_b64 exec, exec, s[30:31]
.LBB6_14938:                            ;   in Loop: Header=BB6_13186 Depth=3
	s_or_b64 exec, exec, s[28:29]
	v_mul_f32_e32 v2, v12, v1
	v_and_b32_e32 v8, 0x7f800000, v2
	v_mov_b32_e32 v9, v33
	v_cmp_ne_u64_e32 vcc, s[76:77], v[8:9]
	v_and_b32_e32 v0, 0x7fffff, v2
	v_mov_b32_e32 v1, v33
                                        ; implicit-def: $vgpr3
                                        ; kill: killed $vgpr3
	s_and_saveexec_b64 s[28:29], vcc
	s_xor_b64 s[30:31], exec, s[28:29]
	s_cbranch_execz .LBB6_14952
; %bb.14939:                            ;   in Loop: Header=BB6_13186 Depth=3
	v_and_b32_e32 v8, 0x7fffffff, v2
	v_mov_b32_e32 v9, v33
	v_cmp_gt_u64_e32 vcc, s[78:79], v[8:9]
	v_and_b32_sdwa v3, v2, s97 dst_sel:DWORD dst_unused:UNUSED_PAD src0_sel:BYTE_3 src1_sel:DWORD
                                        ; implicit-def: $vgpr8
                                        ; kill: killed $vgpr8
	s_and_saveexec_b64 s[28:29], vcc
	s_xor_b64 s[34:35], exec, s[28:29]
	s_cbranch_execz .LBB6_14949
; %bb.14940:                            ;   in Loop: Header=BB6_13186 Depth=3
	v_mov_b32_e32 v8, 0
	v_cmp_ne_u32_e32 vcc, 0, v2
	buffer_store_dword v8, off, s[0:3], s33 offset:124 ; 4-byte Folded Spill
	s_and_saveexec_b64 s[36:37], vcc
	s_cbranch_execz .LBB6_14948
; %bb.14941:                            ;   in Loop: Header=BB6_13186 Depth=3
	v_bfe_u32 v8, v2, 23, 8
	v_cmp_gt_u32_e64 s[28:29], s47, v8
	v_sub_u32_e32 v2, 0x71, v8
	v_cmp_eq_u32_e32 vcc, 0, v8
	v_cndmask_b32_e64 v2, 0, v2, s[28:29]
	v_mov_b32_e32 v9, 0x70
	v_cndmask_b32_e32 v9, v2, v9, vcc
	v_or_b32_e32 v13, 0x800000, v0
	v_add_u32_e32 v2, 21, v9
	v_cndmask_b32_e32 v0, v13, v0, vcc
	v_lshlrev_b64 v[13:14], v2, -1
	v_add_u32_e32 v2, 20, v9
	v_bfi_b32 v13, v13, 0, v0
	v_lshlrev_b64 v[15:16], v2, 1
	v_lshrrev_b64 v[0:1], v9, v[0:1]
	v_bfi_b32 v14, v14, 0, 0
	v_cmp_eq_u64_e64 s[28:29], v[13:14], v[15:16]
	v_mov_b32_e32 v2, v1
	v_mov_b32_e32 v1, v0
	s_and_saveexec_b64 s[38:39], s[28:29]
; %bb.14942:                            ;   in Loop: Header=BB6_13186 Depth=3
	v_bfe_u32 v1, v0, 21, 1
	v_add_co_u32_e64 v1, s[28:29], v0, v1
	v_add_co_u32_e64 v1, s[28:29], -1, v1
; %bb.14943:                            ;   in Loop: Header=BB6_13186 Depth=3
	s_or_b64 exec, exec, s[38:39]
	v_add_u32_e32 v2, 0xffffff81, v8
	v_mov_b32_e32 v8, 0xffffff82
	v_cndmask_b32_e32 v2, v2, v8, vcc
	v_lshrrev_b32_e32 v8, 23, v0
	v_add3_u32 v9, v9, v2, v8
	v_add_u32_e32 v8, 14, v9
	v_and_b32_e32 v1, 0x1fffff, v1
	v_add_u32_e32 v0, v1, v0
	v_mov_b32_e32 v1, v33
	v_cmp_ne_u32_e32 vcc, 0, v8
                                        ; implicit-def: $vgpr2
	s_and_saveexec_b64 s[28:29], vcc
	s_xor_b64 s[28:29], exec, s[28:29]
; %bb.14944:                            ;   in Loop: Header=BB6_13186 Depth=3
	v_cmp_lt_u64_e32 vcc, s[88:89], v[0:1]
	v_add_u32_e32 v2, 15, v9
	v_cndmask_b32_e32 v2, v8, v2, vcc
	v_cndmask_b32_e64 v8, 0, 1, vcc
	v_lshrrev_b64 v[0:1], v8, v[0:1]
; %bb.14945:                            ;   in Loop: Header=BB6_13186 Depth=3
	s_andn2_saveexec_b64 s[28:29], s[28:29]
; %bb.14946:                            ;   in Loop: Header=BB6_13186 Depth=3
	v_bfe_u32 v2, v0, 23, 1
; %bb.14947:                            ;   in Loop: Header=BB6_13186 Depth=3
	s_or_b64 exec, exec, s[28:29]
	v_lshrrev_b64 v[0:1], 21, v[0:1]
	v_cmp_gt_i32_e32 vcc, 32, v2
	v_cndmask_b32_e32 v1, 0, v1, vcc
	v_cndmask_b32_e32 v0, 3, v0, vcc
	v_cmp_eq_u64_e64 s[28:29], 0, v[0:1]
	v_min_i32_e32 v1, 31, v2
	v_lshlrev_b32_e32 v1, 2, v1
	v_cmp_eq_u32_e32 vcc, 0, v2
	v_and_b32_e32 v1, 0xfc, v1
	v_and_or_b32 v0, v0, 3, v1
	s_and_b64 s[28:29], vcc, s[28:29]
	v_cndmask_b32_e64 v0, v0, 0, s[28:29]
	v_or_b32_e32 v0, v0, v3
	buffer_store_dword v0, off, s[0:3], s33 offset:124 ; 4-byte Folded Spill
.LBB6_14948:                            ;   in Loop: Header=BB6_13186 Depth=3
	s_or_b64 exec, exec, s[36:37]
                                        ; implicit-def: $vgpr3
.LBB6_14949:                            ;   in Loop: Header=BB6_13186 Depth=3
	s_andn2_saveexec_b64 s[28:29], s[34:35]
	s_cbranch_execz .LBB6_14951
; %bb.14950:                            ;   in Loop: Header=BB6_13186 Depth=3
	v_or_b32_e32 v0, 0x7b, v3
	buffer_store_dword v0, off, s[0:3], s33 offset:124 ; 4-byte Folded Spill
.LBB6_14951:                            ;   in Loop: Header=BB6_13186 Depth=3
	s_or_b64 exec, exec, s[28:29]
                                        ; implicit-def: $vgpr2
                                        ; implicit-def: $vgpr0_vgpr1
.LBB6_14952:                            ;   in Loop: Header=BB6_13186 Depth=3
	s_andn2_saveexec_b64 s[28:29], s[30:31]
	s_cbranch_execz .LBB6_14958
; %bb.14953:                            ;   in Loop: Header=BB6_13186 Depth=3
	v_cmp_ne_u64_e32 vcc, 0, v[0:1]
                                        ; implicit-def: $vgpr0
                                        ; kill: killed $vgpr0
	s_and_saveexec_b64 s[62:63], vcc
	s_xor_b64 vcc, exec, s[62:63]
	s_cbranch_execz .LBB6_14955
; %bb.14954:                            ;   in Loop: Header=BB6_13186 Depth=3
	v_or_b32_sdwa v0, v2, s44 dst_sel:DWORD dst_unused:UNUSED_PAD src0_sel:BYTE_3 src1_sel:DWORD
	buffer_store_dword v0, off, s[0:3], s33 offset:124 ; 4-byte Folded Spill
                                        ; implicit-def: $vgpr2
.LBB6_14955:                            ;   in Loop: Header=BB6_13186 Depth=3
	s_andn2_saveexec_b64 s[30:31], vcc
	s_cbranch_execz .LBB6_14957
; %bb.14956:                            ;   in Loop: Header=BB6_13186 Depth=3
	v_cmp_lt_i32_e32 vcc, -1, v2
	v_bfrev_b32_e32 v0, 0.5
	v_mov_b32_e32 v1, 0x7c
	v_cndmask_b32_e32 v0, v0, v1, vcc
	buffer_store_dword v0, off, s[0:3], s33 offset:124 ; 4-byte Folded Spill
.LBB6_14957:                            ;   in Loop: Header=BB6_13186 Depth=3
	s_or_b64 exec, exec, s[30:31]
.LBB6_14958:                            ;   in Loop: Header=BB6_13186 Depth=3
	s_or_b64 exec, exec, s[28:29]
	v_cmp_lt_u64_e32 vcc, s[56:57], v[10:11]
	v_mov_b32_e32 v1, 0
	s_and_saveexec_b64 s[28:29], vcc
	s_cbranch_execz .LBB6_14966
; %bb.14959:                            ;   in Loop: Header=BB6_13186 Depth=3
	v_lshrrev_b32_e32 v0, 24, v11
	v_cmp_ne_u32_e32 vcc, s97, v0
	v_bfrev_b32_e32 v1, 1
	s_and_saveexec_b64 s[30:31], vcc
	s_cbranch_execz .LBB6_14965
; %bb.14960:                            ;   in Loop: Header=BB6_13186 Depth=3
	v_and_b32_e32 v1, 0x7c000000, v11
	v_bfe_u32 v2, v11, 24, 2
	v_cmp_ne_u32_e32 vcc, s68, v1
                                        ; implicit-def: $vgpr1
	s_and_saveexec_b64 s[62:63], vcc
	s_xor_b64 s[34:35], exec, s[62:63]
	s_cbranch_execz .LBB6_14962
; %bb.14961:                            ;   in Loop: Header=BB6_13186 Depth=3
	v_ffbh_u32_e32 v1, v2
	v_min_u32_e32 v8, 32, v1
	v_subrev_u32_e32 v1, 29, v8
	v_lshlrev_b64 v[0:1], v1, v[0:1]
	v_bfe_u32 v3, v11, 26, 5
	v_sub_u32_e32 v1, 30, v8
	v_and_b32_e32 v0, 3, v0
	v_cmp_eq_u32_e32 vcc, 0, v3
	v_cndmask_b32_e32 v1, v3, v1, vcc
	v_cndmask_b32_e32 v0, v2, v0, vcc
	v_and_b32_e32 v2, 0x80000000, v11
	v_lshl_add_u32 v1, v1, 23, v2
	v_lshl_or_b32 v0, v0, 21, v1
	v_add_u32_e32 v1, 0x38000000, v0
                                        ; implicit-def: $vgpr2
                                        ; implicit-def: $vgpr10_vgpr11
.LBB6_14962:                            ;   in Loop: Header=BB6_13186 Depth=3
	s_andn2_saveexec_b64 s[34:35], s[34:35]
; %bb.14963:                            ;   in Loop: Header=BB6_13186 Depth=3
	v_cmp_lt_i64_e32 vcc, -1, v[10:11]
	v_mov_b32_e32 v0, 0xff800000
	v_mov_b32_e32 v1, 0x7f800000
	v_cndmask_b32_e32 v0, v0, v1, vcc
	v_cmp_eq_u32_e32 vcc, 0, v2
	v_mov_b32_e32 v1, 0x7f800001
	v_cndmask_b32_e32 v1, v1, v0, vcc
; %bb.14964:                            ;   in Loop: Header=BB6_13186 Depth=3
	s_or_b64 exec, exec, s[34:35]
.LBB6_14965:                            ;   in Loop: Header=BB6_13186 Depth=3
	s_or_b64 exec, exec, s[30:31]
.LBB6_14966:                            ;   in Loop: Header=BB6_13186 Depth=3
	s_or_b64 exec, exec, s[28:29]
	v_mul_f32_e32 v2, v12, v1
	v_and_b32_e32 v8, 0x7f800000, v2
	v_mov_b32_e32 v9, v33
	v_cmp_ne_u64_e32 vcc, s[76:77], v[8:9]
	v_and_b32_e32 v0, 0x7fffff, v2
	v_mov_b32_e32 v1, v33
                                        ; implicit-def: $vgpr3
                                        ; kill: killed $vgpr3
	s_and_saveexec_b64 s[28:29], vcc
	s_xor_b64 s[30:31], exec, s[28:29]
	s_cbranch_execz .LBB6_14980
; %bb.14967:                            ;   in Loop: Header=BB6_13186 Depth=3
	v_and_b32_e32 v8, 0x7fffffff, v2
	v_mov_b32_e32 v9, v33
	v_cmp_gt_u64_e32 vcc, s[78:79], v[8:9]
	v_and_b32_sdwa v3, v2, s97 dst_sel:DWORD dst_unused:UNUSED_PAD src0_sel:BYTE_3 src1_sel:DWORD
                                        ; implicit-def: $vgpr8
                                        ; kill: killed $vgpr8
	s_and_saveexec_b64 s[28:29], vcc
	s_xor_b64 s[34:35], exec, s[28:29]
	s_cbranch_execz .LBB6_14977
; %bb.14968:                            ;   in Loop: Header=BB6_13186 Depth=3
	v_mov_b32_e32 v8, 0
	v_cmp_ne_u32_e32 vcc, 0, v2
	buffer_store_dword v8, off, s[0:3], s33 offset:156 ; 4-byte Folded Spill
	s_and_saveexec_b64 s[36:37], vcc
	s_cbranch_execz .LBB6_14976
; %bb.14969:                            ;   in Loop: Header=BB6_13186 Depth=3
	v_bfe_u32 v8, v2, 23, 8
	v_cmp_gt_u32_e64 s[28:29], s47, v8
	v_sub_u32_e32 v2, 0x71, v8
	v_cmp_eq_u32_e32 vcc, 0, v8
	v_cndmask_b32_e64 v2, 0, v2, s[28:29]
	v_mov_b32_e32 v9, 0x70
	v_cndmask_b32_e32 v9, v2, v9, vcc
	v_or_b32_e32 v10, 0x800000, v0
	v_add_u32_e32 v2, 21, v9
	v_cndmask_b32_e32 v0, v10, v0, vcc
	v_lshlrev_b64 v[10:11], v2, -1
	v_add_u32_e32 v2, 20, v9
	v_bfi_b32 v10, v10, 0, v0
	v_lshlrev_b64 v[12:13], v2, 1
	v_lshrrev_b64 v[0:1], v9, v[0:1]
	v_bfi_b32 v11, v11, 0, 0
	v_cmp_eq_u64_e64 s[28:29], v[10:11], v[12:13]
	v_mov_b32_e32 v2, v1
	v_mov_b32_e32 v1, v0
	s_and_saveexec_b64 s[38:39], s[28:29]
; %bb.14970:                            ;   in Loop: Header=BB6_13186 Depth=3
	v_bfe_u32 v1, v0, 21, 1
	v_add_co_u32_e64 v1, s[28:29], v0, v1
	v_add_co_u32_e64 v1, s[28:29], -1, v1
; %bb.14971:                            ;   in Loop: Header=BB6_13186 Depth=3
	s_or_b64 exec, exec, s[38:39]
	v_add_u32_e32 v2, 0xffffff81, v8
	v_mov_b32_e32 v8, 0xffffff82
	v_cndmask_b32_e32 v2, v2, v8, vcc
	v_lshrrev_b32_e32 v8, 23, v0
	v_add3_u32 v9, v9, v2, v8
	v_add_u32_e32 v8, 14, v9
	v_and_b32_e32 v1, 0x1fffff, v1
	v_add_u32_e32 v0, v1, v0
	v_mov_b32_e32 v1, v33
	v_cmp_ne_u32_e32 vcc, 0, v8
                                        ; implicit-def: $vgpr2
	s_and_saveexec_b64 s[28:29], vcc
	s_xor_b64 s[28:29], exec, s[28:29]
; %bb.14972:                            ;   in Loop: Header=BB6_13186 Depth=3
	v_cmp_lt_u64_e32 vcc, s[88:89], v[0:1]
	v_add_u32_e32 v2, 15, v9
	v_cndmask_b32_e32 v2, v8, v2, vcc
	v_cndmask_b32_e64 v8, 0, 1, vcc
	v_lshrrev_b64 v[0:1], v8, v[0:1]
; %bb.14973:                            ;   in Loop: Header=BB6_13186 Depth=3
	s_andn2_saveexec_b64 s[28:29], s[28:29]
; %bb.14974:                            ;   in Loop: Header=BB6_13186 Depth=3
	v_bfe_u32 v2, v0, 23, 1
; %bb.14975:                            ;   in Loop: Header=BB6_13186 Depth=3
	s_or_b64 exec, exec, s[28:29]
	v_lshrrev_b64 v[0:1], 21, v[0:1]
	v_cmp_gt_i32_e32 vcc, 32, v2
	v_cndmask_b32_e32 v1, 0, v1, vcc
	v_cndmask_b32_e32 v0, 3, v0, vcc
	v_cmp_eq_u64_e64 s[28:29], 0, v[0:1]
	v_min_i32_e32 v1, 31, v2
	v_lshlrev_b32_e32 v1, 2, v1
	v_cmp_eq_u32_e32 vcc, 0, v2
	v_and_b32_e32 v1, 0xfc, v1
	v_and_or_b32 v0, v0, 3, v1
	s_and_b64 s[28:29], vcc, s[28:29]
	v_cndmask_b32_e64 v0, v0, 0, s[28:29]
	v_or_b32_e32 v0, v0, v3
	buffer_store_dword v0, off, s[0:3], s33 offset:156 ; 4-byte Folded Spill
.LBB6_14976:                            ;   in Loop: Header=BB6_13186 Depth=3
	s_or_b64 exec, exec, s[36:37]
                                        ; implicit-def: $vgpr3
.LBB6_14977:                            ;   in Loop: Header=BB6_13186 Depth=3
	s_andn2_saveexec_b64 s[28:29], s[34:35]
	s_cbranch_execz .LBB6_14979
; %bb.14978:                            ;   in Loop: Header=BB6_13186 Depth=3
	v_or_b32_e32 v0, 0x7b, v3
	buffer_store_dword v0, off, s[0:3], s33 offset:156 ; 4-byte Folded Spill
.LBB6_14979:                            ;   in Loop: Header=BB6_13186 Depth=3
	s_or_b64 exec, exec, s[28:29]
                                        ; implicit-def: $vgpr2
                                        ; implicit-def: $vgpr0_vgpr1
.LBB6_14980:                            ;   in Loop: Header=BB6_13186 Depth=3
	s_andn2_saveexec_b64 s[28:29], s[30:31]
	s_cbranch_execz .LBB6_14986
; %bb.14981:                            ;   in Loop: Header=BB6_13186 Depth=3
	v_cmp_ne_u64_e32 vcc, 0, v[0:1]
                                        ; implicit-def: $vgpr0
                                        ; kill: killed $vgpr0
	s_and_saveexec_b64 s[62:63], vcc
	s_xor_b64 vcc, exec, s[62:63]
	s_cbranch_execz .LBB6_14983
; %bb.14982:                            ;   in Loop: Header=BB6_13186 Depth=3
	v_or_b32_sdwa v0, v2, s44 dst_sel:DWORD dst_unused:UNUSED_PAD src0_sel:BYTE_3 src1_sel:DWORD
	buffer_store_dword v0, off, s[0:3], s33 offset:156 ; 4-byte Folded Spill
                                        ; implicit-def: $vgpr2
.LBB6_14983:                            ;   in Loop: Header=BB6_13186 Depth=3
	s_andn2_saveexec_b64 s[30:31], vcc
	s_cbranch_execz .LBB6_14985
; %bb.14984:                            ;   in Loop: Header=BB6_13186 Depth=3
	v_cmp_lt_i32_e32 vcc, -1, v2
	v_bfrev_b32_e32 v0, 0.5
	v_mov_b32_e32 v1, 0x7c
	v_cndmask_b32_e32 v0, v0, v1, vcc
	buffer_store_dword v0, off, s[0:3], s33 offset:156 ; 4-byte Folded Spill
.LBB6_14985:                            ;   in Loop: Header=BB6_13186 Depth=3
	s_or_b64 exec, exec, s[30:31]
.LBB6_14986:                            ;   in Loop: Header=BB6_13186 Depth=3
	s_or_b64 exec, exec, s[28:29]
	global_load_dwordx4 v[20:23], v[26:27], off glc slc
	global_load_dwordx4 v[16:19], v[26:27], off offset:1024 glc slc
	global_load_dwordx4 v[12:15], v[26:27], off offset:2048 glc slc
	;; [unrolled: 1-line block ×3, first 2 shown]
	v_lshl_or_b32 v42, v42, 8, v39
	v_lshlrev_b32_e32 v0, 16, v57
	v_lshlrev_b32_e32 v1, 24, v5
	v_or3_b32 v0, v0, v1, v42
	v_mov_b32_e32 v1, v33
	v_cmp_ne_u32_e32 vcc, 0, v39
	v_mov_b32_e32 v2, 0
	v_mov_b32_e32 v3, 0
	s_and_saveexec_b64 s[30:31], vcc
	s_cbranch_execz .LBB6_14994
; %bb.14987:                            ;   in Loop: Header=BB6_13186 Depth=3
	v_cmp_ne_u32_e32 vcc, s97, v39
	v_bfrev_b32_e32 v3, 1
	s_and_saveexec_b64 s[34:35], vcc
	s_cbranch_execz .LBB6_14993
; %bb.14988:                            ;   in Loop: Header=BB6_13186 Depth=3
	v_and_b32_e32 v3, 0x7c, v39
	v_and_b32_e32 v5, 3, v39
	v_cmp_ne_u32_e32 vcc, s86, v3
                                        ; implicit-def: $vgpr3
	s_and_saveexec_b64 s[28:29], vcc
	s_xor_b64 s[28:29], exec, s[28:29]
	s_cbranch_execz .LBB6_14990
; %bb.14989:                            ;   in Loop: Header=BB6_13186 Depth=3
	v_ffbh_u32_e32 v31, v5
	v_min_u32_e32 v31, 32, v31
	v_subrev_u32_e32 v32, 29, v31
	v_lshlrev_b64 v[57:58], v32, v[0:1]
	v_bfe_u32 v3, v39, 2, 5
	v_sub_u32_e32 v1, 30, v31
	v_and_b32_e32 v31, 3, v57
	v_cmp_eq_u32_e32 vcc, 0, v3
	v_cndmask_b32_e32 v1, v3, v1, vcc
	v_cndmask_b32_e32 v3, v5, v31, vcc
	v_lshlrev_b32_e32 v5, 24, v39
	v_and_b32_e32 v5, 0x80000000, v5
	v_lshl_add_u32 v1, v1, 23, v5
	v_lshl_or_b32 v1, v3, 21, v1
	v_add_u32_e32 v3, 0x38000000, v1
                                        ; implicit-def: $vgpr5
                                        ; implicit-def: $vgpr39
.LBB6_14990:                            ;   in Loop: Header=BB6_13186 Depth=3
	s_andn2_saveexec_b64 s[36:37], s[28:29]
; %bb.14991:                            ;   in Loop: Header=BB6_13186 Depth=3
	v_and_b32_e32 v1, 0x80, v39
	v_cmp_eq_u32_e64 s[28:29], 0, v1
	v_mov_b32_e32 v1, 0xff800000
	v_mov_b32_e32 v3, 0x7f800000
	v_cmp_eq_u32_e32 vcc, 0, v5
	v_cndmask_b32_e64 v1, v1, v3, s[28:29]
	v_mov_b32_e32 v3, 0x7f800001
	v_cndmask_b32_e32 v3, v3, v1, vcc
; %bb.14992:                            ;   in Loop: Header=BB6_13186 Depth=3
	s_or_b64 exec, exec, s[36:37]
.LBB6_14993:                            ;   in Loop: Header=BB6_13186 Depth=3
	s_or_b64 exec, exec, s[34:35]
.LBB6_14994:                            ;   in Loop: Header=BB6_13186 Depth=3
	s_or_b64 exec, exec, s[30:31]
	s_waitcnt vmcnt(3)
	v_cmp_ne_u16_sdwa s[62:63], v20, v33 src0_sel:BYTE_0 src1_sel:DWORD
	s_and_saveexec_b64 s[28:29], s[62:63]
	s_cbranch_execz .LBB6_15002
; %bb.14995:                            ;   in Loop: Header=BB6_13186 Depth=3
	v_cmp_ne_u16_sdwa s[62:63], sext(v20), s46 src0_sel:BYTE_0 src1_sel:DWORD
	v_bfrev_b32_e32 v2, 1
	s_and_saveexec_b64 s[30:31], s[62:63]
	s_cbranch_execz .LBB6_15001
; %bb.14996:                            ;   in Loop: Header=BB6_13186 Depth=3
	v_and_b32_e32 v2, 0x7c, v20
	v_and_b32_e32 v1, 3, v20
	v_cmp_ne_u32_e32 vcc, s86, v2
                                        ; implicit-def: $vgpr2
	s_and_saveexec_b64 s[62:63], vcc
	s_xor_b64 s[34:35], exec, s[62:63]
	s_cbranch_execz .LBB6_14998
; %bb.14997:                            ;   in Loop: Header=BB6_13186 Depth=3
	v_ffbh_u32_e32 v5, v1
	v_min_u32_e32 v5, 32, v5
	v_bfe_u32 v2, v20, 2, 5
	v_subrev_u32_e32 v31, 29, v5
	v_lshlrev_b64 v[57:58], v31, v[20:21]
	v_sub_u32_e32 v5, 30, v5
	v_cmp_eq_u32_e32 vcc, 0, v2
	v_cndmask_b32_e32 v2, v2, v5, vcc
	v_lshlrev_b32_e32 v5, 24, v20
	v_and_b32_e32 v31, 3, v57
	v_and_b32_e32 v5, 0x80000000, v5
	v_cndmask_b32_e32 v1, v1, v31, vcc
	v_lshl_add_u32 v2, v2, 23, v5
	v_lshl_or_b32 v1, v1, 21, v2
	v_add_u32_e32 v2, 0x38000000, v1
                                        ; implicit-def: $vgpr1
.LBB6_14998:                            ;   in Loop: Header=BB6_13186 Depth=3
	s_andn2_saveexec_b64 s[34:35], s[34:35]
; %bb.14999:                            ;   in Loop: Header=BB6_13186 Depth=3
	v_mov_b32_e32 v2, -1
	v_cmp_gt_i16_sdwa vcc, sext(v20), v2 src0_sel:BYTE_0 src1_sel:DWORD
	v_mov_b32_e32 v2, 0xff800000
	v_mov_b32_e32 v5, 0x7f800000
	v_cndmask_b32_e32 v2, v2, v5, vcc
	v_cmp_eq_u32_e32 vcc, 0, v1
	v_mov_b32_e32 v1, 0x7f800001
	v_cndmask_b32_e32 v2, v1, v2, vcc
; %bb.15000:                            ;   in Loop: Header=BB6_13186 Depth=3
	s_or_b64 exec, exec, s[34:35]
.LBB6_15001:                            ;   in Loop: Header=BB6_13186 Depth=3
	s_or_b64 exec, exec, s[30:31]
.LBB6_15002:                            ;   in Loop: Header=BB6_13186 Depth=3
	s_or_b64 exec, exec, s[28:29]
	v_add_f32_e32 v3, v3, v2
	v_and_b32_e32 v57, 0x7f800000, v3
	v_mov_b32_e32 v58, v33
	v_cmp_ne_u64_e32 vcc, s[76:77], v[57:58]
	v_and_b32_e32 v1, 0x7fffff, v3
	v_mov_b32_e32 v2, v33
                                        ; implicit-def: $vgpr5
                                        ; kill: killed $vgpr5
	s_and_saveexec_b64 s[28:29], vcc
	s_xor_b64 s[30:31], exec, s[28:29]
	s_cbranch_execz .LBB6_15016
; %bb.15003:                            ;   in Loop: Header=BB6_13186 Depth=3
	v_and_b32_e32 v57, 0x7fffffff, v3
	v_mov_b32_e32 v58, v33
	v_cmp_gt_u64_e32 vcc, s[78:79], v[57:58]
	v_and_b32_sdwa v5, v3, s97 dst_sel:DWORD dst_unused:UNUSED_PAD src0_sel:BYTE_3 src1_sel:DWORD
                                        ; implicit-def: $vgpr31
                                        ; kill: killed $vgpr31
	s_and_saveexec_b64 s[28:29], vcc
	s_xor_b64 s[34:35], exec, s[28:29]
	s_cbranch_execz .LBB6_15013
; %bb.15004:                            ;   in Loop: Header=BB6_13186 Depth=3
	v_mov_b32_e32 v31, 0
	v_cmp_ne_u32_e32 vcc, 0, v3
	buffer_store_dword v31, off, s[0:3], s33 offset:92 ; 4-byte Folded Spill
	s_and_saveexec_b64 s[36:37], vcc
	s_cbranch_execz .LBB6_15012
; %bb.15005:                            ;   in Loop: Header=BB6_13186 Depth=3
	v_bfe_u32 v39, v3, 23, 8
	v_cmp_gt_u32_e64 s[28:29], s47, v39
	v_sub_u32_e32 v3, 0x71, v39
	v_cmp_eq_u32_e32 vcc, 0, v39
	v_cndmask_b32_e64 v3, 0, v3, s[28:29]
	v_mov_b32_e32 v32, 0x70
	v_cndmask_b32_e32 v57, v3, v32, vcc
	v_or_b32_e32 v31, 0x800000, v1
	v_add_u32_e32 v3, 21, v57
	v_cndmask_b32_e32 v1, v31, v1, vcc
	v_lshlrev_b64 v[31:32], v3, -1
	v_add_u32_e32 v3, 20, v57
	v_mov_b32_e32 v7, v59
	v_bfi_b32 v31, v31, 0, v1
	v_lshlrev_b64 v[58:59], v3, 1
	v_lshrrev_b64 v[1:2], v57, v[1:2]
	v_bfi_b32 v32, v32, 0, 0
	v_cmp_eq_u64_e64 s[28:29], v[31:32], v[58:59]
	v_mov_b32_e32 v3, v2
	v_mov_b32_e32 v2, v1
	s_and_saveexec_b64 s[38:39], s[28:29]
; %bb.15006:                            ;   in Loop: Header=BB6_13186 Depth=3
	v_bfe_u32 v2, v1, 21, 1
	v_add_co_u32_e64 v2, s[28:29], v1, v2
	v_add_co_u32_e64 v2, s[28:29], -1, v2
; %bb.15007:                            ;   in Loop: Header=BB6_13186 Depth=3
	s_or_b64 exec, exec, s[38:39]
	v_add_u32_e32 v3, 0xffffff81, v39
	v_mov_b32_e32 v31, 0xffffff82
	v_cndmask_b32_e32 v3, v3, v31, vcc
	v_lshrrev_b32_e32 v31, 23, v1
	v_add3_u32 v57, v57, v3, v31
	v_add_u32_e32 v39, 14, v57
	v_and_b32_e32 v2, 0x1fffff, v2
	v_add_u32_e32 v1, v2, v1
	v_mov_b32_e32 v2, v33
	v_cmp_ne_u32_e32 vcc, 0, v39
                                        ; implicit-def: $vgpr3
	s_and_saveexec_b64 s[28:29], vcc
	s_xor_b64 s[28:29], exec, s[28:29]
; %bb.15008:                            ;   in Loop: Header=BB6_13186 Depth=3
	v_cmp_lt_u64_e32 vcc, s[88:89], v[1:2]
	v_add_u32_e32 v3, 15, v57
	v_cndmask_b32_e64 v31, 0, 1, vcc
	v_cndmask_b32_e32 v3, v39, v3, vcc
	v_lshrrev_b64 v[1:2], v31, v[1:2]
; %bb.15009:                            ;   in Loop: Header=BB6_13186 Depth=3
	s_or_saveexec_b64 s[28:29], s[28:29]
	v_mov_b32_e32 v59, v7
	s_xor_b64 exec, exec, s[28:29]
; %bb.15010:                            ;   in Loop: Header=BB6_13186 Depth=3
	v_bfe_u32 v3, v1, 23, 1
; %bb.15011:                            ;   in Loop: Header=BB6_13186 Depth=3
	s_or_b64 exec, exec, s[28:29]
	v_lshrrev_b64 v[1:2], 21, v[1:2]
	v_cmp_gt_i32_e32 vcc, 32, v3
	v_cndmask_b32_e32 v2, 0, v2, vcc
	v_cndmask_b32_e32 v1, 3, v1, vcc
	v_cmp_eq_u64_e64 s[28:29], 0, v[1:2]
	v_min_i32_e32 v2, 31, v3
	v_lshlrev_b32_e32 v2, 2, v2
	v_cmp_eq_u32_e32 vcc, 0, v3
	v_and_b32_e32 v2, 0xfc, v2
	v_and_or_b32 v1, v1, 3, v2
	s_and_b64 s[28:29], vcc, s[28:29]
	v_cndmask_b32_e64 v1, v1, 0, s[28:29]
	v_or_b32_e32 v1, v1, v5
	buffer_store_dword v1, off, s[0:3], s33 offset:92 ; 4-byte Folded Spill
.LBB6_15012:                            ;   in Loop: Header=BB6_13186 Depth=3
	s_or_b64 exec, exec, s[36:37]
                                        ; implicit-def: $vgpr5
.LBB6_15013:                            ;   in Loop: Header=BB6_13186 Depth=3
	s_andn2_saveexec_b64 s[28:29], s[34:35]
	s_cbranch_execz .LBB6_15015
; %bb.15014:                            ;   in Loop: Header=BB6_13186 Depth=3
	v_or_b32_e32 v1, 0x7b, v5
	buffer_store_dword v1, off, s[0:3], s33 offset:92 ; 4-byte Folded Spill
.LBB6_15015:                            ;   in Loop: Header=BB6_13186 Depth=3
	s_or_b64 exec, exec, s[28:29]
                                        ; implicit-def: $vgpr3
                                        ; implicit-def: $vgpr1_vgpr2
.LBB6_15016:                            ;   in Loop: Header=BB6_13186 Depth=3
	s_andn2_saveexec_b64 s[28:29], s[30:31]
	s_cbranch_execz .LBB6_15022
; %bb.15017:                            ;   in Loop: Header=BB6_13186 Depth=3
	v_cmp_ne_u64_e32 vcc, 0, v[1:2]
                                        ; implicit-def: $vgpr1
                                        ; kill: killed $vgpr1
	s_and_saveexec_b64 s[62:63], vcc
	s_xor_b64 vcc, exec, s[62:63]
	s_cbranch_execz .LBB6_15019
; %bb.15018:                            ;   in Loop: Header=BB6_13186 Depth=3
	v_or_b32_sdwa v1, v3, s44 dst_sel:DWORD dst_unused:UNUSED_PAD src0_sel:BYTE_3 src1_sel:DWORD
	buffer_store_dword v1, off, s[0:3], s33 offset:92 ; 4-byte Folded Spill
                                        ; implicit-def: $vgpr3
.LBB6_15019:                            ;   in Loop: Header=BB6_13186 Depth=3
	s_andn2_saveexec_b64 s[30:31], vcc
	s_cbranch_execz .LBB6_15021
; %bb.15020:                            ;   in Loop: Header=BB6_13186 Depth=3
	v_cmp_lt_i32_e32 vcc, -1, v3
	v_bfrev_b32_e32 v1, 0.5
	v_mov_b32_e32 v2, 0x7c
	v_cndmask_b32_e32 v1, v1, v2, vcc
	buffer_store_dword v1, off, s[0:3], s33 offset:92 ; 4-byte Folded Spill
.LBB6_15021:                            ;   in Loop: Header=BB6_13186 Depth=3
	s_or_b64 exec, exec, s[30:31]
.LBB6_15022:                            ;   in Loop: Header=BB6_13186 Depth=3
	s_or_b64 exec, exec, s[28:29]
	v_lshrrev_b16_e32 v1, 8, v42
	v_cmp_ne_u16_e32 vcc, 0, v1
	v_mov_b32_e32 v3, 0
	v_mov_b32_e32 v5, 0
	s_and_saveexec_b64 s[28:29], vcc
	s_cbranch_execz .LBB6_15030
; %bb.15023:                            ;   in Loop: Header=BB6_13186 Depth=3
	v_cmp_ne_u16_e32 vcc, s97, v1
	v_bfrev_b32_e32 v5, 1
	s_and_saveexec_b64 s[30:31], vcc
	s_cbranch_execz .LBB6_15029
; %bb.15024:                            ;   in Loop: Header=BB6_13186 Depth=3
	v_and_b32_e32 v2, 0x7c, v1
	v_and_b32_e32 v39, 3, v1
	v_cmp_ne_u32_e32 vcc, s86, v2
                                        ; implicit-def: $vgpr5
	s_and_saveexec_b64 s[62:63], vcc
	s_xor_b64 s[34:35], exec, s[62:63]
	s_cbranch_execz .LBB6_15026
; %bb.15025:                            ;   in Loop: Header=BB6_13186 Depth=3
	v_ffbh_u32_e32 v31, v39
	v_min_u32_e32 v31, 32, v31
	v_mov_b32_e32 v2, v33
	v_subrev_u32_e32 v32, 29, v31
	v_bfe_u32 v5, v1, 2, 5
	v_lshlrev_b64 v[1:2], v32, v[1:2]
	v_sub_u32_e32 v2, 30, v31
	v_cmp_eq_u32_e32 vcc, 0, v5
	v_cndmask_b32_e32 v2, v5, v2, vcc
	v_lshlrev_b32_e32 v5, 16, v42
	v_and_b32_e32 v1, 3, v1
	v_and_b32_e32 v5, 0x80000000, v5
	v_cndmask_b32_e32 v1, v39, v1, vcc
	v_lshl_add_u32 v2, v2, 23, v5
	v_lshl_or_b32 v1, v1, 21, v2
	v_add_u32_e32 v5, 0x38000000, v1
                                        ; implicit-def: $vgpr39
                                        ; implicit-def: $vgpr42
.LBB6_15026:                            ;   in Loop: Header=BB6_13186 Depth=3
	s_andn2_saveexec_b64 s[34:35], s[34:35]
; %bb.15027:                            ;   in Loop: Header=BB6_13186 Depth=3
	v_cmp_lt_i16_e32 vcc, -1, v42
	v_mov_b32_e32 v1, 0xff800000
	v_mov_b32_e32 v2, 0x7f800000
	v_cndmask_b32_e32 v1, v1, v2, vcc
	v_cmp_eq_u32_e32 vcc, 0, v39
	v_mov_b32_e32 v2, 0x7f800001
	v_cndmask_b32_e32 v5, v2, v1, vcc
; %bb.15028:                            ;   in Loop: Header=BB6_13186 Depth=3
	s_or_b64 exec, exec, s[34:35]
.LBB6_15029:                            ;   in Loop: Header=BB6_13186 Depth=3
	s_or_b64 exec, exec, s[30:31]
.LBB6_15030:                            ;   in Loop: Header=BB6_13186 Depth=3
	s_or_b64 exec, exec, s[28:29]
	v_lshrrev_b16_e32 v1, 8, v20
	v_cmp_ne_u16_e32 vcc, 0, v1
	s_and_saveexec_b64 s[28:29], vcc
	s_cbranch_execz .LBB6_15038
; %bb.15031:                            ;   in Loop: Header=BB6_13186 Depth=3
	v_cmp_ne_u16_e32 vcc, s97, v1
	v_bfrev_b32_e32 v3, 1
	s_and_saveexec_b64 s[30:31], vcc
	s_cbranch_execz .LBB6_15037
; %bb.15032:                            ;   in Loop: Header=BB6_13186 Depth=3
	v_and_b32_e32 v2, 0x7c, v1
	v_and_b32_e32 v39, 3, v1
	v_cmp_ne_u32_e32 vcc, s86, v2
                                        ; implicit-def: $vgpr3
	s_and_saveexec_b64 s[62:63], vcc
	s_xor_b64 s[34:35], exec, s[62:63]
	s_cbranch_execz .LBB6_15034
; %bb.15033:                            ;   in Loop: Header=BB6_13186 Depth=3
	v_ffbh_u32_e32 v31, v39
	v_min_u32_e32 v31, 32, v31
	v_mov_b32_e32 v2, v33
	v_subrev_u32_e32 v32, 29, v31
	v_bfe_u32 v3, v1, 2, 5
	v_lshlrev_b64 v[1:2], v32, v[1:2]
	v_sub_u32_e32 v2, 30, v31
	v_cmp_eq_u32_e32 vcc, 0, v3
	v_cndmask_b32_e32 v2, v3, v2, vcc
	v_lshlrev_b32_e32 v3, 16, v20
	v_and_b32_e32 v1, 3, v1
	v_and_b32_e32 v3, 0x80000000, v3
	v_cndmask_b32_e32 v1, v39, v1, vcc
	v_lshl_add_u32 v2, v2, 23, v3
	v_lshl_or_b32 v1, v1, 21, v2
	v_add_u32_e32 v3, 0x38000000, v1
                                        ; implicit-def: $vgpr39
.LBB6_15034:                            ;   in Loop: Header=BB6_13186 Depth=3
	s_andn2_saveexec_b64 s[34:35], s[34:35]
; %bb.15035:                            ;   in Loop: Header=BB6_13186 Depth=3
	v_cmp_lt_i16_e32 vcc, -1, v20
	v_mov_b32_e32 v1, 0xff800000
	v_mov_b32_e32 v2, 0x7f800000
	v_cndmask_b32_e32 v1, v1, v2, vcc
	v_cmp_eq_u32_e32 vcc, 0, v39
	v_mov_b32_e32 v2, 0x7f800001
	v_cndmask_b32_e32 v3, v2, v1, vcc
; %bb.15036:                            ;   in Loop: Header=BB6_13186 Depth=3
	s_or_b64 exec, exec, s[34:35]
.LBB6_15037:                            ;   in Loop: Header=BB6_13186 Depth=3
	s_or_b64 exec, exec, s[30:31]
.LBB6_15038:                            ;   in Loop: Header=BB6_13186 Depth=3
	s_or_b64 exec, exec, s[28:29]
	v_add_f32_e32 v3, v5, v3
	v_and_b32_e32 v31, 0x7f800000, v3
	v_mov_b32_e32 v32, v33
	v_cmp_ne_u64_e32 vcc, s[76:77], v[31:32]
	v_and_b32_e32 v1, 0x7fffff, v3
	v_mov_b32_e32 v2, v33
                                        ; implicit-def: $vgpr5
                                        ; kill: killed $vgpr5
	s_and_saveexec_b64 s[28:29], vcc
	s_xor_b64 s[30:31], exec, s[28:29]
	s_cbranch_execz .LBB6_15052
; %bb.15039:                            ;   in Loop: Header=BB6_13186 Depth=3
	v_and_b32_e32 v31, 0x7fffffff, v3
	v_mov_b32_e32 v32, v33
	v_cmp_gt_u64_e32 vcc, s[78:79], v[31:32]
	v_and_b32_sdwa v5, v3, s97 dst_sel:DWORD dst_unused:UNUSED_PAD src0_sel:BYTE_3 src1_sel:DWORD
                                        ; implicit-def: $vgpr31
                                        ; kill: killed $vgpr31
	s_and_saveexec_b64 s[28:29], vcc
	s_xor_b64 s[34:35], exec, s[28:29]
	s_cbranch_execz .LBB6_15049
; %bb.15040:                            ;   in Loop: Header=BB6_13186 Depth=3
	v_mov_b32_e32 v31, 0
	v_cmp_ne_u32_e32 vcc, 0, v3
	buffer_store_dword v31, off, s[0:3], s33 offset:100 ; 4-byte Folded Spill
	s_and_saveexec_b64 s[36:37], vcc
	s_cbranch_execz .LBB6_15048
; %bb.15041:                            ;   in Loop: Header=BB6_13186 Depth=3
	v_bfe_u32 v39, v3, 23, 8
	v_cmp_gt_u32_e64 s[28:29], s47, v39
	v_sub_u32_e32 v3, 0x71, v39
	v_cmp_eq_u32_e32 vcc, 0, v39
	v_cndmask_b32_e64 v3, 0, v3, s[28:29]
	v_mov_b32_e32 v32, 0x70
	v_cndmask_b32_e32 v42, v3, v32, vcc
	v_or_b32_e32 v31, 0x800000, v1
	v_add_u32_e32 v3, 21, v42
	v_cndmask_b32_e32 v1, v31, v1, vcc
	v_lshlrev_b64 v[31:32], v3, -1
	v_add_u32_e32 v3, 20, v42
	v_bfi_b32 v31, v31, 0, v1
	v_lshlrev_b64 v[57:58], v3, 1
	v_lshrrev_b64 v[1:2], v42, v[1:2]
	v_bfi_b32 v32, v32, 0, 0
	v_cmp_eq_u64_e64 s[28:29], v[31:32], v[57:58]
	v_mov_b32_e32 v3, v2
	v_mov_b32_e32 v2, v1
	s_and_saveexec_b64 s[38:39], s[28:29]
; %bb.15042:                            ;   in Loop: Header=BB6_13186 Depth=3
	v_bfe_u32 v2, v1, 21, 1
	v_add_co_u32_e64 v2, s[28:29], v1, v2
	v_add_co_u32_e64 v2, s[28:29], -1, v2
; %bb.15043:                            ;   in Loop: Header=BB6_13186 Depth=3
	s_or_b64 exec, exec, s[38:39]
	v_add_u32_e32 v3, 0xffffff81, v39
	v_mov_b32_e32 v31, 0xffffff82
	v_cndmask_b32_e32 v3, v3, v31, vcc
	v_lshrrev_b32_e32 v31, 23, v1
	v_add3_u32 v42, v42, v3, v31
	v_add_u32_e32 v39, 14, v42
	v_and_b32_e32 v2, 0x1fffff, v2
	v_add_u32_e32 v1, v2, v1
	v_mov_b32_e32 v2, v33
	v_cmp_ne_u32_e32 vcc, 0, v39
                                        ; implicit-def: $vgpr3
	s_and_saveexec_b64 s[28:29], vcc
	s_xor_b64 s[28:29], exec, s[28:29]
; %bb.15044:                            ;   in Loop: Header=BB6_13186 Depth=3
	v_cmp_lt_u64_e32 vcc, s[88:89], v[1:2]
	v_add_u32_e32 v3, 15, v42
	v_cndmask_b32_e64 v31, 0, 1, vcc
	v_cndmask_b32_e32 v3, v39, v3, vcc
	v_lshrrev_b64 v[1:2], v31, v[1:2]
; %bb.15045:                            ;   in Loop: Header=BB6_13186 Depth=3
	s_andn2_saveexec_b64 s[28:29], s[28:29]
; %bb.15046:                            ;   in Loop: Header=BB6_13186 Depth=3
	v_bfe_u32 v3, v1, 23, 1
; %bb.15047:                            ;   in Loop: Header=BB6_13186 Depth=3
	s_or_b64 exec, exec, s[28:29]
	v_lshrrev_b64 v[1:2], 21, v[1:2]
	v_cmp_gt_i32_e32 vcc, 32, v3
	v_cndmask_b32_e32 v2, 0, v2, vcc
	v_cndmask_b32_e32 v1, 3, v1, vcc
	v_cmp_eq_u64_e64 s[28:29], 0, v[1:2]
	v_min_i32_e32 v2, 31, v3
	v_lshlrev_b32_e32 v2, 2, v2
	v_cmp_eq_u32_e32 vcc, 0, v3
	v_and_b32_e32 v2, 0xfc, v2
	v_and_or_b32 v1, v1, 3, v2
	s_and_b64 s[28:29], vcc, s[28:29]
	v_cndmask_b32_e64 v1, v1, 0, s[28:29]
	v_or_b32_e32 v1, v1, v5
	buffer_store_dword v1, off, s[0:3], s33 offset:100 ; 4-byte Folded Spill
.LBB6_15048:                            ;   in Loop: Header=BB6_13186 Depth=3
	s_or_b64 exec, exec, s[36:37]
                                        ; implicit-def: $vgpr5
.LBB6_15049:                            ;   in Loop: Header=BB6_13186 Depth=3
	s_andn2_saveexec_b64 s[28:29], s[34:35]
	s_cbranch_execz .LBB6_15051
; %bb.15050:                            ;   in Loop: Header=BB6_13186 Depth=3
	v_or_b32_e32 v1, 0x7b, v5
	buffer_store_dword v1, off, s[0:3], s33 offset:100 ; 4-byte Folded Spill
.LBB6_15051:                            ;   in Loop: Header=BB6_13186 Depth=3
	s_or_b64 exec, exec, s[28:29]
                                        ; implicit-def: $vgpr3
                                        ; implicit-def: $vgpr1_vgpr2
.LBB6_15052:                            ;   in Loop: Header=BB6_13186 Depth=3
	s_andn2_saveexec_b64 s[28:29], s[30:31]
	s_cbranch_execz .LBB6_15058
; %bb.15053:                            ;   in Loop: Header=BB6_13186 Depth=3
	v_cmp_ne_u64_e32 vcc, 0, v[1:2]
                                        ; implicit-def: $vgpr1
                                        ; kill: killed $vgpr1
	s_and_saveexec_b64 s[62:63], vcc
	s_xor_b64 vcc, exec, s[62:63]
	s_cbranch_execz .LBB6_15055
; %bb.15054:                            ;   in Loop: Header=BB6_13186 Depth=3
	v_or_b32_sdwa v1, v3, s44 dst_sel:DWORD dst_unused:UNUSED_PAD src0_sel:BYTE_3 src1_sel:DWORD
	buffer_store_dword v1, off, s[0:3], s33 offset:100 ; 4-byte Folded Spill
                                        ; implicit-def: $vgpr3
.LBB6_15055:                            ;   in Loop: Header=BB6_13186 Depth=3
	s_andn2_saveexec_b64 s[30:31], vcc
	s_cbranch_execz .LBB6_15057
; %bb.15056:                            ;   in Loop: Header=BB6_13186 Depth=3
	v_cmp_lt_i32_e32 vcc, -1, v3
	v_bfrev_b32_e32 v1, 0.5
	v_mov_b32_e32 v2, 0x7c
	v_cndmask_b32_e32 v1, v1, v2, vcc
	buffer_store_dword v1, off, s[0:3], s33 offset:100 ; 4-byte Folded Spill
.LBB6_15057:                            ;   in Loop: Header=BB6_13186 Depth=3
	s_or_b64 exec, exec, s[30:31]
.LBB6_15058:                            ;   in Loop: Header=BB6_13186 Depth=3
	s_or_b64 exec, exec, s[28:29]
	v_and_b32_sdwa v5, v0, s96 dst_sel:DWORD dst_unused:UNUSED_PAD src0_sel:WORD_1 src1_sel:DWORD
	v_lshrrev_b32_e32 v1, 16, v0
	v_cmp_ne_u16_e32 vcc, 0, v5
	v_mov_b32_e32 v2, 0
	v_mov_b32_e32 v3, 0
	s_and_saveexec_b64 s[28:29], vcc
	s_cbranch_execz .LBB6_15066
; %bb.15059:                            ;   in Loop: Header=BB6_13186 Depth=3
	v_cmp_ne_u16_e32 vcc, s97, v5
	v_bfrev_b32_e32 v3, 1
	s_and_saveexec_b64 s[30:31], vcc
	s_cbranch_execz .LBB6_15065
; %bb.15060:                            ;   in Loop: Header=BB6_13186 Depth=3
	v_and_b32_e32 v3, 0x7c0000, v0
	v_bfe_u32 v5, v0, 16, 2
	v_cmp_ne_u32_e32 vcc, s45, v3
                                        ; implicit-def: $vgpr3
	s_and_saveexec_b64 s[62:63], vcc
	s_xor_b64 s[34:35], exec, s[62:63]
	s_cbranch_execz .LBB6_15062
; %bb.15061:                            ;   in Loop: Header=BB6_13186 Depth=3
	v_ffbh_u32_e32 v31, v5
	v_min_u32_e32 v39, 32, v31
	v_subrev_u32_e32 v31, 29, v39
	v_lshlrev_b64 v[31:32], v31, v[1:2]
	v_bfe_u32 v3, v0, 18, 5
	v_sub_u32_e32 v1, 30, v39
	v_and_b32_e32 v31, 3, v31
	v_cmp_eq_u32_e32 vcc, 0, v3
	v_cndmask_b32_e32 v1, v3, v1, vcc
	v_cndmask_b32_e32 v3, v5, v31, vcc
	v_lshlrev_b32_e32 v5, 8, v0
	v_and_b32_e32 v5, 0x80000000, v5
	v_lshl_add_u32 v1, v1, 23, v5
	v_lshl_or_b32 v1, v3, 21, v1
	v_add_u32_e32 v3, 0x38000000, v1
                                        ; implicit-def: $vgpr5
                                        ; implicit-def: $vgpr1
.LBB6_15062:                            ;   in Loop: Header=BB6_13186 Depth=3
	s_andn2_saveexec_b64 s[34:35], s[34:35]
; %bb.15063:                            ;   in Loop: Header=BB6_13186 Depth=3
	v_mov_b32_e32 v3, -1
	v_cmp_gt_i16_sdwa vcc, sext(v1), v3 src0_sel:BYTE_0 src1_sel:DWORD
	v_mov_b32_e32 v1, 0xff800000
	v_mov_b32_e32 v3, 0x7f800000
	v_cndmask_b32_e32 v1, v1, v3, vcc
	v_cmp_eq_u32_e32 vcc, 0, v5
	v_mov_b32_e32 v3, 0x7f800001
	v_cndmask_b32_e32 v3, v3, v1, vcc
; %bb.15064:                            ;   in Loop: Header=BB6_13186 Depth=3
	s_or_b64 exec, exec, s[34:35]
.LBB6_15065:                            ;   in Loop: Header=BB6_13186 Depth=3
	s_or_b64 exec, exec, s[30:31]
.LBB6_15066:                            ;   in Loop: Header=BB6_13186 Depth=3
	s_or_b64 exec, exec, s[28:29]
	v_lshrrev_b32_e32 v1, 16, v20
	v_cmp_ne_u16_sdwa s[62:63], v1, v33 src0_sel:BYTE_0 src1_sel:DWORD
	s_and_saveexec_b64 s[28:29], s[62:63]
	s_cbranch_execz .LBB6_15074
; %bb.15067:                            ;   in Loop: Header=BB6_13186 Depth=3
	v_cmp_ne_u16_sdwa s[62:63], v1, s97 src0_sel:BYTE_0 src1_sel:DWORD
	v_bfrev_b32_e32 v2, 1
	s_and_saveexec_b64 s[30:31], s[62:63]
	s_cbranch_execz .LBB6_15073
; %bb.15068:                            ;   in Loop: Header=BB6_13186 Depth=3
	v_and_b32_e32 v2, 0x7c0000, v20
	v_bfe_u32 v5, v20, 16, 2
	v_cmp_ne_u32_e32 vcc, s45, v2
                                        ; implicit-def: $vgpr2
	s_and_saveexec_b64 s[62:63], vcc
	s_xor_b64 s[34:35], exec, s[62:63]
	s_cbranch_execz .LBB6_15070
; %bb.15069:                            ;   in Loop: Header=BB6_13186 Depth=3
	v_ffbh_u32_e32 v2, v5
	v_min_u32_e32 v32, 32, v2
	v_subrev_u32_e32 v2, 29, v32
	v_lshlrev_b64 v[1:2], v2, v[1:2]
	v_bfe_u32 v31, v20, 18, 5
	v_and_b32_e32 v1, 3, v1
	v_cmp_eq_u32_e32 vcc, 0, v31
	v_sub_u32_e32 v2, 30, v32
	v_cndmask_b32_e32 v1, v5, v1, vcc
	v_lshlrev_b32_e32 v5, 8, v20
	v_cndmask_b32_e32 v2, v31, v2, vcc
	v_and_b32_e32 v5, 0x80000000, v5
	v_lshl_add_u32 v2, v2, 23, v5
	v_lshl_or_b32 v1, v1, 21, v2
	v_add_u32_e32 v2, 0x38000000, v1
                                        ; implicit-def: $vgpr5
                                        ; implicit-def: $vgpr1
.LBB6_15070:                            ;   in Loop: Header=BB6_13186 Depth=3
	s_andn2_saveexec_b64 s[34:35], s[34:35]
; %bb.15071:                            ;   in Loop: Header=BB6_13186 Depth=3
	v_mov_b32_e32 v2, -1
	v_cmp_gt_i16_sdwa vcc, sext(v1), v2 src0_sel:BYTE_0 src1_sel:DWORD
	v_mov_b32_e32 v1, 0xff800000
	v_mov_b32_e32 v2, 0x7f800000
	v_cndmask_b32_e32 v1, v1, v2, vcc
	v_cmp_eq_u32_e32 vcc, 0, v5
	v_mov_b32_e32 v2, 0x7f800001
	v_cndmask_b32_e32 v2, v2, v1, vcc
; %bb.15072:                            ;   in Loop: Header=BB6_13186 Depth=3
	s_or_b64 exec, exec, s[34:35]
.LBB6_15073:                            ;   in Loop: Header=BB6_13186 Depth=3
	s_or_b64 exec, exec, s[30:31]
.LBB6_15074:                            ;   in Loop: Header=BB6_13186 Depth=3
	s_or_b64 exec, exec, s[28:29]
	v_add_f32_e32 v3, v3, v2
	v_and_b32_e32 v31, 0x7f800000, v3
	v_mov_b32_e32 v32, v33
	v_cmp_ne_u64_e32 vcc, s[76:77], v[31:32]
	v_and_b32_e32 v1, 0x7fffff, v3
	v_mov_b32_e32 v2, v33
                                        ; implicit-def: $vgpr5
                                        ; kill: killed $vgpr5
	s_and_saveexec_b64 s[28:29], vcc
	s_xor_b64 s[30:31], exec, s[28:29]
	s_cbranch_execz .LBB6_15088
; %bb.15075:                            ;   in Loop: Header=BB6_13186 Depth=3
	v_and_b32_e32 v31, 0x7fffffff, v3
	v_mov_b32_e32 v32, v33
	v_cmp_gt_u64_e32 vcc, s[78:79], v[31:32]
	v_and_b32_sdwa v5, v3, s97 dst_sel:DWORD dst_unused:UNUSED_PAD src0_sel:BYTE_3 src1_sel:DWORD
                                        ; implicit-def: $vgpr31
                                        ; kill: killed $vgpr31
	s_and_saveexec_b64 s[28:29], vcc
	s_xor_b64 s[34:35], exec, s[28:29]
	s_cbranch_execz .LBB6_15085
; %bb.15076:                            ;   in Loop: Header=BB6_13186 Depth=3
	v_mov_b32_e32 v31, 0
	v_cmp_ne_u32_e32 vcc, 0, v3
	buffer_store_dword v31, off, s[0:3], s33 offset:116 ; 4-byte Folded Spill
	s_and_saveexec_b64 s[36:37], vcc
	s_cbranch_execz .LBB6_15084
; %bb.15077:                            ;   in Loop: Header=BB6_13186 Depth=3
	v_bfe_u32 v39, v3, 23, 8
	v_cmp_gt_u32_e64 s[28:29], s47, v39
	v_sub_u32_e32 v3, 0x71, v39
	v_cmp_eq_u32_e32 vcc, 0, v39
	v_cndmask_b32_e64 v3, 0, v3, s[28:29]
	v_mov_b32_e32 v32, 0x70
	v_cndmask_b32_e32 v42, v3, v32, vcc
	v_or_b32_e32 v31, 0x800000, v1
	v_add_u32_e32 v3, 21, v42
	v_cndmask_b32_e32 v1, v31, v1, vcc
	v_lshlrev_b64 v[31:32], v3, -1
	v_add_u32_e32 v3, 20, v42
	v_bfi_b32 v31, v31, 0, v1
	v_lshlrev_b64 v[57:58], v3, 1
	v_lshrrev_b64 v[1:2], v42, v[1:2]
	v_bfi_b32 v32, v32, 0, 0
	v_cmp_eq_u64_e64 s[28:29], v[31:32], v[57:58]
	v_mov_b32_e32 v3, v2
	v_mov_b32_e32 v2, v1
	s_and_saveexec_b64 s[38:39], s[28:29]
; %bb.15078:                            ;   in Loop: Header=BB6_13186 Depth=3
	v_bfe_u32 v2, v1, 21, 1
	v_add_co_u32_e64 v2, s[28:29], v1, v2
	v_add_co_u32_e64 v2, s[28:29], -1, v2
; %bb.15079:                            ;   in Loop: Header=BB6_13186 Depth=3
	s_or_b64 exec, exec, s[38:39]
	v_add_u32_e32 v3, 0xffffff81, v39
	v_mov_b32_e32 v31, 0xffffff82
	v_cndmask_b32_e32 v3, v3, v31, vcc
	v_lshrrev_b32_e32 v31, 23, v1
	v_add3_u32 v42, v42, v3, v31
	v_add_u32_e32 v39, 14, v42
	v_and_b32_e32 v2, 0x1fffff, v2
	v_add_u32_e32 v1, v2, v1
	v_mov_b32_e32 v2, v33
	v_cmp_ne_u32_e32 vcc, 0, v39
                                        ; implicit-def: $vgpr3
	s_and_saveexec_b64 s[28:29], vcc
	s_xor_b64 s[28:29], exec, s[28:29]
; %bb.15080:                            ;   in Loop: Header=BB6_13186 Depth=3
	v_cmp_lt_u64_e32 vcc, s[88:89], v[1:2]
	v_add_u32_e32 v3, 15, v42
	v_cndmask_b32_e64 v31, 0, 1, vcc
	v_cndmask_b32_e32 v3, v39, v3, vcc
	v_lshrrev_b64 v[1:2], v31, v[1:2]
; %bb.15081:                            ;   in Loop: Header=BB6_13186 Depth=3
	s_andn2_saveexec_b64 s[28:29], s[28:29]
; %bb.15082:                            ;   in Loop: Header=BB6_13186 Depth=3
	v_bfe_u32 v3, v1, 23, 1
; %bb.15083:                            ;   in Loop: Header=BB6_13186 Depth=3
	s_or_b64 exec, exec, s[28:29]
	v_lshrrev_b64 v[1:2], 21, v[1:2]
	v_cmp_gt_i32_e32 vcc, 32, v3
	v_cndmask_b32_e32 v2, 0, v2, vcc
	v_cndmask_b32_e32 v1, 3, v1, vcc
	v_cmp_eq_u64_e64 s[28:29], 0, v[1:2]
	v_min_i32_e32 v2, 31, v3
	v_lshlrev_b32_e32 v2, 2, v2
	v_cmp_eq_u32_e32 vcc, 0, v3
	v_and_b32_e32 v2, 0xfc, v2
	v_and_or_b32 v1, v1, 3, v2
	s_and_b64 s[28:29], vcc, s[28:29]
	v_cndmask_b32_e64 v1, v1, 0, s[28:29]
	v_or_b32_e32 v1, v1, v5
	buffer_store_dword v1, off, s[0:3], s33 offset:116 ; 4-byte Folded Spill
.LBB6_15084:                            ;   in Loop: Header=BB6_13186 Depth=3
	s_or_b64 exec, exec, s[36:37]
                                        ; implicit-def: $vgpr5
.LBB6_15085:                            ;   in Loop: Header=BB6_13186 Depth=3
	s_andn2_saveexec_b64 s[28:29], s[34:35]
	s_cbranch_execz .LBB6_15087
; %bb.15086:                            ;   in Loop: Header=BB6_13186 Depth=3
	v_or_b32_e32 v1, 0x7b, v5
	buffer_store_dword v1, off, s[0:3], s33 offset:116 ; 4-byte Folded Spill
.LBB6_15087:                            ;   in Loop: Header=BB6_13186 Depth=3
	s_or_b64 exec, exec, s[28:29]
                                        ; implicit-def: $vgpr3
                                        ; implicit-def: $vgpr1_vgpr2
.LBB6_15088:                            ;   in Loop: Header=BB6_13186 Depth=3
	s_andn2_saveexec_b64 s[28:29], s[30:31]
	s_cbranch_execz .LBB6_15094
; %bb.15089:                            ;   in Loop: Header=BB6_13186 Depth=3
	v_cmp_ne_u64_e32 vcc, 0, v[1:2]
                                        ; implicit-def: $vgpr1
                                        ; kill: killed $vgpr1
	s_and_saveexec_b64 s[62:63], vcc
	s_xor_b64 vcc, exec, s[62:63]
	s_cbranch_execz .LBB6_15091
; %bb.15090:                            ;   in Loop: Header=BB6_13186 Depth=3
	v_or_b32_sdwa v1, v3, s44 dst_sel:DWORD dst_unused:UNUSED_PAD src0_sel:BYTE_3 src1_sel:DWORD
	buffer_store_dword v1, off, s[0:3], s33 offset:116 ; 4-byte Folded Spill
                                        ; implicit-def: $vgpr3
.LBB6_15091:                            ;   in Loop: Header=BB6_13186 Depth=3
	s_andn2_saveexec_b64 s[30:31], vcc
	s_cbranch_execz .LBB6_15093
; %bb.15092:                            ;   in Loop: Header=BB6_13186 Depth=3
	v_cmp_lt_i32_e32 vcc, -1, v3
	v_bfrev_b32_e32 v1, 0.5
	v_mov_b32_e32 v2, 0x7c
	v_cndmask_b32_e32 v1, v1, v2, vcc
	buffer_store_dword v1, off, s[0:3], s33 offset:116 ; 4-byte Folded Spill
.LBB6_15093:                            ;   in Loop: Header=BB6_13186 Depth=3
	s_or_b64 exec, exec, s[30:31]
.LBB6_15094:                            ;   in Loop: Header=BB6_13186 Depth=3
	s_or_b64 exec, exec, s[28:29]
	v_cmp_lt_u32_e32 vcc, s57, v0
	v_mov_b32_e32 v2, 0
	v_mov_b32_e32 v3, 0
	s_and_saveexec_b64 s[28:29], vcc
	s_cbranch_execz .LBB6_15102
; %bb.15095:                            ;   in Loop: Header=BB6_13186 Depth=3
	v_lshrrev_b32_e32 v1, 24, v0
	v_cmp_ne_u32_e32 vcc, s97, v1
	v_bfrev_b32_e32 v3, 1
	s_and_saveexec_b64 s[30:31], vcc
	s_cbranch_execz .LBB6_15101
; %bb.15096:                            ;   in Loop: Header=BB6_13186 Depth=3
	v_and_b32_e32 v3, 0x7c000000, v0
	v_bfe_u32 v5, v0, 24, 2
	v_cmp_ne_u32_e32 vcc, s68, v3
                                        ; implicit-def: $vgpr3
	s_and_saveexec_b64 s[62:63], vcc
	s_xor_b64 s[34:35], exec, s[62:63]
	s_cbranch_execz .LBB6_15098
; %bb.15097:                            ;   in Loop: Header=BB6_13186 Depth=3
	v_ffbh_u32_e32 v31, v5
	v_min_u32_e32 v39, 32, v31
	v_subrev_u32_e32 v31, 29, v39
	v_bfe_u32 v3, v0, 26, 5
	v_lshlrev_b64 v[31:32], v31, v[1:2]
	v_sub_u32_e32 v1, 30, v39
	v_cmp_eq_u32_e32 vcc, 0, v3
	v_and_b32_e32 v31, 3, v31
	v_cndmask_b32_e32 v1, v3, v1, vcc
	v_and_b32_e32 v0, 0x80000000, v0
	v_cndmask_b32_e32 v3, v5, v31, vcc
	v_lshl_add_u32 v0, v1, 23, v0
	v_lshl_or_b32 v0, v3, 21, v0
	v_add_u32_e32 v3, 0x38000000, v0
                                        ; implicit-def: $vgpr5
                                        ; implicit-def: $vgpr0_vgpr1
.LBB6_15098:                            ;   in Loop: Header=BB6_13186 Depth=3
	s_andn2_saveexec_b64 s[34:35], s[34:35]
; %bb.15099:                            ;   in Loop: Header=BB6_13186 Depth=3
	v_cmp_lt_i32_e32 vcc, -1, v0
	v_mov_b32_e32 v0, 0xff800000
	v_mov_b32_e32 v1, 0x7f800000
	v_cndmask_b32_e32 v0, v0, v1, vcc
	v_cmp_eq_u32_e32 vcc, 0, v5
	v_mov_b32_e32 v1, 0x7f800001
	v_cndmask_b32_e32 v3, v1, v0, vcc
; %bb.15100:                            ;   in Loop: Header=BB6_13186 Depth=3
	s_or_b64 exec, exec, s[34:35]
.LBB6_15101:                            ;   in Loop: Header=BB6_13186 Depth=3
	s_or_b64 exec, exec, s[30:31]
.LBB6_15102:                            ;   in Loop: Header=BB6_13186 Depth=3
	s_or_b64 exec, exec, s[28:29]
	v_cmp_lt_u32_e32 vcc, s57, v20
	s_and_saveexec_b64 s[28:29], vcc
	s_cbranch_execz .LBB6_15110
; %bb.15103:                            ;   in Loop: Header=BB6_13186 Depth=3
	v_lshrrev_b32_e32 v0, 24, v20
	v_cmp_ne_u32_e32 vcc, s97, v0
	v_bfrev_b32_e32 v2, 1
	s_and_saveexec_b64 s[30:31], vcc
	s_cbranch_execz .LBB6_15109
; %bb.15104:                            ;   in Loop: Header=BB6_13186 Depth=3
	v_and_b32_e32 v2, 0x7c000000, v20
	v_bfe_u32 v1, v20, 24, 2
	v_cmp_ne_u32_e32 vcc, s68, v2
                                        ; implicit-def: $vgpr2
	s_and_saveexec_b64 s[62:63], vcc
	s_xor_b64 s[34:35], exec, s[62:63]
	s_cbranch_execz .LBB6_15106
; %bb.15105:                            ;   in Loop: Header=BB6_13186 Depth=3
	v_ffbh_u32_e32 v5, v1
	v_min_u32_e32 v5, 32, v5
	v_subrev_u32_e32 v31, 29, v5
	v_bfe_u32 v2, v20, 26, 5
	v_lshlrev_b64 v[31:32], v31, v[0:1]
	v_sub_u32_e32 v0, 30, v5
	v_cmp_eq_u32_e32 vcc, 0, v2
	v_and_b32_e32 v5, 3, v31
	v_cndmask_b32_e32 v0, v2, v0, vcc
	v_and_b32_e32 v2, 0x80000000, v20
	v_cndmask_b32_e32 v1, v1, v5, vcc
	v_lshl_add_u32 v0, v0, 23, v2
	v_lshl_or_b32 v0, v1, 21, v0
	v_add_u32_e32 v2, 0x38000000, v0
                                        ; implicit-def: $vgpr1
.LBB6_15106:                            ;   in Loop: Header=BB6_13186 Depth=3
	s_andn2_saveexec_b64 s[34:35], s[34:35]
; %bb.15107:                            ;   in Loop: Header=BB6_13186 Depth=3
	v_cmp_lt_i32_e32 vcc, -1, v20
	v_mov_b32_e32 v0, 0xff800000
	v_mov_b32_e32 v2, 0x7f800000
	v_cndmask_b32_e32 v0, v0, v2, vcc
	v_cmp_eq_u32_e32 vcc, 0, v1
	v_mov_b32_e32 v1, 0x7f800001
	v_cndmask_b32_e32 v2, v1, v0, vcc
; %bb.15108:                            ;   in Loop: Header=BB6_13186 Depth=3
	s_or_b64 exec, exec, s[34:35]
.LBB6_15109:                            ;   in Loop: Header=BB6_13186 Depth=3
	s_or_b64 exec, exec, s[30:31]
.LBB6_15110:                            ;   in Loop: Header=BB6_13186 Depth=3
	s_or_b64 exec, exec, s[28:29]
	v_add_f32_e32 v2, v3, v2
	v_and_b32_e32 v31, 0x7f800000, v2
	v_mov_b32_e32 v32, v33
	v_cmp_ne_u64_e32 vcc, s[76:77], v[31:32]
	v_and_b32_e32 v0, 0x7fffff, v2
	v_mov_b32_e32 v1, v33
                                        ; implicit-def: $vgpr3
                                        ; kill: killed $vgpr3
	s_and_saveexec_b64 s[28:29], vcc
	s_xor_b64 s[30:31], exec, s[28:29]
	s_cbranch_execz .LBB6_15124
; %bb.15111:                            ;   in Loop: Header=BB6_13186 Depth=3
	v_and_b32_e32 v31, 0x7fffffff, v2
	v_mov_b32_e32 v32, v33
	v_cmp_gt_u64_e32 vcc, s[78:79], v[31:32]
	v_and_b32_sdwa v3, v2, s97 dst_sel:DWORD dst_unused:UNUSED_PAD src0_sel:BYTE_3 src1_sel:DWORD
                                        ; implicit-def: $vgpr5
                                        ; kill: killed $vgpr5
	s_and_saveexec_b64 s[28:29], vcc
	s_xor_b64 s[34:35], exec, s[28:29]
	s_cbranch_execz .LBB6_15121
; %bb.15112:                            ;   in Loop: Header=BB6_13186 Depth=3
	v_mov_b32_e32 v5, 0
	v_cmp_ne_u32_e32 vcc, 0, v2
	buffer_store_dword v5, off, s[0:3], s33 offset:140 ; 4-byte Folded Spill
	s_and_saveexec_b64 s[36:37], vcc
	s_cbranch_execz .LBB6_15120
; %bb.15113:                            ;   in Loop: Header=BB6_13186 Depth=3
	v_bfe_u32 v5, v2, 23, 8
	v_cmp_gt_u32_e64 s[28:29], s47, v5
	v_sub_u32_e32 v2, 0x71, v5
	v_cmp_eq_u32_e32 vcc, 0, v5
	v_cndmask_b32_e64 v2, 0, v2, s[28:29]
	v_mov_b32_e32 v32, 0x70
	v_cndmask_b32_e32 v39, v2, v32, vcc
	v_or_b32_e32 v31, 0x800000, v0
	v_add_u32_e32 v2, 21, v39
	v_cndmask_b32_e32 v0, v31, v0, vcc
	v_lshlrev_b64 v[31:32], v2, -1
	v_add_u32_e32 v2, 20, v39
	v_bfi_b32 v31, v31, 0, v0
	v_lshlrev_b64 v[57:58], v2, 1
	v_lshrrev_b64 v[0:1], v39, v[0:1]
	v_bfi_b32 v32, v32, 0, 0
	v_cmp_eq_u64_e64 s[28:29], v[31:32], v[57:58]
	v_mov_b32_e32 v2, v1
	v_mov_b32_e32 v1, v0
	s_and_saveexec_b64 s[38:39], s[28:29]
; %bb.15114:                            ;   in Loop: Header=BB6_13186 Depth=3
	v_bfe_u32 v1, v0, 21, 1
	v_add_co_u32_e64 v1, s[28:29], v0, v1
	v_add_co_u32_e64 v1, s[28:29], -1, v1
; %bb.15115:                            ;   in Loop: Header=BB6_13186 Depth=3
	s_or_b64 exec, exec, s[38:39]
	v_add_u32_e32 v2, 0xffffff81, v5
	v_mov_b32_e32 v5, 0xffffff82
	v_cndmask_b32_e32 v2, v2, v5, vcc
	v_lshrrev_b32_e32 v5, 23, v0
	v_add3_u32 v39, v39, v2, v5
	v_add_u32_e32 v5, 14, v39
	v_and_b32_e32 v1, 0x1fffff, v1
	v_add_u32_e32 v0, v1, v0
	v_mov_b32_e32 v1, v33
	v_cmp_ne_u32_e32 vcc, 0, v5
                                        ; implicit-def: $vgpr2
	s_and_saveexec_b64 s[28:29], vcc
	s_xor_b64 s[28:29], exec, s[28:29]
; %bb.15116:                            ;   in Loop: Header=BB6_13186 Depth=3
	v_cmp_lt_u64_e32 vcc, s[88:89], v[0:1]
	v_add_u32_e32 v2, 15, v39
	v_cndmask_b32_e32 v2, v5, v2, vcc
	v_cndmask_b32_e64 v5, 0, 1, vcc
	v_lshrrev_b64 v[0:1], v5, v[0:1]
; %bb.15117:                            ;   in Loop: Header=BB6_13186 Depth=3
	s_andn2_saveexec_b64 s[28:29], s[28:29]
; %bb.15118:                            ;   in Loop: Header=BB6_13186 Depth=3
	v_bfe_u32 v2, v0, 23, 1
; %bb.15119:                            ;   in Loop: Header=BB6_13186 Depth=3
	s_or_b64 exec, exec, s[28:29]
	v_lshrrev_b64 v[0:1], 21, v[0:1]
	v_cmp_gt_i32_e32 vcc, 32, v2
	v_cndmask_b32_e32 v1, 0, v1, vcc
	v_cndmask_b32_e32 v0, 3, v0, vcc
	v_cmp_eq_u64_e64 s[28:29], 0, v[0:1]
	v_min_i32_e32 v1, 31, v2
	v_lshlrev_b32_e32 v1, 2, v1
	v_cmp_eq_u32_e32 vcc, 0, v2
	v_and_b32_e32 v1, 0xfc, v1
	v_and_or_b32 v0, v0, 3, v1
	s_and_b64 s[28:29], vcc, s[28:29]
	v_cndmask_b32_e64 v0, v0, 0, s[28:29]
	v_or_b32_e32 v0, v0, v3
	buffer_store_dword v0, off, s[0:3], s33 offset:140 ; 4-byte Folded Spill
.LBB6_15120:                            ;   in Loop: Header=BB6_13186 Depth=3
	s_or_b64 exec, exec, s[36:37]
                                        ; implicit-def: $vgpr3
.LBB6_15121:                            ;   in Loop: Header=BB6_13186 Depth=3
	s_andn2_saveexec_b64 s[28:29], s[34:35]
	s_cbranch_execz .LBB6_15123
; %bb.15122:                            ;   in Loop: Header=BB6_13186 Depth=3
	v_or_b32_e32 v0, 0x7b, v3
	buffer_store_dword v0, off, s[0:3], s33 offset:140 ; 4-byte Folded Spill
.LBB6_15123:                            ;   in Loop: Header=BB6_13186 Depth=3
	s_or_b64 exec, exec, s[28:29]
                                        ; implicit-def: $vgpr2
                                        ; implicit-def: $vgpr0_vgpr1
.LBB6_15124:                            ;   in Loop: Header=BB6_13186 Depth=3
	s_andn2_saveexec_b64 s[28:29], s[30:31]
	s_cbranch_execz .LBB6_15130
; %bb.15125:                            ;   in Loop: Header=BB6_13186 Depth=3
	v_cmp_ne_u64_e32 vcc, 0, v[0:1]
                                        ; implicit-def: $vgpr0
                                        ; kill: killed $vgpr0
	s_and_saveexec_b64 s[62:63], vcc
	s_xor_b64 vcc, exec, s[62:63]
	s_cbranch_execz .LBB6_15127
; %bb.15126:                            ;   in Loop: Header=BB6_13186 Depth=3
	v_or_b32_sdwa v0, v2, s44 dst_sel:DWORD dst_unused:UNUSED_PAD src0_sel:BYTE_3 src1_sel:DWORD
	buffer_store_dword v0, off, s[0:3], s33 offset:140 ; 4-byte Folded Spill
                                        ; implicit-def: $vgpr2
.LBB6_15127:                            ;   in Loop: Header=BB6_13186 Depth=3
	s_andn2_saveexec_b64 s[30:31], vcc
	s_cbranch_execz .LBB6_15129
; %bb.15128:                            ;   in Loop: Header=BB6_13186 Depth=3
	v_cmp_lt_i32_e32 vcc, -1, v2
	v_bfrev_b32_e32 v0, 0.5
	v_mov_b32_e32 v1, 0x7c
	v_cndmask_b32_e32 v0, v0, v1, vcc
	buffer_store_dword v0, off, s[0:3], s33 offset:140 ; 4-byte Folded Spill
.LBB6_15129:                            ;   in Loop: Header=BB6_13186 Depth=3
	s_or_b64 exec, exec, s[30:31]
.LBB6_15130:                            ;   in Loop: Header=BB6_13186 Depth=3
	s_or_b64 exec, exec, s[28:29]
	v_lshl_or_b32 v5, v52, 8, v47
	v_lshlrev_b32_e32 v0, 16, v41
	v_lshlrev_b32_e32 v1, 24, v43
	v_or3_b32 v0, v0, v1, v5
	v_mov_b32_e32 v1, v33
	v_cmp_ne_u32_e32 vcc, 0, v47
	v_mov_b32_e32 v2, 0
	v_mov_b32_e32 v3, 0
	s_and_saveexec_b64 s[30:31], vcc
	s_cbranch_execz .LBB6_15138
; %bb.15131:                            ;   in Loop: Header=BB6_13186 Depth=3
	v_cmp_ne_u32_e32 vcc, s97, v47
	v_bfrev_b32_e32 v3, 1
	s_and_saveexec_b64 s[34:35], vcc
	s_cbranch_execz .LBB6_15137
; %bb.15132:                            ;   in Loop: Header=BB6_13186 Depth=3
	v_and_b32_e32 v3, 0x7c, v47
	v_and_b32_e32 v39, 3, v47
	v_cmp_ne_u32_e32 vcc, s86, v3
                                        ; implicit-def: $vgpr3
	s_and_saveexec_b64 s[28:29], vcc
	s_xor_b64 s[28:29], exec, s[28:29]
	s_cbranch_execz .LBB6_15134
; %bb.15133:                            ;   in Loop: Header=BB6_13186 Depth=3
	v_ffbh_u32_e32 v31, v39
	v_min_u32_e32 v52, 32, v31
	v_subrev_u32_e32 v31, 29, v52
	v_lshlrev_b64 v[31:32], v31, v[0:1]
	v_bfe_u32 v3, v47, 2, 5
	v_sub_u32_e32 v1, 30, v52
	v_and_b32_e32 v31, 3, v31
	v_cmp_eq_u32_e32 vcc, 0, v3
	v_cndmask_b32_e32 v1, v3, v1, vcc
	v_cndmask_b32_e32 v3, v39, v31, vcc
	v_lshlrev_b32_e32 v31, 24, v47
	v_and_b32_e32 v31, 0x80000000, v31
	v_lshl_add_u32 v1, v1, 23, v31
	v_lshl_or_b32 v1, v3, 21, v1
	v_add_u32_e32 v3, 0x38000000, v1
                                        ; implicit-def: $vgpr39
                                        ; implicit-def: $vgpr47
.LBB6_15134:                            ;   in Loop: Header=BB6_13186 Depth=3
	s_andn2_saveexec_b64 s[36:37], s[28:29]
; %bb.15135:                            ;   in Loop: Header=BB6_13186 Depth=3
	v_and_b32_e32 v1, 0x80, v47
	v_cmp_eq_u32_e64 s[28:29], 0, v1
	v_mov_b32_e32 v1, 0xff800000
	v_mov_b32_e32 v3, 0x7f800000
	v_cmp_eq_u32_e32 vcc, 0, v39
	v_cndmask_b32_e64 v1, v1, v3, s[28:29]
	v_mov_b32_e32 v3, 0x7f800001
	v_cndmask_b32_e32 v3, v3, v1, vcc
; %bb.15136:                            ;   in Loop: Header=BB6_13186 Depth=3
	s_or_b64 exec, exec, s[36:37]
.LBB6_15137:                            ;   in Loop: Header=BB6_13186 Depth=3
	s_or_b64 exec, exec, s[34:35]
.LBB6_15138:                            ;   in Loop: Header=BB6_13186 Depth=3
	s_or_b64 exec, exec, s[30:31]
	v_cmp_ne_u16_sdwa s[62:63], v21, v33 src0_sel:BYTE_0 src1_sel:DWORD
	s_and_saveexec_b64 s[28:29], s[62:63]
	s_cbranch_execz .LBB6_15146
; %bb.15139:                            ;   in Loop: Header=BB6_13186 Depth=3
	v_cmp_ne_u16_sdwa s[62:63], v21, s97 src0_sel:BYTE_0 src1_sel:DWORD
	v_bfrev_b32_e32 v2, 1
	s_and_saveexec_b64 s[30:31], s[62:63]
	s_cbranch_execz .LBB6_15145
; %bb.15140:                            ;   in Loop: Header=BB6_13186 Depth=3
	v_and_b32_e32 v2, 0x7c, v21
	v_and_b32_e32 v1, 3, v21
	v_cmp_ne_u32_e32 vcc, s86, v2
                                        ; implicit-def: $vgpr2
	s_and_saveexec_b64 s[62:63], vcc
	s_xor_b64 s[34:35], exec, s[62:63]
	s_cbranch_execz .LBB6_15142
; %bb.15141:                            ;   in Loop: Header=BB6_13186 Depth=3
	v_ffbh_u32_e32 v39, v1
	v_min_u32_e32 v39, 32, v39
	v_mov_b32_e32 v31, v21
	v_mov_b32_e32 v32, v33
	v_subrev_u32_e32 v52, 29, v39
	v_lshlrev_b64 v[31:32], v52, v[31:32]
	v_bfe_u32 v2, v21, 2, 5
	v_and_b32_e32 v31, 3, v31
	v_cmp_eq_u32_e32 vcc, 0, v2
	v_sub_u32_e32 v32, 30, v39
	v_cndmask_b32_e32 v1, v1, v31, vcc
	v_lshlrev_b32_e32 v31, 24, v21
	v_cndmask_b32_e32 v2, v2, v32, vcc
	v_and_b32_e32 v31, 0x80000000, v31
	v_lshl_add_u32 v2, v2, 23, v31
	v_lshl_or_b32 v1, v1, 21, v2
	v_add_u32_e32 v2, 0x38000000, v1
                                        ; implicit-def: $vgpr1
.LBB6_15142:                            ;   in Loop: Header=BB6_13186 Depth=3
	s_andn2_saveexec_b64 s[34:35], s[34:35]
; %bb.15143:                            ;   in Loop: Header=BB6_13186 Depth=3
	v_mov_b32_e32 v2, -1
	v_cmp_gt_i16_sdwa vcc, sext(v21), v2 src0_sel:BYTE_0 src1_sel:DWORD
	v_mov_b32_e32 v2, 0xff800000
	v_mov_b32_e32 v31, 0x7f800000
	v_cndmask_b32_e32 v2, v2, v31, vcc
	v_cmp_eq_u32_e32 vcc, 0, v1
	v_mov_b32_e32 v1, 0x7f800001
	v_cndmask_b32_e32 v2, v1, v2, vcc
; %bb.15144:                            ;   in Loop: Header=BB6_13186 Depth=3
	s_or_b64 exec, exec, s[34:35]
.LBB6_15145:                            ;   in Loop: Header=BB6_13186 Depth=3
	s_or_b64 exec, exec, s[30:31]
.LBB6_15146:                            ;   in Loop: Header=BB6_13186 Depth=3
	s_or_b64 exec, exec, s[28:29]
	v_add_f32_e32 v3, v3, v2
	v_and_b32_e32 v31, 0x7f800000, v3
	v_mov_b32_e32 v32, v33
	v_cmp_ne_u64_e32 vcc, s[76:77], v[31:32]
	v_and_b32_e32 v1, 0x7fffff, v3
	v_mov_b32_e32 v2, v33
                                        ; implicit-def: $vgpr7
                                        ; kill: killed $vgpr7
	s_and_saveexec_b64 s[28:29], vcc
	s_xor_b64 s[30:31], exec, s[28:29]
	s_cbranch_execz .LBB6_15160
; %bb.15147:                            ;   in Loop: Header=BB6_13186 Depth=3
	v_and_b32_e32 v31, 0x7fffffff, v3
	v_mov_b32_e32 v32, v33
	v_cmp_gt_u64_e32 vcc, s[78:79], v[31:32]
	v_and_b32_sdwa v39, v3, s97 dst_sel:DWORD dst_unused:UNUSED_PAD src0_sel:BYTE_3 src1_sel:DWORD
                                        ; implicit-def: $vgpr7
                                        ; kill: killed $vgpr7
	s_and_saveexec_b64 s[28:29], vcc
	s_xor_b64 s[34:35], exec, s[28:29]
	s_cbranch_execz .LBB6_15157
; %bb.15148:                            ;   in Loop: Header=BB6_13186 Depth=3
	v_mov_b32_e32 v7, 0
	v_cmp_ne_u32_e32 vcc, 0, v3
	buffer_store_dword v7, off, s[0:3], s33 offset:188 ; 4-byte Folded Spill
	s_and_saveexec_b64 s[36:37], vcc
	s_cbranch_execz .LBB6_15156
; %bb.15149:                            ;   in Loop: Header=BB6_13186 Depth=3
	v_bfe_u32 v52, v3, 23, 8
	v_cmp_gt_u32_e64 s[28:29], s47, v52
	v_sub_u32_e32 v3, 0x71, v52
	v_cmp_eq_u32_e32 vcc, 0, v52
	v_cndmask_b32_e64 v3, 0, v3, s[28:29]
	v_mov_b32_e32 v32, 0x70
	v_cndmask_b32_e32 v41, v3, v32, vcc
	v_or_b32_e32 v31, 0x800000, v1
	v_add_u32_e32 v3, 21, v41
	v_cndmask_b32_e32 v1, v31, v1, vcc
	v_lshlrev_b64 v[31:32], v3, -1
	v_add_u32_e32 v3, 20, v41
	v_bfi_b32 v31, v31, 0, v1
	v_lshlrev_b64 v[42:43], v3, 1
	v_lshrrev_b64 v[1:2], v41, v[1:2]
	v_bfi_b32 v32, v32, 0, 0
	v_cmp_eq_u64_e64 s[28:29], v[31:32], v[42:43]
	v_mov_b32_e32 v3, v2
	v_mov_b32_e32 v2, v1
	s_and_saveexec_b64 s[38:39], s[28:29]
; %bb.15150:                            ;   in Loop: Header=BB6_13186 Depth=3
	v_bfe_u32 v2, v1, 21, 1
	v_add_co_u32_e64 v2, s[28:29], v1, v2
	v_add_co_u32_e64 v2, s[28:29], -1, v2
; %bb.15151:                            ;   in Loop: Header=BB6_13186 Depth=3
	s_or_b64 exec, exec, s[38:39]
	v_add_u32_e32 v3, 0xffffff81, v52
	v_mov_b32_e32 v31, 0xffffff82
	v_cndmask_b32_e32 v3, v3, v31, vcc
	v_lshrrev_b32_e32 v31, 23, v1
	v_add3_u32 v41, v41, v3, v31
	v_add_u32_e32 v52, 14, v41
	v_and_b32_e32 v2, 0x1fffff, v2
	v_add_u32_e32 v1, v2, v1
	v_mov_b32_e32 v2, v33
	v_cmp_ne_u32_e32 vcc, 0, v52
                                        ; implicit-def: $vgpr3
	s_and_saveexec_b64 s[28:29], vcc
	s_xor_b64 s[28:29], exec, s[28:29]
; %bb.15152:                            ;   in Loop: Header=BB6_13186 Depth=3
	v_cmp_lt_u64_e32 vcc, s[88:89], v[1:2]
	v_add_u32_e32 v3, 15, v41
	v_cndmask_b32_e64 v31, 0, 1, vcc
	v_cndmask_b32_e32 v3, v52, v3, vcc
	v_lshrrev_b64 v[1:2], v31, v[1:2]
; %bb.15153:                            ;   in Loop: Header=BB6_13186 Depth=3
	s_andn2_saveexec_b64 s[28:29], s[28:29]
; %bb.15154:                            ;   in Loop: Header=BB6_13186 Depth=3
	v_bfe_u32 v3, v1, 23, 1
; %bb.15155:                            ;   in Loop: Header=BB6_13186 Depth=3
	s_or_b64 exec, exec, s[28:29]
	v_lshrrev_b64 v[1:2], 21, v[1:2]
	v_cmp_gt_i32_e32 vcc, 32, v3
	v_cndmask_b32_e32 v2, 0, v2, vcc
	v_cndmask_b32_e32 v1, 3, v1, vcc
	v_cmp_eq_u64_e64 s[28:29], 0, v[1:2]
	v_min_i32_e32 v2, 31, v3
	v_lshlrev_b32_e32 v2, 2, v2
	v_cmp_eq_u32_e32 vcc, 0, v3
	v_and_b32_e32 v2, 0xfc, v2
	v_and_or_b32 v1, v1, 3, v2
	s_and_b64 s[28:29], vcc, s[28:29]
	v_cndmask_b32_e64 v1, v1, 0, s[28:29]
	v_or_b32_e32 v1, v1, v39
	buffer_store_dword v1, off, s[0:3], s33 offset:188 ; 4-byte Folded Spill
.LBB6_15156:                            ;   in Loop: Header=BB6_13186 Depth=3
	s_or_b64 exec, exec, s[36:37]
                                        ; implicit-def: $vgpr39
.LBB6_15157:                            ;   in Loop: Header=BB6_13186 Depth=3
	s_andn2_saveexec_b64 s[28:29], s[34:35]
	s_cbranch_execz .LBB6_15159
; %bb.15158:                            ;   in Loop: Header=BB6_13186 Depth=3
	v_or_b32_e32 v1, 0x7b, v39
	buffer_store_dword v1, off, s[0:3], s33 offset:188 ; 4-byte Folded Spill
.LBB6_15159:                            ;   in Loop: Header=BB6_13186 Depth=3
	s_or_b64 exec, exec, s[28:29]
                                        ; implicit-def: $vgpr3
                                        ; implicit-def: $vgpr1_vgpr2
.LBB6_15160:                            ;   in Loop: Header=BB6_13186 Depth=3
	s_andn2_saveexec_b64 s[28:29], s[30:31]
	s_cbranch_execz .LBB6_15166
; %bb.15161:                            ;   in Loop: Header=BB6_13186 Depth=3
	v_cmp_ne_u64_e32 vcc, 0, v[1:2]
                                        ; implicit-def: $vgpr1
                                        ; kill: killed $vgpr1
	s_and_saveexec_b64 s[62:63], vcc
	s_xor_b64 vcc, exec, s[62:63]
	s_cbranch_execz .LBB6_15163
; %bb.15162:                            ;   in Loop: Header=BB6_13186 Depth=3
	v_or_b32_sdwa v1, v3, s44 dst_sel:DWORD dst_unused:UNUSED_PAD src0_sel:BYTE_3 src1_sel:DWORD
	buffer_store_dword v1, off, s[0:3], s33 offset:188 ; 4-byte Folded Spill
                                        ; implicit-def: $vgpr3
.LBB6_15163:                            ;   in Loop: Header=BB6_13186 Depth=3
	s_andn2_saveexec_b64 s[30:31], vcc
	s_cbranch_execz .LBB6_15165
; %bb.15164:                            ;   in Loop: Header=BB6_13186 Depth=3
	v_cmp_lt_i32_e32 vcc, -1, v3
	v_bfrev_b32_e32 v1, 0.5
	v_mov_b32_e32 v2, 0x7c
	v_cndmask_b32_e32 v1, v1, v2, vcc
	buffer_store_dword v1, off, s[0:3], s33 offset:188 ; 4-byte Folded Spill
.LBB6_15165:                            ;   in Loop: Header=BB6_13186 Depth=3
	s_or_b64 exec, exec, s[30:31]
.LBB6_15166:                            ;   in Loop: Header=BB6_13186 Depth=3
	s_or_b64 exec, exec, s[28:29]
	v_lshrrev_b16_e32 v1, 8, v5
	v_cmp_ne_u16_e32 vcc, 0, v1
	v_mov_b32_e32 v3, 0
	v_mov_b32_e32 v39, 0
	s_and_saveexec_b64 s[28:29], vcc
	s_cbranch_execz .LBB6_15174
; %bb.15167:                            ;   in Loop: Header=BB6_13186 Depth=3
	v_cmp_ne_u16_e32 vcc, s97, v1
	v_bfrev_b32_e32 v39, 1
	s_and_saveexec_b64 s[30:31], vcc
	s_cbranch_execz .LBB6_15173
; %bb.15168:                            ;   in Loop: Header=BB6_13186 Depth=3
	v_and_b32_e32 v2, 0x7c, v1
	v_and_b32_e32 v52, 3, v1
	v_cmp_ne_u32_e32 vcc, s86, v2
                                        ; implicit-def: $vgpr39
	s_and_saveexec_b64 s[62:63], vcc
	s_xor_b64 s[34:35], exec, s[62:63]
	s_cbranch_execz .LBB6_15170
; %bb.15169:                            ;   in Loop: Header=BB6_13186 Depth=3
	v_ffbh_u32_e32 v32, v52
	v_min_u32_e32 v32, 32, v32
	v_mov_b32_e32 v2, v33
	v_subrev_u32_e32 v39, 29, v32
	v_bfe_u32 v31, v1, 2, 5
	v_lshlrev_b64 v[1:2], v39, v[1:2]
	v_sub_u32_e32 v2, 30, v32
	v_cmp_eq_u32_e32 vcc, 0, v31
	v_lshlrev_b32_e32 v5, 16, v5
	v_and_b32_e32 v1, 3, v1
	v_cndmask_b32_e32 v2, v31, v2, vcc
	v_and_b32_e32 v5, 0x80000000, v5
	v_cndmask_b32_e32 v1, v52, v1, vcc
	v_lshl_add_u32 v2, v2, 23, v5
	v_lshl_or_b32 v1, v1, 21, v2
	v_add_u32_e32 v39, 0x38000000, v1
                                        ; implicit-def: $vgpr52
                                        ; implicit-def: $vgpr5
.LBB6_15170:                            ;   in Loop: Header=BB6_13186 Depth=3
	s_andn2_saveexec_b64 s[34:35], s[34:35]
; %bb.15171:                            ;   in Loop: Header=BB6_13186 Depth=3
	v_cmp_lt_i16_e32 vcc, -1, v5
	v_mov_b32_e32 v1, 0xff800000
	v_mov_b32_e32 v2, 0x7f800000
	v_cndmask_b32_e32 v1, v1, v2, vcc
	v_cmp_eq_u32_e32 vcc, 0, v52
	v_mov_b32_e32 v2, 0x7f800001
	v_cndmask_b32_e32 v39, v2, v1, vcc
; %bb.15172:                            ;   in Loop: Header=BB6_13186 Depth=3
	s_or_b64 exec, exec, s[34:35]
.LBB6_15173:                            ;   in Loop: Header=BB6_13186 Depth=3
	s_or_b64 exec, exec, s[30:31]
.LBB6_15174:                            ;   in Loop: Header=BB6_13186 Depth=3
	s_or_b64 exec, exec, s[28:29]
	v_lshrrev_b16_e32 v1, 8, v21
	v_cmp_ne_u16_e32 vcc, 0, v1
	s_and_saveexec_b64 s[28:29], vcc
	s_cbranch_execz .LBB6_15182
; %bb.15175:                            ;   in Loop: Header=BB6_13186 Depth=3
	v_cmp_ne_u16_e32 vcc, s97, v1
	v_bfrev_b32_e32 v3, 1
	s_and_saveexec_b64 s[30:31], vcc
	s_cbranch_execz .LBB6_15181
; %bb.15176:                            ;   in Loop: Header=BB6_13186 Depth=3
	v_and_b32_e32 v2, 0x7c, v1
	v_and_b32_e32 v5, 3, v1
	v_cmp_ne_u32_e32 vcc, s86, v2
                                        ; implicit-def: $vgpr3
	s_and_saveexec_b64 s[62:63], vcc
	s_xor_b64 s[34:35], exec, s[62:63]
	s_cbranch_execz .LBB6_15178
; %bb.15177:                            ;   in Loop: Header=BB6_13186 Depth=3
	v_ffbh_u32_e32 v31, v5
	v_min_u32_e32 v31, 32, v31
	v_mov_b32_e32 v2, v33
	v_subrev_u32_e32 v32, 29, v31
	v_bfe_u32 v3, v1, 2, 5
	v_lshlrev_b64 v[1:2], v32, v[1:2]
	v_sub_u32_e32 v2, 30, v31
	v_cmp_eq_u32_e32 vcc, 0, v3
	v_cndmask_b32_e32 v2, v3, v2, vcc
	v_lshlrev_b32_e32 v3, 16, v21
	v_and_b32_e32 v1, 3, v1
	v_and_b32_e32 v3, 0x80000000, v3
	v_cndmask_b32_e32 v1, v5, v1, vcc
	v_lshl_add_u32 v2, v2, 23, v3
	v_lshl_or_b32 v1, v1, 21, v2
	v_add_u32_e32 v3, 0x38000000, v1
                                        ; implicit-def: $vgpr5
.LBB6_15178:                            ;   in Loop: Header=BB6_13186 Depth=3
	s_andn2_saveexec_b64 s[34:35], s[34:35]
; %bb.15179:                            ;   in Loop: Header=BB6_13186 Depth=3
	v_cmp_lt_i16_e32 vcc, -1, v21
	v_mov_b32_e32 v1, 0xff800000
	v_mov_b32_e32 v2, 0x7f800000
	v_cndmask_b32_e32 v1, v1, v2, vcc
	v_cmp_eq_u32_e32 vcc, 0, v5
	v_mov_b32_e32 v2, 0x7f800001
	v_cndmask_b32_e32 v3, v2, v1, vcc
; %bb.15180:                            ;   in Loop: Header=BB6_13186 Depth=3
	s_or_b64 exec, exec, s[34:35]
.LBB6_15181:                            ;   in Loop: Header=BB6_13186 Depth=3
	s_or_b64 exec, exec, s[30:31]
.LBB6_15182:                            ;   in Loop: Header=BB6_13186 Depth=3
	s_or_b64 exec, exec, s[28:29]
	v_add_f32_e32 v3, v39, v3
	v_and_b32_e32 v31, 0x7f800000, v3
	v_mov_b32_e32 v32, v33
	v_cmp_ne_u64_e32 vcc, s[76:77], v[31:32]
	v_and_b32_e32 v1, 0x7fffff, v3
	v_mov_b32_e32 v2, v33
                                        ; implicit-def: $vgpr5
                                        ; kill: killed $vgpr5
	s_and_saveexec_b64 s[28:29], vcc
	s_xor_b64 s[30:31], exec, s[28:29]
	s_cbranch_execz .LBB6_15196
; %bb.15183:                            ;   in Loop: Header=BB6_13186 Depth=3
	v_and_b32_e32 v31, 0x7fffffff, v3
	v_mov_b32_e32 v32, v33
	v_cmp_gt_u64_e32 vcc, s[78:79], v[31:32]
	v_and_b32_sdwa v5, v3, s97 dst_sel:DWORD dst_unused:UNUSED_PAD src0_sel:BYTE_3 src1_sel:DWORD
                                        ; implicit-def: $vgpr7
                                        ; kill: killed $vgpr7
	s_and_saveexec_b64 s[28:29], vcc
	s_xor_b64 s[34:35], exec, s[28:29]
	s_cbranch_execz .LBB6_15193
; %bb.15184:                            ;   in Loop: Header=BB6_13186 Depth=3
	v_mov_b32_e32 v7, 0
	v_cmp_ne_u32_e32 vcc, 0, v3
	buffer_store_dword v7, off, s[0:3], s33 offset:220 ; 4-byte Folded Spill
	s_and_saveexec_b64 s[36:37], vcc
	s_cbranch_execz .LBB6_15192
; %bb.15185:                            ;   in Loop: Header=BB6_13186 Depth=3
	v_bfe_u32 v39, v3, 23, 8
	v_cmp_gt_u32_e64 s[28:29], s47, v39
	v_sub_u32_e32 v3, 0x71, v39
	v_cmp_eq_u32_e32 vcc, 0, v39
	v_cndmask_b32_e64 v3, 0, v3, s[28:29]
	v_mov_b32_e32 v32, 0x70
	v_cndmask_b32_e32 v52, v3, v32, vcc
	v_or_b32_e32 v31, 0x800000, v1
	v_add_u32_e32 v3, 21, v52
	v_cndmask_b32_e32 v1, v31, v1, vcc
	v_lshlrev_b64 v[31:32], v3, -1
	v_add_u32_e32 v3, 20, v52
	v_bfi_b32 v31, v31, 0, v1
	v_lshlrev_b64 v[41:42], v3, 1
	v_lshrrev_b64 v[1:2], v52, v[1:2]
	v_bfi_b32 v32, v32, 0, 0
	v_cmp_eq_u64_e64 s[28:29], v[31:32], v[41:42]
	v_mov_b32_e32 v3, v2
	v_mov_b32_e32 v2, v1
	s_and_saveexec_b64 s[38:39], s[28:29]
; %bb.15186:                            ;   in Loop: Header=BB6_13186 Depth=3
	v_bfe_u32 v2, v1, 21, 1
	v_add_co_u32_e64 v2, s[28:29], v1, v2
	v_add_co_u32_e64 v2, s[28:29], -1, v2
; %bb.15187:                            ;   in Loop: Header=BB6_13186 Depth=3
	s_or_b64 exec, exec, s[38:39]
	v_add_u32_e32 v3, 0xffffff81, v39
	v_mov_b32_e32 v31, 0xffffff82
	v_cndmask_b32_e32 v3, v3, v31, vcc
	v_lshrrev_b32_e32 v31, 23, v1
	v_add3_u32 v52, v52, v3, v31
	v_add_u32_e32 v39, 14, v52
	v_and_b32_e32 v2, 0x1fffff, v2
	v_add_u32_e32 v1, v2, v1
	v_mov_b32_e32 v2, v33
	v_cmp_ne_u32_e32 vcc, 0, v39
                                        ; implicit-def: $vgpr3
	s_and_saveexec_b64 s[28:29], vcc
	s_xor_b64 s[28:29], exec, s[28:29]
; %bb.15188:                            ;   in Loop: Header=BB6_13186 Depth=3
	v_cmp_lt_u64_e32 vcc, s[88:89], v[1:2]
	v_add_u32_e32 v3, 15, v52
	v_cndmask_b32_e64 v31, 0, 1, vcc
	v_cndmask_b32_e32 v3, v39, v3, vcc
	v_lshrrev_b64 v[1:2], v31, v[1:2]
; %bb.15189:                            ;   in Loop: Header=BB6_13186 Depth=3
	s_andn2_saveexec_b64 s[28:29], s[28:29]
; %bb.15190:                            ;   in Loop: Header=BB6_13186 Depth=3
	v_bfe_u32 v3, v1, 23, 1
; %bb.15191:                            ;   in Loop: Header=BB6_13186 Depth=3
	s_or_b64 exec, exec, s[28:29]
	v_lshrrev_b64 v[1:2], 21, v[1:2]
	v_cmp_gt_i32_e32 vcc, 32, v3
	v_cndmask_b32_e32 v2, 0, v2, vcc
	v_cndmask_b32_e32 v1, 3, v1, vcc
	v_cmp_eq_u64_e64 s[28:29], 0, v[1:2]
	v_min_i32_e32 v2, 31, v3
	v_lshlrev_b32_e32 v2, 2, v2
	v_cmp_eq_u32_e32 vcc, 0, v3
	v_and_b32_e32 v2, 0xfc, v2
	v_and_or_b32 v1, v1, 3, v2
	s_and_b64 s[28:29], vcc, s[28:29]
	v_cndmask_b32_e64 v1, v1, 0, s[28:29]
	v_or_b32_e32 v1, v1, v5
	buffer_store_dword v1, off, s[0:3], s33 offset:220 ; 4-byte Folded Spill
.LBB6_15192:                            ;   in Loop: Header=BB6_13186 Depth=3
	s_or_b64 exec, exec, s[36:37]
                                        ; implicit-def: $vgpr5
.LBB6_15193:                            ;   in Loop: Header=BB6_13186 Depth=3
	s_andn2_saveexec_b64 s[28:29], s[34:35]
	s_cbranch_execz .LBB6_15195
; %bb.15194:                            ;   in Loop: Header=BB6_13186 Depth=3
	v_or_b32_e32 v1, 0x7b, v5
	buffer_store_dword v1, off, s[0:3], s33 offset:220 ; 4-byte Folded Spill
.LBB6_15195:                            ;   in Loop: Header=BB6_13186 Depth=3
	s_or_b64 exec, exec, s[28:29]
                                        ; implicit-def: $vgpr3
                                        ; implicit-def: $vgpr1_vgpr2
.LBB6_15196:                            ;   in Loop: Header=BB6_13186 Depth=3
	s_andn2_saveexec_b64 s[28:29], s[30:31]
	s_cbranch_execz .LBB6_15202
; %bb.15197:                            ;   in Loop: Header=BB6_13186 Depth=3
	v_cmp_ne_u64_e32 vcc, 0, v[1:2]
                                        ; implicit-def: $vgpr1
                                        ; kill: killed $vgpr1
	s_and_saveexec_b64 s[62:63], vcc
	s_xor_b64 vcc, exec, s[62:63]
	s_cbranch_execz .LBB6_15199
; %bb.15198:                            ;   in Loop: Header=BB6_13186 Depth=3
	v_or_b32_sdwa v1, v3, s44 dst_sel:DWORD dst_unused:UNUSED_PAD src0_sel:BYTE_3 src1_sel:DWORD
	buffer_store_dword v1, off, s[0:3], s33 offset:220 ; 4-byte Folded Spill
                                        ; implicit-def: $vgpr3
.LBB6_15199:                            ;   in Loop: Header=BB6_13186 Depth=3
	s_andn2_saveexec_b64 s[30:31], vcc
	s_cbranch_execz .LBB6_15201
; %bb.15200:                            ;   in Loop: Header=BB6_13186 Depth=3
	v_cmp_lt_i32_e32 vcc, -1, v3
	v_bfrev_b32_e32 v1, 0.5
	v_mov_b32_e32 v2, 0x7c
	v_cndmask_b32_e32 v1, v1, v2, vcc
	buffer_store_dword v1, off, s[0:3], s33 offset:220 ; 4-byte Folded Spill
.LBB6_15201:                            ;   in Loop: Header=BB6_13186 Depth=3
	s_or_b64 exec, exec, s[30:31]
.LBB6_15202:                            ;   in Loop: Header=BB6_13186 Depth=3
	s_or_b64 exec, exec, s[28:29]
	v_and_b32_sdwa v5, v0, s96 dst_sel:DWORD dst_unused:UNUSED_PAD src0_sel:WORD_1 src1_sel:DWORD
	v_lshrrev_b32_e32 v1, 16, v0
	v_cmp_ne_u16_e32 vcc, 0, v5
	v_mov_b32_e32 v2, 0
	v_mov_b32_e32 v3, 0
	s_and_saveexec_b64 s[28:29], vcc
	s_cbranch_execz .LBB6_15210
; %bb.15203:                            ;   in Loop: Header=BB6_13186 Depth=3
	v_cmp_ne_u16_e32 vcc, s97, v5
	v_bfrev_b32_e32 v3, 1
	s_and_saveexec_b64 s[30:31], vcc
	s_cbranch_execz .LBB6_15209
; %bb.15204:                            ;   in Loop: Header=BB6_13186 Depth=3
	v_and_b32_e32 v3, 0x7c0000, v0
	v_bfe_u32 v5, v0, 16, 2
	v_cmp_ne_u32_e32 vcc, s45, v3
                                        ; implicit-def: $vgpr3
	s_and_saveexec_b64 s[62:63], vcc
	s_xor_b64 s[34:35], exec, s[62:63]
	s_cbranch_execz .LBB6_15206
; %bb.15205:                            ;   in Loop: Header=BB6_13186 Depth=3
	v_ffbh_u32_e32 v31, v5
	v_min_u32_e32 v39, 32, v31
	v_subrev_u32_e32 v31, 29, v39
	v_lshlrev_b64 v[31:32], v31, v[1:2]
	v_bfe_u32 v3, v0, 18, 5
	v_sub_u32_e32 v1, 30, v39
	v_and_b32_e32 v31, 3, v31
	v_cmp_eq_u32_e32 vcc, 0, v3
	v_cndmask_b32_e32 v1, v3, v1, vcc
	v_cndmask_b32_e32 v3, v5, v31, vcc
	v_lshlrev_b32_e32 v5, 8, v0
	v_and_b32_e32 v5, 0x80000000, v5
	v_lshl_add_u32 v1, v1, 23, v5
	v_lshl_or_b32 v1, v3, 21, v1
	v_add_u32_e32 v3, 0x38000000, v1
                                        ; implicit-def: $vgpr5
                                        ; implicit-def: $vgpr1
.LBB6_15206:                            ;   in Loop: Header=BB6_13186 Depth=3
	s_andn2_saveexec_b64 s[34:35], s[34:35]
; %bb.15207:                            ;   in Loop: Header=BB6_13186 Depth=3
	v_mov_b32_e32 v3, -1
	v_cmp_gt_i16_sdwa vcc, sext(v1), v3 src0_sel:BYTE_0 src1_sel:DWORD
	v_mov_b32_e32 v1, 0xff800000
	v_mov_b32_e32 v3, 0x7f800000
	v_cndmask_b32_e32 v1, v1, v3, vcc
	v_cmp_eq_u32_e32 vcc, 0, v5
	v_mov_b32_e32 v3, 0x7f800001
	v_cndmask_b32_e32 v3, v3, v1, vcc
; %bb.15208:                            ;   in Loop: Header=BB6_13186 Depth=3
	s_or_b64 exec, exec, s[34:35]
.LBB6_15209:                            ;   in Loop: Header=BB6_13186 Depth=3
	s_or_b64 exec, exec, s[30:31]
.LBB6_15210:                            ;   in Loop: Header=BB6_13186 Depth=3
	s_or_b64 exec, exec, s[28:29]
	v_lshrrev_b32_e32 v1, 16, v21
	v_cmp_ne_u16_sdwa s[62:63], v1, v33 src0_sel:BYTE_0 src1_sel:DWORD
	s_and_saveexec_b64 s[28:29], s[62:63]
	s_cbranch_execz .LBB6_15218
; %bb.15211:                            ;   in Loop: Header=BB6_13186 Depth=3
	v_cmp_ne_u16_sdwa s[62:63], v1, s97 src0_sel:BYTE_0 src1_sel:DWORD
	v_bfrev_b32_e32 v2, 1
	s_and_saveexec_b64 s[30:31], s[62:63]
	s_cbranch_execz .LBB6_15217
; %bb.15212:                            ;   in Loop: Header=BB6_13186 Depth=3
	v_and_b32_e32 v2, 0x7c0000, v21
	v_bfe_u32 v5, v21, 16, 2
	v_cmp_ne_u32_e32 vcc, s45, v2
                                        ; implicit-def: $vgpr2
	s_and_saveexec_b64 s[62:63], vcc
	s_xor_b64 s[34:35], exec, s[62:63]
	s_cbranch_execz .LBB6_15214
; %bb.15213:                            ;   in Loop: Header=BB6_13186 Depth=3
	v_ffbh_u32_e32 v2, v5
	v_min_u32_e32 v32, 32, v2
	v_subrev_u32_e32 v2, 29, v32
	v_lshlrev_b64 v[1:2], v2, v[1:2]
	v_bfe_u32 v31, v21, 18, 5
	v_and_b32_e32 v1, 3, v1
	v_cmp_eq_u32_e32 vcc, 0, v31
	v_sub_u32_e32 v2, 30, v32
	v_cndmask_b32_e32 v1, v5, v1, vcc
	v_lshlrev_b32_e32 v5, 8, v21
	v_cndmask_b32_e32 v2, v31, v2, vcc
	v_and_b32_e32 v5, 0x80000000, v5
	v_lshl_add_u32 v2, v2, 23, v5
	v_lshl_or_b32 v1, v1, 21, v2
	v_add_u32_e32 v2, 0x38000000, v1
                                        ; implicit-def: $vgpr5
                                        ; implicit-def: $vgpr1
.LBB6_15214:                            ;   in Loop: Header=BB6_13186 Depth=3
	s_andn2_saveexec_b64 s[34:35], s[34:35]
; %bb.15215:                            ;   in Loop: Header=BB6_13186 Depth=3
	v_mov_b32_e32 v2, -1
	v_cmp_gt_i16_sdwa vcc, sext(v1), v2 src0_sel:BYTE_0 src1_sel:DWORD
	v_mov_b32_e32 v1, 0xff800000
	v_mov_b32_e32 v2, 0x7f800000
	v_cndmask_b32_e32 v1, v1, v2, vcc
	v_cmp_eq_u32_e32 vcc, 0, v5
	v_mov_b32_e32 v2, 0x7f800001
	v_cndmask_b32_e32 v2, v2, v1, vcc
; %bb.15216:                            ;   in Loop: Header=BB6_13186 Depth=3
	s_or_b64 exec, exec, s[34:35]
.LBB6_15217:                            ;   in Loop: Header=BB6_13186 Depth=3
	s_or_b64 exec, exec, s[30:31]
.LBB6_15218:                            ;   in Loop: Header=BB6_13186 Depth=3
	s_or_b64 exec, exec, s[28:29]
	v_add_f32_e32 v3, v3, v2
	v_and_b32_e32 v31, 0x7f800000, v3
	v_mov_b32_e32 v32, v33
	v_cmp_ne_u64_e32 vcc, s[76:77], v[31:32]
	v_and_b32_e32 v1, 0x7fffff, v3
	v_mov_b32_e32 v2, v33
                                        ; implicit-def: $vgpr5
                                        ; kill: killed $vgpr5
	s_and_saveexec_b64 s[28:29], vcc
	s_xor_b64 s[30:31], exec, s[28:29]
	s_cbranch_execz .LBB6_15232
; %bb.15219:                            ;   in Loop: Header=BB6_13186 Depth=3
	v_and_b32_e32 v31, 0x7fffffff, v3
	v_mov_b32_e32 v32, v33
	v_cmp_gt_u64_e32 vcc, s[78:79], v[31:32]
	v_and_b32_sdwa v5, v3, s97 dst_sel:DWORD dst_unused:UNUSED_PAD src0_sel:BYTE_3 src1_sel:DWORD
                                        ; implicit-def: $vgpr7
                                        ; kill: killed $vgpr7
	s_and_saveexec_b64 s[28:29], vcc
	s_xor_b64 s[34:35], exec, s[28:29]
	s_cbranch_execz .LBB6_15229
; %bb.15220:                            ;   in Loop: Header=BB6_13186 Depth=3
	v_mov_b32_e32 v7, 0
	v_cmp_ne_u32_e32 vcc, 0, v3
	buffer_store_dword v7, off, s[0:3], s33 offset:252 ; 4-byte Folded Spill
	s_and_saveexec_b64 s[36:37], vcc
	s_cbranch_execz .LBB6_15228
; %bb.15221:                            ;   in Loop: Header=BB6_13186 Depth=3
	v_bfe_u32 v39, v3, 23, 8
	v_cmp_gt_u32_e64 s[28:29], s47, v39
	v_sub_u32_e32 v3, 0x71, v39
	v_cmp_eq_u32_e32 vcc, 0, v39
	v_cndmask_b32_e64 v3, 0, v3, s[28:29]
	v_mov_b32_e32 v32, 0x70
	v_cndmask_b32_e32 v52, v3, v32, vcc
	v_or_b32_e32 v31, 0x800000, v1
	v_add_u32_e32 v3, 21, v52
	v_cndmask_b32_e32 v1, v31, v1, vcc
	v_lshlrev_b64 v[31:32], v3, -1
	v_add_u32_e32 v3, 20, v52
	v_bfi_b32 v31, v31, 0, v1
	v_lshlrev_b64 v[41:42], v3, 1
	v_lshrrev_b64 v[1:2], v52, v[1:2]
	v_bfi_b32 v32, v32, 0, 0
	v_cmp_eq_u64_e64 s[28:29], v[31:32], v[41:42]
	v_mov_b32_e32 v3, v2
	v_mov_b32_e32 v2, v1
	s_and_saveexec_b64 s[38:39], s[28:29]
; %bb.15222:                            ;   in Loop: Header=BB6_13186 Depth=3
	v_bfe_u32 v2, v1, 21, 1
	v_add_co_u32_e64 v2, s[28:29], v1, v2
	v_add_co_u32_e64 v2, s[28:29], -1, v2
; %bb.15223:                            ;   in Loop: Header=BB6_13186 Depth=3
	s_or_b64 exec, exec, s[38:39]
	v_add_u32_e32 v3, 0xffffff81, v39
	v_mov_b32_e32 v31, 0xffffff82
	v_cndmask_b32_e32 v3, v3, v31, vcc
	v_lshrrev_b32_e32 v31, 23, v1
	v_add3_u32 v52, v52, v3, v31
	v_add_u32_e32 v39, 14, v52
	v_and_b32_e32 v2, 0x1fffff, v2
	v_add_u32_e32 v1, v2, v1
	v_mov_b32_e32 v2, v33
	v_cmp_ne_u32_e32 vcc, 0, v39
                                        ; implicit-def: $vgpr3
	s_and_saveexec_b64 s[28:29], vcc
	s_xor_b64 s[28:29], exec, s[28:29]
; %bb.15224:                            ;   in Loop: Header=BB6_13186 Depth=3
	v_cmp_lt_u64_e32 vcc, s[88:89], v[1:2]
	v_add_u32_e32 v3, 15, v52
	v_cndmask_b32_e64 v31, 0, 1, vcc
	v_cndmask_b32_e32 v3, v39, v3, vcc
	v_lshrrev_b64 v[1:2], v31, v[1:2]
; %bb.15225:                            ;   in Loop: Header=BB6_13186 Depth=3
	s_andn2_saveexec_b64 s[28:29], s[28:29]
; %bb.15226:                            ;   in Loop: Header=BB6_13186 Depth=3
	v_bfe_u32 v3, v1, 23, 1
; %bb.15227:                            ;   in Loop: Header=BB6_13186 Depth=3
	s_or_b64 exec, exec, s[28:29]
	v_lshrrev_b64 v[1:2], 21, v[1:2]
	v_cmp_gt_i32_e32 vcc, 32, v3
	v_cndmask_b32_e32 v2, 0, v2, vcc
	v_cndmask_b32_e32 v1, 3, v1, vcc
	v_cmp_eq_u64_e64 s[28:29], 0, v[1:2]
	v_min_i32_e32 v2, 31, v3
	v_lshlrev_b32_e32 v2, 2, v2
	v_cmp_eq_u32_e32 vcc, 0, v3
	v_and_b32_e32 v2, 0xfc, v2
	v_and_or_b32 v1, v1, 3, v2
	s_and_b64 s[28:29], vcc, s[28:29]
	v_cndmask_b32_e64 v1, v1, 0, s[28:29]
	v_or_b32_e32 v1, v1, v5
	buffer_store_dword v1, off, s[0:3], s33 offset:252 ; 4-byte Folded Spill
.LBB6_15228:                            ;   in Loop: Header=BB6_13186 Depth=3
	s_or_b64 exec, exec, s[36:37]
                                        ; implicit-def: $vgpr5
.LBB6_15229:                            ;   in Loop: Header=BB6_13186 Depth=3
	s_andn2_saveexec_b64 s[28:29], s[34:35]
	s_cbranch_execz .LBB6_15231
; %bb.15230:                            ;   in Loop: Header=BB6_13186 Depth=3
	v_or_b32_e32 v1, 0x7b, v5
	buffer_store_dword v1, off, s[0:3], s33 offset:252 ; 4-byte Folded Spill
.LBB6_15231:                            ;   in Loop: Header=BB6_13186 Depth=3
	s_or_b64 exec, exec, s[28:29]
                                        ; implicit-def: $vgpr3
                                        ; implicit-def: $vgpr1_vgpr2
.LBB6_15232:                            ;   in Loop: Header=BB6_13186 Depth=3
	s_andn2_saveexec_b64 s[28:29], s[30:31]
	s_cbranch_execz .LBB6_15238
; %bb.15233:                            ;   in Loop: Header=BB6_13186 Depth=3
	v_cmp_ne_u64_e32 vcc, 0, v[1:2]
                                        ; implicit-def: $vgpr1
                                        ; kill: killed $vgpr1
	s_and_saveexec_b64 s[62:63], vcc
	s_xor_b64 vcc, exec, s[62:63]
	s_cbranch_execz .LBB6_15235
; %bb.15234:                            ;   in Loop: Header=BB6_13186 Depth=3
	v_or_b32_sdwa v1, v3, s44 dst_sel:DWORD dst_unused:UNUSED_PAD src0_sel:BYTE_3 src1_sel:DWORD
	buffer_store_dword v1, off, s[0:3], s33 offset:252 ; 4-byte Folded Spill
                                        ; implicit-def: $vgpr3
.LBB6_15235:                            ;   in Loop: Header=BB6_13186 Depth=3
	s_andn2_saveexec_b64 s[30:31], vcc
	s_cbranch_execz .LBB6_15237
; %bb.15236:                            ;   in Loop: Header=BB6_13186 Depth=3
	v_cmp_lt_i32_e32 vcc, -1, v3
	v_bfrev_b32_e32 v1, 0.5
	v_mov_b32_e32 v2, 0x7c
	v_cndmask_b32_e32 v1, v1, v2, vcc
	buffer_store_dword v1, off, s[0:3], s33 offset:252 ; 4-byte Folded Spill
.LBB6_15237:                            ;   in Loop: Header=BB6_13186 Depth=3
	s_or_b64 exec, exec, s[30:31]
.LBB6_15238:                            ;   in Loop: Header=BB6_13186 Depth=3
	s_or_b64 exec, exec, s[28:29]
	v_cmp_lt_u32_e32 vcc, s57, v0
	v_mov_b32_e32 v2, 0
	v_mov_b32_e32 v3, 0
	s_and_saveexec_b64 s[28:29], vcc
	s_cbranch_execz .LBB6_15246
; %bb.15239:                            ;   in Loop: Header=BB6_13186 Depth=3
	v_lshrrev_b32_e32 v1, 24, v0
	v_cmp_ne_u32_e32 vcc, s97, v1
	v_bfrev_b32_e32 v3, 1
	s_and_saveexec_b64 s[30:31], vcc
	s_cbranch_execz .LBB6_15245
; %bb.15240:                            ;   in Loop: Header=BB6_13186 Depth=3
	v_and_b32_e32 v3, 0x7c000000, v0
	v_bfe_u32 v5, v0, 24, 2
	v_cmp_ne_u32_e32 vcc, s68, v3
                                        ; implicit-def: $vgpr3
	s_and_saveexec_b64 s[62:63], vcc
	s_xor_b64 s[34:35], exec, s[62:63]
	s_cbranch_execz .LBB6_15242
; %bb.15241:                            ;   in Loop: Header=BB6_13186 Depth=3
	v_ffbh_u32_e32 v31, v5
	v_min_u32_e32 v39, 32, v31
	v_subrev_u32_e32 v31, 29, v39
	v_bfe_u32 v3, v0, 26, 5
	v_lshlrev_b64 v[31:32], v31, v[1:2]
	v_sub_u32_e32 v1, 30, v39
	v_cmp_eq_u32_e32 vcc, 0, v3
	v_and_b32_e32 v31, 3, v31
	v_cndmask_b32_e32 v1, v3, v1, vcc
	v_and_b32_e32 v0, 0x80000000, v0
	v_cndmask_b32_e32 v3, v5, v31, vcc
	v_lshl_add_u32 v0, v1, 23, v0
	v_lshl_or_b32 v0, v3, 21, v0
	v_add_u32_e32 v3, 0x38000000, v0
                                        ; implicit-def: $vgpr5
                                        ; implicit-def: $vgpr0_vgpr1
.LBB6_15242:                            ;   in Loop: Header=BB6_13186 Depth=3
	s_andn2_saveexec_b64 s[34:35], s[34:35]
; %bb.15243:                            ;   in Loop: Header=BB6_13186 Depth=3
	v_cmp_lt_i32_e32 vcc, -1, v0
	v_mov_b32_e32 v0, 0xff800000
	v_mov_b32_e32 v1, 0x7f800000
	v_cndmask_b32_e32 v0, v0, v1, vcc
	v_cmp_eq_u32_e32 vcc, 0, v5
	v_mov_b32_e32 v1, 0x7f800001
	v_cndmask_b32_e32 v3, v1, v0, vcc
; %bb.15244:                            ;   in Loop: Header=BB6_13186 Depth=3
	s_or_b64 exec, exec, s[34:35]
.LBB6_15245:                            ;   in Loop: Header=BB6_13186 Depth=3
	s_or_b64 exec, exec, s[30:31]
.LBB6_15246:                            ;   in Loop: Header=BB6_13186 Depth=3
	s_or_b64 exec, exec, s[28:29]
	v_cmp_lt_u64_e32 vcc, s[56:57], v[20:21]
	s_and_saveexec_b64 s[28:29], vcc
	s_cbranch_execz .LBB6_15254
; %bb.15247:                            ;   in Loop: Header=BB6_13186 Depth=3
	v_lshrrev_b32_e32 v0, 24, v21
	v_cmp_ne_u32_e32 vcc, s97, v0
	v_bfrev_b32_e32 v2, 1
	s_and_saveexec_b64 s[30:31], vcc
	s_cbranch_execz .LBB6_15253
; %bb.15248:                            ;   in Loop: Header=BB6_13186 Depth=3
	v_and_b32_e32 v2, 0x7c000000, v21
	v_bfe_u32 v1, v21, 24, 2
	v_cmp_ne_u32_e32 vcc, s68, v2
                                        ; implicit-def: $vgpr2
	s_and_saveexec_b64 s[62:63], vcc
	s_xor_b64 s[34:35], exec, s[62:63]
	s_cbranch_execz .LBB6_15250
; %bb.15249:                            ;   in Loop: Header=BB6_13186 Depth=3
	v_ffbh_u32_e32 v5, v1
	v_min_u32_e32 v5, 32, v5
	v_subrev_u32_e32 v31, 29, v5
	v_bfe_u32 v2, v21, 26, 5
	v_lshlrev_b64 v[31:32], v31, v[0:1]
	v_sub_u32_e32 v0, 30, v5
	v_cmp_eq_u32_e32 vcc, 0, v2
	v_and_b32_e32 v5, 3, v31
	v_cndmask_b32_e32 v0, v2, v0, vcc
	v_and_b32_e32 v2, 0x80000000, v21
	v_cndmask_b32_e32 v1, v1, v5, vcc
	v_lshl_add_u32 v0, v0, 23, v2
	v_lshl_or_b32 v0, v1, 21, v0
	v_add_u32_e32 v2, 0x38000000, v0
                                        ; implicit-def: $vgpr1
.LBB6_15250:                            ;   in Loop: Header=BB6_13186 Depth=3
	s_andn2_saveexec_b64 s[34:35], s[34:35]
; %bb.15251:                            ;   in Loop: Header=BB6_13186 Depth=3
	v_cmp_lt_i64_e32 vcc, -1, v[20:21]
	v_mov_b32_e32 v0, 0xff800000
	v_mov_b32_e32 v2, 0x7f800000
	v_cndmask_b32_e32 v0, v0, v2, vcc
	v_cmp_eq_u32_e32 vcc, 0, v1
	v_mov_b32_e32 v1, 0x7f800001
	v_cndmask_b32_e32 v2, v1, v0, vcc
; %bb.15252:                            ;   in Loop: Header=BB6_13186 Depth=3
	s_or_b64 exec, exec, s[34:35]
.LBB6_15253:                            ;   in Loop: Header=BB6_13186 Depth=3
	s_or_b64 exec, exec, s[30:31]
.LBB6_15254:                            ;   in Loop: Header=BB6_13186 Depth=3
	s_or_b64 exec, exec, s[28:29]
	v_add_f32_e32 v2, v3, v2
	v_and_b32_e32 v20, 0x7f800000, v2
	v_mov_b32_e32 v21, v33
	v_cmp_ne_u64_e32 vcc, s[76:77], v[20:21]
	v_and_b32_e32 v0, 0x7fffff, v2
	v_mov_b32_e32 v1, v33
                                        ; implicit-def: $vgpr3
                                        ; kill: killed $vgpr3
	s_and_saveexec_b64 s[28:29], vcc
	s_xor_b64 s[30:31], exec, s[28:29]
	s_cbranch_execz .LBB6_15268
; %bb.15255:                            ;   in Loop: Header=BB6_13186 Depth=3
	v_and_b32_e32 v20, 0x7fffffff, v2
	v_mov_b32_e32 v21, v33
	v_cmp_gt_u64_e32 vcc, s[78:79], v[20:21]
	v_and_b32_sdwa v3, v2, s97 dst_sel:DWORD dst_unused:UNUSED_PAD src0_sel:BYTE_3 src1_sel:DWORD
                                        ; implicit-def: $vgpr5
                                        ; kill: killed $vgpr5
	s_and_saveexec_b64 s[28:29], vcc
	s_xor_b64 s[34:35], exec, s[28:29]
	s_cbranch_execz .LBB6_15265
; %bb.15256:                            ;   in Loop: Header=BB6_13186 Depth=3
	v_mov_b32_e32 v5, 0
	v_cmp_ne_u32_e32 vcc, 0, v2
	buffer_store_dword v5, off, s[0:3], s33 offset:300 ; 4-byte Folded Spill
	s_and_saveexec_b64 s[36:37], vcc
	s_cbranch_execz .LBB6_15264
; %bb.15257:                            ;   in Loop: Header=BB6_13186 Depth=3
	v_bfe_u32 v5, v2, 23, 8
	v_cmp_gt_u32_e64 s[28:29], s47, v5
	v_sub_u32_e32 v2, 0x71, v5
	v_cmp_eq_u32_e32 vcc, 0, v5
	v_cndmask_b32_e64 v2, 0, v2, s[28:29]
	v_mov_b32_e32 v20, 0x70
	v_cndmask_b32_e32 v20, v2, v20, vcc
	v_add_u32_e32 v2, 21, v20
	v_or_b32_e32 v21, 0x800000, v0
	v_lshlrev_b64 v[31:32], v2, -1
	v_cndmask_b32_e32 v0, v21, v0, vcc
	v_add_u32_e32 v2, 20, v20
	v_bfi_b32 v31, v31, 0, v0
	v_lshlrev_b64 v[41:42], v2, 1
	v_lshrrev_b64 v[0:1], v20, v[0:1]
	v_bfi_b32 v32, v32, 0, 0
	v_cmp_eq_u64_e64 s[28:29], v[31:32], v[41:42]
	v_mov_b32_e32 v2, v1
	v_mov_b32_e32 v1, v0
	s_and_saveexec_b64 s[38:39], s[28:29]
; %bb.15258:                            ;   in Loop: Header=BB6_13186 Depth=3
	v_bfe_u32 v1, v0, 21, 1
	v_add_co_u32_e64 v1, s[28:29], v0, v1
	v_add_co_u32_e64 v1, s[28:29], -1, v1
; %bb.15259:                            ;   in Loop: Header=BB6_13186 Depth=3
	s_or_b64 exec, exec, s[38:39]
	v_add_u32_e32 v2, 0xffffff81, v5
	v_mov_b32_e32 v5, 0xffffff82
	v_cndmask_b32_e32 v2, v2, v5, vcc
	v_lshrrev_b32_e32 v5, 23, v0
	v_add3_u32 v20, v20, v2, v5
	v_add_u32_e32 v5, 14, v20
	v_and_b32_e32 v1, 0x1fffff, v1
	v_add_u32_e32 v0, v1, v0
	v_mov_b32_e32 v1, v33
	v_cmp_ne_u32_e32 vcc, 0, v5
                                        ; implicit-def: $vgpr2
	s_and_saveexec_b64 s[28:29], vcc
	s_xor_b64 s[28:29], exec, s[28:29]
; %bb.15260:                            ;   in Loop: Header=BB6_13186 Depth=3
	v_cmp_lt_u64_e32 vcc, s[88:89], v[0:1]
	v_add_u32_e32 v2, 15, v20
	v_cndmask_b32_e32 v2, v5, v2, vcc
	v_cndmask_b32_e64 v5, 0, 1, vcc
	v_lshrrev_b64 v[0:1], v5, v[0:1]
; %bb.15261:                            ;   in Loop: Header=BB6_13186 Depth=3
	s_andn2_saveexec_b64 s[28:29], s[28:29]
; %bb.15262:                            ;   in Loop: Header=BB6_13186 Depth=3
	v_bfe_u32 v2, v0, 23, 1
; %bb.15263:                            ;   in Loop: Header=BB6_13186 Depth=3
	s_or_b64 exec, exec, s[28:29]
	v_lshrrev_b64 v[0:1], 21, v[0:1]
	v_cmp_gt_i32_e32 vcc, 32, v2
	v_cndmask_b32_e32 v1, 0, v1, vcc
	v_cndmask_b32_e32 v0, 3, v0, vcc
	v_cmp_eq_u64_e64 s[28:29], 0, v[0:1]
	v_min_i32_e32 v1, 31, v2
	v_lshlrev_b32_e32 v1, 2, v1
	v_cmp_eq_u32_e32 vcc, 0, v2
	v_and_b32_e32 v1, 0xfc, v1
	v_and_or_b32 v0, v0, 3, v1
	s_and_b64 s[28:29], vcc, s[28:29]
	v_cndmask_b32_e64 v0, v0, 0, s[28:29]
	v_or_b32_e32 v0, v0, v3
	buffer_store_dword v0, off, s[0:3], s33 offset:300 ; 4-byte Folded Spill
.LBB6_15264:                            ;   in Loop: Header=BB6_13186 Depth=3
	s_or_b64 exec, exec, s[36:37]
                                        ; implicit-def: $vgpr3
.LBB6_15265:                            ;   in Loop: Header=BB6_13186 Depth=3
	s_andn2_saveexec_b64 s[28:29], s[34:35]
	s_cbranch_execz .LBB6_15267
; %bb.15266:                            ;   in Loop: Header=BB6_13186 Depth=3
	v_or_b32_e32 v0, 0x7b, v3
	buffer_store_dword v0, off, s[0:3], s33 offset:300 ; 4-byte Folded Spill
.LBB6_15267:                            ;   in Loop: Header=BB6_13186 Depth=3
	s_or_b64 exec, exec, s[28:29]
                                        ; implicit-def: $vgpr2
                                        ; implicit-def: $vgpr0_vgpr1
.LBB6_15268:                            ;   in Loop: Header=BB6_13186 Depth=3
	s_andn2_saveexec_b64 s[28:29], s[30:31]
	s_cbranch_execz .LBB6_15274
; %bb.15269:                            ;   in Loop: Header=BB6_13186 Depth=3
	v_cmp_ne_u64_e32 vcc, 0, v[0:1]
                                        ; implicit-def: $vgpr0
                                        ; kill: killed $vgpr0
	s_and_saveexec_b64 s[62:63], vcc
	s_xor_b64 vcc, exec, s[62:63]
	s_cbranch_execz .LBB6_15271
; %bb.15270:                            ;   in Loop: Header=BB6_13186 Depth=3
	v_or_b32_sdwa v0, v2, s44 dst_sel:DWORD dst_unused:UNUSED_PAD src0_sel:BYTE_3 src1_sel:DWORD
	buffer_store_dword v0, off, s[0:3], s33 offset:300 ; 4-byte Folded Spill
                                        ; implicit-def: $vgpr2
.LBB6_15271:                            ;   in Loop: Header=BB6_13186 Depth=3
	s_andn2_saveexec_b64 s[30:31], vcc
	s_cbranch_execz .LBB6_15273
; %bb.15272:                            ;   in Loop: Header=BB6_13186 Depth=3
	v_cmp_lt_i32_e32 vcc, -1, v2
	v_bfrev_b32_e32 v0, 0.5
	v_mov_b32_e32 v1, 0x7c
	v_cndmask_b32_e32 v0, v0, v1, vcc
	buffer_store_dword v0, off, s[0:3], s33 offset:300 ; 4-byte Folded Spill
.LBB6_15273:                            ;   in Loop: Header=BB6_13186 Depth=3
	s_or_b64 exec, exec, s[30:31]
.LBB6_15274:                            ;   in Loop: Header=BB6_13186 Depth=3
	s_or_b64 exec, exec, s[28:29]
	v_lshl_or_b32 v5, v35, 8, v54
	v_lshlrev_b32_e32 v0, 16, v51
	v_lshlrev_b32_e32 v1, 24, v53
	v_or3_b32 v0, v0, v1, v5
	v_mov_b32_e32 v1, v33
	v_cmp_ne_u32_e32 vcc, 0, v54
	v_mov_b32_e32 v2, 0
	v_mov_b32_e32 v3, 0
	s_and_saveexec_b64 s[30:31], vcc
	s_cbranch_execz .LBB6_15282
; %bb.15275:                            ;   in Loop: Header=BB6_13186 Depth=3
	v_cmp_ne_u32_e32 vcc, s97, v54
	v_bfrev_b32_e32 v3, 1
	s_and_saveexec_b64 s[34:35], vcc
	s_cbranch_execz .LBB6_15281
; %bb.15276:                            ;   in Loop: Header=BB6_13186 Depth=3
	v_and_b32_e32 v3, 0x7c, v54
	v_and_b32_e32 v20, 3, v54
	v_cmp_ne_u32_e32 vcc, s86, v3
                                        ; implicit-def: $vgpr3
	s_and_saveexec_b64 s[28:29], vcc
	s_xor_b64 s[28:29], exec, s[28:29]
	s_cbranch_execz .LBB6_15278
; %bb.15277:                            ;   in Loop: Header=BB6_13186 Depth=3
	v_ffbh_u32_e32 v21, v20
	v_min_u32_e32 v21, 32, v21
	v_subrev_u32_e32 v31, 29, v21
	v_lshlrev_b64 v[31:32], v31, v[0:1]
	v_bfe_u32 v3, v54, 2, 5
	v_sub_u32_e32 v1, 30, v21
	v_and_b32_e32 v21, 3, v31
	v_cmp_eq_u32_e32 vcc, 0, v3
	v_cndmask_b32_e32 v1, v3, v1, vcc
	v_cndmask_b32_e32 v3, v20, v21, vcc
	v_lshlrev_b32_e32 v20, 24, v54
	v_and_b32_e32 v20, 0x80000000, v20
	v_lshl_add_u32 v1, v1, 23, v20
	v_lshl_or_b32 v1, v3, 21, v1
	v_add_u32_e32 v3, 0x38000000, v1
                                        ; implicit-def: $vgpr20
                                        ; implicit-def: $vgpr54
.LBB6_15278:                            ;   in Loop: Header=BB6_13186 Depth=3
	s_andn2_saveexec_b64 s[36:37], s[28:29]
; %bb.15279:                            ;   in Loop: Header=BB6_13186 Depth=3
	v_and_b32_e32 v1, 0x80, v54
	v_cmp_eq_u32_e64 s[28:29], 0, v1
	v_mov_b32_e32 v1, 0xff800000
	v_mov_b32_e32 v3, 0x7f800000
	v_cmp_eq_u32_e32 vcc, 0, v20
	v_cndmask_b32_e64 v1, v1, v3, s[28:29]
	v_mov_b32_e32 v3, 0x7f800001
	v_cndmask_b32_e32 v3, v3, v1, vcc
; %bb.15280:                            ;   in Loop: Header=BB6_13186 Depth=3
	s_or_b64 exec, exec, s[36:37]
.LBB6_15281:                            ;   in Loop: Header=BB6_13186 Depth=3
	s_or_b64 exec, exec, s[34:35]
.LBB6_15282:                            ;   in Loop: Header=BB6_13186 Depth=3
	s_or_b64 exec, exec, s[30:31]
	v_cmp_ne_u16_sdwa s[62:63], v22, v33 src0_sel:BYTE_0 src1_sel:DWORD
	s_and_saveexec_b64 s[28:29], s[62:63]
	s_cbranch_execz .LBB6_15290
; %bb.15283:                            ;   in Loop: Header=BB6_13186 Depth=3
	v_cmp_ne_u16_sdwa s[62:63], sext(v22), s46 src0_sel:BYTE_0 src1_sel:DWORD
	v_bfrev_b32_e32 v2, 1
	s_and_saveexec_b64 s[30:31], s[62:63]
	s_cbranch_execz .LBB6_15289
; %bb.15284:                            ;   in Loop: Header=BB6_13186 Depth=3
	v_and_b32_e32 v2, 0x7c, v22
	v_and_b32_e32 v1, 3, v22
	v_cmp_ne_u32_e32 vcc, s86, v2
                                        ; implicit-def: $vgpr2
	s_and_saveexec_b64 s[62:63], vcc
	s_xor_b64 s[34:35], exec, s[62:63]
	s_cbranch_execz .LBB6_15286
; %bb.15285:                            ;   in Loop: Header=BB6_13186 Depth=3
	v_ffbh_u32_e32 v20, v1
	v_min_u32_e32 v31, 32, v20
	v_subrev_u32_e32 v20, 29, v31
	v_lshlrev_b64 v[20:21], v20, v[22:23]
	v_bfe_u32 v2, v22, 2, 5
	v_and_b32_e32 v20, 3, v20
	v_cmp_eq_u32_e32 vcc, 0, v2
	v_sub_u32_e32 v21, 30, v31
	v_cndmask_b32_e32 v1, v1, v20, vcc
	v_lshlrev_b32_e32 v20, 24, v22
	v_cndmask_b32_e32 v2, v2, v21, vcc
	v_and_b32_e32 v20, 0x80000000, v20
	v_lshl_add_u32 v2, v2, 23, v20
	v_lshl_or_b32 v1, v1, 21, v2
	v_add_u32_e32 v2, 0x38000000, v1
                                        ; implicit-def: $vgpr1
.LBB6_15286:                            ;   in Loop: Header=BB6_13186 Depth=3
	s_andn2_saveexec_b64 s[34:35], s[34:35]
; %bb.15287:                            ;   in Loop: Header=BB6_13186 Depth=3
	v_mov_b32_e32 v2, -1
	v_cmp_gt_i16_sdwa vcc, sext(v22), v2 src0_sel:BYTE_0 src1_sel:DWORD
	v_mov_b32_e32 v2, 0xff800000
	v_mov_b32_e32 v20, 0x7f800000
	v_cndmask_b32_e32 v2, v2, v20, vcc
	v_cmp_eq_u32_e32 vcc, 0, v1
	v_mov_b32_e32 v1, 0x7f800001
	v_cndmask_b32_e32 v2, v1, v2, vcc
; %bb.15288:                            ;   in Loop: Header=BB6_13186 Depth=3
	s_or_b64 exec, exec, s[34:35]
.LBB6_15289:                            ;   in Loop: Header=BB6_13186 Depth=3
	s_or_b64 exec, exec, s[30:31]
.LBB6_15290:                            ;   in Loop: Header=BB6_13186 Depth=3
	s_or_b64 exec, exec, s[28:29]
	v_add_f32_e32 v3, v3, v2
	v_and_b32_e32 v20, 0x7f800000, v3
	v_mov_b32_e32 v21, v33
	v_cmp_ne_u64_e32 vcc, s[76:77], v[20:21]
	v_and_b32_e32 v1, 0x7fffff, v3
	v_mov_b32_e32 v2, v33
                                        ; implicit-def: $vgpr7
                                        ; kill: killed $vgpr7
	s_and_saveexec_b64 s[28:29], vcc
	s_xor_b64 s[30:31], exec, s[28:29]
	s_cbranch_execz .LBB6_15304
; %bb.15291:                            ;   in Loop: Header=BB6_13186 Depth=3
	v_and_b32_e32 v20, 0x7fffffff, v3
	v_mov_b32_e32 v21, v33
	v_cmp_gt_u64_e32 vcc, s[78:79], v[20:21]
	v_and_b32_sdwa v20, v3, s97 dst_sel:DWORD dst_unused:UNUSED_PAD src0_sel:BYTE_3 src1_sel:DWORD
                                        ; implicit-def: $vgpr7
                                        ; kill: killed $vgpr7
	s_and_saveexec_b64 s[28:29], vcc
	s_xor_b64 s[34:35], exec, s[28:29]
	s_cbranch_execz .LBB6_15301
; %bb.15292:                            ;   in Loop: Header=BB6_13186 Depth=3
	v_mov_b32_e32 v7, 0
	v_cmp_ne_u32_e32 vcc, 0, v3
	buffer_store_dword v7, off, s[0:3], s33 offset:84 ; 4-byte Folded Spill
	s_and_saveexec_b64 s[36:37], vcc
	s_cbranch_execz .LBB6_15300
; %bb.15293:                            ;   in Loop: Header=BB6_13186 Depth=3
	v_bfe_u32 v21, v3, 23, 8
	v_cmp_gt_u32_e64 s[28:29], s47, v21
	v_sub_u32_e32 v3, 0x71, v21
	v_cmp_eq_u32_e32 vcc, 0, v21
	v_cndmask_b32_e64 v3, 0, v3, s[28:29]
	v_mov_b32_e32 v32, 0x70
	v_cndmask_b32_e32 v39, v3, v32, vcc
	v_or_b32_e32 v31, 0x800000, v1
	v_add_u32_e32 v3, 21, v39
	v_cndmask_b32_e32 v1, v31, v1, vcc
	v_lshlrev_b64 v[31:32], v3, -1
	v_add_u32_e32 v3, 20, v39
	v_bfi_b32 v31, v31, 0, v1
	v_lshlrev_b64 v[51:52], v3, 1
	v_lshrrev_b64 v[1:2], v39, v[1:2]
	v_bfi_b32 v32, v32, 0, 0
	v_cmp_eq_u64_e64 s[28:29], v[31:32], v[51:52]
	v_mov_b32_e32 v3, v2
	v_mov_b32_e32 v2, v1
	s_and_saveexec_b64 s[38:39], s[28:29]
; %bb.15294:                            ;   in Loop: Header=BB6_13186 Depth=3
	v_bfe_u32 v2, v1, 21, 1
	v_add_co_u32_e64 v2, s[28:29], v1, v2
	v_add_co_u32_e64 v2, s[28:29], -1, v2
; %bb.15295:                            ;   in Loop: Header=BB6_13186 Depth=3
	s_or_b64 exec, exec, s[38:39]
	v_add_u32_e32 v3, 0xffffff81, v21
	v_mov_b32_e32 v21, 0xffffff82
	v_cndmask_b32_e32 v3, v3, v21, vcc
	v_lshrrev_b32_e32 v21, 23, v1
	v_add3_u32 v39, v39, v3, v21
	v_add_u32_e32 v21, 14, v39
	v_and_b32_e32 v2, 0x1fffff, v2
	v_add_u32_e32 v1, v2, v1
	v_mov_b32_e32 v2, v33
	v_cmp_ne_u32_e32 vcc, 0, v21
                                        ; implicit-def: $vgpr3
	s_and_saveexec_b64 s[28:29], vcc
	s_xor_b64 s[28:29], exec, s[28:29]
; %bb.15296:                            ;   in Loop: Header=BB6_13186 Depth=3
	v_cmp_lt_u64_e32 vcc, s[88:89], v[1:2]
	v_add_u32_e32 v3, 15, v39
	v_cndmask_b32_e32 v3, v21, v3, vcc
	v_cndmask_b32_e64 v21, 0, 1, vcc
	v_lshrrev_b64 v[1:2], v21, v[1:2]
; %bb.15297:                            ;   in Loop: Header=BB6_13186 Depth=3
	s_andn2_saveexec_b64 s[28:29], s[28:29]
; %bb.15298:                            ;   in Loop: Header=BB6_13186 Depth=3
	v_bfe_u32 v3, v1, 23, 1
; %bb.15299:                            ;   in Loop: Header=BB6_13186 Depth=3
	s_or_b64 exec, exec, s[28:29]
	v_lshrrev_b64 v[1:2], 21, v[1:2]
	v_cmp_gt_i32_e32 vcc, 32, v3
	v_cndmask_b32_e32 v2, 0, v2, vcc
	v_cndmask_b32_e32 v1, 3, v1, vcc
	v_cmp_eq_u64_e64 s[28:29], 0, v[1:2]
	v_min_i32_e32 v2, 31, v3
	v_lshlrev_b32_e32 v2, 2, v2
	v_cmp_eq_u32_e32 vcc, 0, v3
	v_and_b32_e32 v2, 0xfc, v2
	v_and_or_b32 v1, v1, 3, v2
	s_and_b64 s[28:29], vcc, s[28:29]
	v_cndmask_b32_e64 v1, v1, 0, s[28:29]
	v_or_b32_e32 v1, v1, v20
	buffer_store_dword v1, off, s[0:3], s33 offset:84 ; 4-byte Folded Spill
.LBB6_15300:                            ;   in Loop: Header=BB6_13186 Depth=3
	s_or_b64 exec, exec, s[36:37]
                                        ; implicit-def: $vgpr20
.LBB6_15301:                            ;   in Loop: Header=BB6_13186 Depth=3
	s_andn2_saveexec_b64 s[28:29], s[34:35]
	s_cbranch_execz .LBB6_15303
; %bb.15302:                            ;   in Loop: Header=BB6_13186 Depth=3
	v_or_b32_e32 v1, 0x7b, v20
	buffer_store_dword v1, off, s[0:3], s33 offset:84 ; 4-byte Folded Spill
.LBB6_15303:                            ;   in Loop: Header=BB6_13186 Depth=3
	s_or_b64 exec, exec, s[28:29]
                                        ; implicit-def: $vgpr3
                                        ; implicit-def: $vgpr1_vgpr2
.LBB6_15304:                            ;   in Loop: Header=BB6_13186 Depth=3
	s_andn2_saveexec_b64 s[28:29], s[30:31]
	s_cbranch_execz .LBB6_15310
; %bb.15305:                            ;   in Loop: Header=BB6_13186 Depth=3
	v_cmp_ne_u64_e32 vcc, 0, v[1:2]
                                        ; implicit-def: $vgpr1
                                        ; kill: killed $vgpr1
	s_and_saveexec_b64 s[62:63], vcc
	s_xor_b64 vcc, exec, s[62:63]
	s_cbranch_execz .LBB6_15307
; %bb.15306:                            ;   in Loop: Header=BB6_13186 Depth=3
	v_or_b32_sdwa v1, v3, s44 dst_sel:DWORD dst_unused:UNUSED_PAD src0_sel:BYTE_3 src1_sel:DWORD
	buffer_store_dword v1, off, s[0:3], s33 offset:84 ; 4-byte Folded Spill
                                        ; implicit-def: $vgpr3
.LBB6_15307:                            ;   in Loop: Header=BB6_13186 Depth=3
	s_andn2_saveexec_b64 s[30:31], vcc
	s_cbranch_execz .LBB6_15309
; %bb.15308:                            ;   in Loop: Header=BB6_13186 Depth=3
	v_cmp_lt_i32_e32 vcc, -1, v3
	v_bfrev_b32_e32 v1, 0.5
	v_mov_b32_e32 v2, 0x7c
	v_cndmask_b32_e32 v1, v1, v2, vcc
	buffer_store_dword v1, off, s[0:3], s33 offset:84 ; 4-byte Folded Spill
.LBB6_15309:                            ;   in Loop: Header=BB6_13186 Depth=3
	s_or_b64 exec, exec, s[30:31]
.LBB6_15310:                            ;   in Loop: Header=BB6_13186 Depth=3
	s_or_b64 exec, exec, s[28:29]
	v_lshrrev_b16_e32 v1, 8, v5
	v_cmp_ne_u16_e32 vcc, 0, v1
	v_mov_b32_e32 v3, 0
	v_mov_b32_e32 v20, 0
	s_and_saveexec_b64 s[28:29], vcc
	s_cbranch_execz .LBB6_15318
; %bb.15311:                            ;   in Loop: Header=BB6_13186 Depth=3
	v_cmp_ne_u16_e32 vcc, s97, v1
	v_bfrev_b32_e32 v20, 1
	s_and_saveexec_b64 s[30:31], vcc
	s_cbranch_execz .LBB6_15317
; %bb.15312:                            ;   in Loop: Header=BB6_13186 Depth=3
	v_and_b32_e32 v2, 0x7c, v1
	v_and_b32_e32 v21, 3, v1
	v_cmp_ne_u32_e32 vcc, s86, v2
                                        ; implicit-def: $vgpr20
	s_and_saveexec_b64 s[62:63], vcc
	s_xor_b64 s[34:35], exec, s[62:63]
	s_cbranch_execz .LBB6_15314
; %bb.15313:                            ;   in Loop: Header=BB6_13186 Depth=3
	v_ffbh_u32_e32 v31, v21
	v_min_u32_e32 v31, 32, v31
	v_mov_b32_e32 v2, v33
	v_subrev_u32_e32 v32, 29, v31
	v_bfe_u32 v20, v1, 2, 5
	v_lshlrev_b64 v[1:2], v32, v[1:2]
	v_sub_u32_e32 v2, 30, v31
	v_cmp_eq_u32_e32 vcc, 0, v20
	v_lshlrev_b32_e32 v5, 16, v5
	v_and_b32_e32 v1, 3, v1
	v_cndmask_b32_e32 v2, v20, v2, vcc
	v_and_b32_e32 v5, 0x80000000, v5
	v_cndmask_b32_e32 v1, v21, v1, vcc
	v_lshl_add_u32 v2, v2, 23, v5
	v_lshl_or_b32 v1, v1, 21, v2
	v_add_u32_e32 v20, 0x38000000, v1
                                        ; implicit-def: $vgpr21
                                        ; implicit-def: $vgpr5
.LBB6_15314:                            ;   in Loop: Header=BB6_13186 Depth=3
	s_andn2_saveexec_b64 s[34:35], s[34:35]
; %bb.15315:                            ;   in Loop: Header=BB6_13186 Depth=3
	v_cmp_lt_i16_e32 vcc, -1, v5
	v_mov_b32_e32 v1, 0xff800000
	v_mov_b32_e32 v2, 0x7f800000
	v_cndmask_b32_e32 v1, v1, v2, vcc
	v_cmp_eq_u32_e32 vcc, 0, v21
	v_mov_b32_e32 v2, 0x7f800001
	v_cndmask_b32_e32 v20, v2, v1, vcc
; %bb.15316:                            ;   in Loop: Header=BB6_13186 Depth=3
	s_or_b64 exec, exec, s[34:35]
.LBB6_15317:                            ;   in Loop: Header=BB6_13186 Depth=3
	s_or_b64 exec, exec, s[30:31]
.LBB6_15318:                            ;   in Loop: Header=BB6_13186 Depth=3
	s_or_b64 exec, exec, s[28:29]
	v_lshrrev_b16_e32 v1, 8, v22
	v_cmp_ne_u16_e32 vcc, 0, v1
	s_and_saveexec_b64 s[28:29], vcc
	s_cbranch_execz .LBB6_15326
; %bb.15319:                            ;   in Loop: Header=BB6_13186 Depth=3
	v_cmp_ne_u16_e32 vcc, s97, v1
	v_bfrev_b32_e32 v3, 1
	s_and_saveexec_b64 s[30:31], vcc
	s_cbranch_execz .LBB6_15325
; %bb.15320:                            ;   in Loop: Header=BB6_13186 Depth=3
	v_and_b32_e32 v2, 0x7c, v1
	v_and_b32_e32 v5, 3, v1
	v_cmp_ne_u32_e32 vcc, s86, v2
                                        ; implicit-def: $vgpr3
	s_and_saveexec_b64 s[62:63], vcc
	s_xor_b64 s[34:35], exec, s[62:63]
	s_cbranch_execz .LBB6_15322
; %bb.15321:                            ;   in Loop: Header=BB6_13186 Depth=3
	v_ffbh_u32_e32 v21, v5
	v_min_u32_e32 v21, 32, v21
	v_mov_b32_e32 v2, v33
	v_subrev_u32_e32 v31, 29, v21
	v_bfe_u32 v3, v1, 2, 5
	v_lshlrev_b64 v[1:2], v31, v[1:2]
	v_sub_u32_e32 v2, 30, v21
	v_cmp_eq_u32_e32 vcc, 0, v3
	v_cndmask_b32_e32 v2, v3, v2, vcc
	v_lshlrev_b32_e32 v3, 16, v22
	v_and_b32_e32 v1, 3, v1
	v_and_b32_e32 v3, 0x80000000, v3
	v_cndmask_b32_e32 v1, v5, v1, vcc
	v_lshl_add_u32 v2, v2, 23, v3
	v_lshl_or_b32 v1, v1, 21, v2
	v_add_u32_e32 v3, 0x38000000, v1
                                        ; implicit-def: $vgpr5
.LBB6_15322:                            ;   in Loop: Header=BB6_13186 Depth=3
	s_andn2_saveexec_b64 s[34:35], s[34:35]
; %bb.15323:                            ;   in Loop: Header=BB6_13186 Depth=3
	v_cmp_lt_i16_e32 vcc, -1, v22
	v_mov_b32_e32 v1, 0xff800000
	v_mov_b32_e32 v2, 0x7f800000
	v_cndmask_b32_e32 v1, v1, v2, vcc
	v_cmp_eq_u32_e32 vcc, 0, v5
	v_mov_b32_e32 v2, 0x7f800001
	v_cndmask_b32_e32 v3, v2, v1, vcc
; %bb.15324:                            ;   in Loop: Header=BB6_13186 Depth=3
	s_or_b64 exec, exec, s[34:35]
.LBB6_15325:                            ;   in Loop: Header=BB6_13186 Depth=3
	s_or_b64 exec, exec, s[30:31]
.LBB6_15326:                            ;   in Loop: Header=BB6_13186 Depth=3
	s_or_b64 exec, exec, s[28:29]
	v_add_f32_e32 v3, v20, v3
	v_and_b32_e32 v20, 0x7f800000, v3
	v_mov_b32_e32 v21, v33
	v_cmp_ne_u64_e32 vcc, s[76:77], v[20:21]
	v_and_b32_e32 v1, 0x7fffff, v3
	v_mov_b32_e32 v2, v33
                                        ; implicit-def: $vgpr5
                                        ; kill: killed $vgpr5
	s_and_saveexec_b64 s[28:29], vcc
	s_xor_b64 s[30:31], exec, s[28:29]
	s_cbranch_execz .LBB6_15340
; %bb.15327:                            ;   in Loop: Header=BB6_13186 Depth=3
	v_and_b32_e32 v20, 0x7fffffff, v3
	v_mov_b32_e32 v21, v33
	v_cmp_gt_u64_e32 vcc, s[78:79], v[20:21]
	v_and_b32_sdwa v5, v3, s97 dst_sel:DWORD dst_unused:UNUSED_PAD src0_sel:BYTE_3 src1_sel:DWORD
                                        ; implicit-def: $vgpr7
                                        ; kill: killed $vgpr7
	s_and_saveexec_b64 s[28:29], vcc
	s_xor_b64 s[34:35], exec, s[28:29]
	s_cbranch_execz .LBB6_15337
; %bb.15328:                            ;   in Loop: Header=BB6_13186 Depth=3
	v_mov_b32_e32 v7, 0
	v_cmp_ne_u32_e32 vcc, 0, v3
	buffer_store_dword v7, off, s[0:3], s33 offset:336 ; 4-byte Folded Spill
	s_and_saveexec_b64 s[36:37], vcc
	s_cbranch_execz .LBB6_15336
; %bb.15329:                            ;   in Loop: Header=BB6_13186 Depth=3
	v_bfe_u32 v20, v3, 23, 8
	v_cmp_gt_u32_e64 s[28:29], s47, v20
	v_sub_u32_e32 v3, 0x71, v20
	v_cmp_eq_u32_e32 vcc, 0, v20
	v_cndmask_b32_e64 v3, 0, v3, s[28:29]
	v_mov_b32_e32 v21, 0x70
	v_cndmask_b32_e32 v21, v3, v21, vcc
	v_or_b32_e32 v31, 0x800000, v1
	v_add_u32_e32 v3, 21, v21
	v_cndmask_b32_e32 v1, v31, v1, vcc
	v_lshlrev_b64 v[31:32], v3, -1
	v_add_u32_e32 v3, 20, v21
	v_bfi_b32 v31, v31, 0, v1
	v_lshlrev_b64 v[51:52], v3, 1
	v_lshrrev_b64 v[1:2], v21, v[1:2]
	v_bfi_b32 v32, v32, 0, 0
	v_cmp_eq_u64_e64 s[28:29], v[31:32], v[51:52]
	v_mov_b32_e32 v3, v2
	v_mov_b32_e32 v2, v1
	s_and_saveexec_b64 s[38:39], s[28:29]
; %bb.15330:                            ;   in Loop: Header=BB6_13186 Depth=3
	v_bfe_u32 v2, v1, 21, 1
	v_add_co_u32_e64 v2, s[28:29], v1, v2
	v_add_co_u32_e64 v2, s[28:29], -1, v2
; %bb.15331:                            ;   in Loop: Header=BB6_13186 Depth=3
	s_or_b64 exec, exec, s[38:39]
	v_add_u32_e32 v3, 0xffffff81, v20
	v_mov_b32_e32 v20, 0xffffff82
	v_cndmask_b32_e32 v3, v3, v20, vcc
	v_lshrrev_b32_e32 v20, 23, v1
	v_add3_u32 v21, v21, v3, v20
	v_add_u32_e32 v20, 14, v21
	v_and_b32_e32 v2, 0x1fffff, v2
	v_add_u32_e32 v1, v2, v1
	v_mov_b32_e32 v2, v33
	v_cmp_ne_u32_e32 vcc, 0, v20
                                        ; implicit-def: $vgpr3
	s_and_saveexec_b64 s[28:29], vcc
	s_xor_b64 s[28:29], exec, s[28:29]
; %bb.15332:                            ;   in Loop: Header=BB6_13186 Depth=3
	v_cmp_lt_u64_e32 vcc, s[88:89], v[1:2]
	v_add_u32_e32 v3, 15, v21
	v_cndmask_b32_e32 v3, v20, v3, vcc
	v_cndmask_b32_e64 v20, 0, 1, vcc
	v_lshrrev_b64 v[1:2], v20, v[1:2]
; %bb.15333:                            ;   in Loop: Header=BB6_13186 Depth=3
	s_andn2_saveexec_b64 s[28:29], s[28:29]
; %bb.15334:                            ;   in Loop: Header=BB6_13186 Depth=3
	v_bfe_u32 v3, v1, 23, 1
; %bb.15335:                            ;   in Loop: Header=BB6_13186 Depth=3
	s_or_b64 exec, exec, s[28:29]
	v_lshrrev_b64 v[1:2], 21, v[1:2]
	v_cmp_gt_i32_e32 vcc, 32, v3
	v_cndmask_b32_e32 v2, 0, v2, vcc
	v_cndmask_b32_e32 v1, 3, v1, vcc
	v_cmp_eq_u64_e64 s[28:29], 0, v[1:2]
	v_min_i32_e32 v2, 31, v3
	v_lshlrev_b32_e32 v2, 2, v2
	v_cmp_eq_u32_e32 vcc, 0, v3
	v_and_b32_e32 v2, 0xfc, v2
	v_and_or_b32 v1, v1, 3, v2
	s_and_b64 s[28:29], vcc, s[28:29]
	v_cndmask_b32_e64 v1, v1, 0, s[28:29]
	v_or_b32_e32 v1, v1, v5
	buffer_store_dword v1, off, s[0:3], s33 offset:336 ; 4-byte Folded Spill
.LBB6_15336:                            ;   in Loop: Header=BB6_13186 Depth=3
	s_or_b64 exec, exec, s[36:37]
                                        ; implicit-def: $vgpr5
.LBB6_15337:                            ;   in Loop: Header=BB6_13186 Depth=3
	s_andn2_saveexec_b64 s[28:29], s[34:35]
	s_cbranch_execz .LBB6_15339
; %bb.15338:                            ;   in Loop: Header=BB6_13186 Depth=3
	v_or_b32_e32 v1, 0x7b, v5
	buffer_store_dword v1, off, s[0:3], s33 offset:336 ; 4-byte Folded Spill
.LBB6_15339:                            ;   in Loop: Header=BB6_13186 Depth=3
	s_or_b64 exec, exec, s[28:29]
                                        ; implicit-def: $vgpr3
                                        ; implicit-def: $vgpr1_vgpr2
.LBB6_15340:                            ;   in Loop: Header=BB6_13186 Depth=3
	s_andn2_saveexec_b64 s[28:29], s[30:31]
	s_cbranch_execz .LBB6_15346
; %bb.15341:                            ;   in Loop: Header=BB6_13186 Depth=3
	v_cmp_ne_u64_e32 vcc, 0, v[1:2]
                                        ; implicit-def: $vgpr1
                                        ; kill: killed $vgpr1
	s_and_saveexec_b64 s[62:63], vcc
	s_xor_b64 vcc, exec, s[62:63]
	s_cbranch_execz .LBB6_15343
; %bb.15342:                            ;   in Loop: Header=BB6_13186 Depth=3
	v_or_b32_sdwa v1, v3, s44 dst_sel:DWORD dst_unused:UNUSED_PAD src0_sel:BYTE_3 src1_sel:DWORD
	buffer_store_dword v1, off, s[0:3], s33 offset:336 ; 4-byte Folded Spill
                                        ; implicit-def: $vgpr3
.LBB6_15343:                            ;   in Loop: Header=BB6_13186 Depth=3
	s_andn2_saveexec_b64 s[30:31], vcc
	s_cbranch_execz .LBB6_15345
; %bb.15344:                            ;   in Loop: Header=BB6_13186 Depth=3
	v_cmp_lt_i32_e32 vcc, -1, v3
	v_bfrev_b32_e32 v1, 0.5
	v_mov_b32_e32 v2, 0x7c
	v_cndmask_b32_e32 v1, v1, v2, vcc
	buffer_store_dword v1, off, s[0:3], s33 offset:336 ; 4-byte Folded Spill
.LBB6_15345:                            ;   in Loop: Header=BB6_13186 Depth=3
	s_or_b64 exec, exec, s[30:31]
.LBB6_15346:                            ;   in Loop: Header=BB6_13186 Depth=3
	s_or_b64 exec, exec, s[28:29]
	v_and_b32_sdwa v5, v0, s96 dst_sel:DWORD dst_unused:UNUSED_PAD src0_sel:WORD_1 src1_sel:DWORD
	v_lshrrev_b32_e32 v1, 16, v0
	v_cmp_ne_u16_e32 vcc, 0, v5
	v_mov_b32_e32 v2, 0
	v_mov_b32_e32 v3, 0
	s_and_saveexec_b64 s[28:29], vcc
	s_cbranch_execz .LBB6_15354
; %bb.15347:                            ;   in Loop: Header=BB6_13186 Depth=3
	v_cmp_ne_u16_e32 vcc, s97, v5
	v_bfrev_b32_e32 v3, 1
	s_and_saveexec_b64 s[30:31], vcc
	s_cbranch_execz .LBB6_15353
; %bb.15348:                            ;   in Loop: Header=BB6_13186 Depth=3
	v_and_b32_e32 v3, 0x7c0000, v0
	v_bfe_u32 v5, v0, 16, 2
	v_cmp_ne_u32_e32 vcc, s45, v3
                                        ; implicit-def: $vgpr3
	s_and_saveexec_b64 s[62:63], vcc
	s_xor_b64 s[34:35], exec, s[62:63]
	s_cbranch_execz .LBB6_15350
; %bb.15349:                            ;   in Loop: Header=BB6_13186 Depth=3
	v_ffbh_u32_e32 v20, v5
	v_min_u32_e32 v31, 32, v20
	v_subrev_u32_e32 v20, 29, v31
	v_lshlrev_b64 v[20:21], v20, v[1:2]
	v_bfe_u32 v3, v0, 18, 5
	v_sub_u32_e32 v1, 30, v31
	v_and_b32_e32 v20, 3, v20
	v_cmp_eq_u32_e32 vcc, 0, v3
	v_cndmask_b32_e32 v1, v3, v1, vcc
	v_cndmask_b32_e32 v3, v5, v20, vcc
	v_lshlrev_b32_e32 v5, 8, v0
	v_and_b32_e32 v5, 0x80000000, v5
	v_lshl_add_u32 v1, v1, 23, v5
	v_lshl_or_b32 v1, v3, 21, v1
	v_add_u32_e32 v3, 0x38000000, v1
                                        ; implicit-def: $vgpr5
                                        ; implicit-def: $vgpr1
.LBB6_15350:                            ;   in Loop: Header=BB6_13186 Depth=3
	s_andn2_saveexec_b64 s[34:35], s[34:35]
; %bb.15351:                            ;   in Loop: Header=BB6_13186 Depth=3
	v_mov_b32_e32 v3, -1
	v_cmp_gt_i16_sdwa vcc, sext(v1), v3 src0_sel:BYTE_0 src1_sel:DWORD
	v_mov_b32_e32 v1, 0xff800000
	v_mov_b32_e32 v3, 0x7f800000
	v_cndmask_b32_e32 v1, v1, v3, vcc
	v_cmp_eq_u32_e32 vcc, 0, v5
	v_mov_b32_e32 v3, 0x7f800001
	v_cndmask_b32_e32 v3, v3, v1, vcc
; %bb.15352:                            ;   in Loop: Header=BB6_13186 Depth=3
	s_or_b64 exec, exec, s[34:35]
.LBB6_15353:                            ;   in Loop: Header=BB6_13186 Depth=3
	s_or_b64 exec, exec, s[30:31]
.LBB6_15354:                            ;   in Loop: Header=BB6_13186 Depth=3
	s_or_b64 exec, exec, s[28:29]
	v_lshrrev_b32_e32 v1, 16, v22
	v_cmp_ne_u16_sdwa s[62:63], v1, v33 src0_sel:BYTE_0 src1_sel:DWORD
	s_and_saveexec_b64 s[28:29], s[62:63]
	s_cbranch_execz .LBB6_15362
; %bb.15355:                            ;   in Loop: Header=BB6_13186 Depth=3
	v_cmp_ne_u16_sdwa s[62:63], v1, s97 src0_sel:BYTE_0 src1_sel:DWORD
	v_bfrev_b32_e32 v2, 1
	s_and_saveexec_b64 s[30:31], s[62:63]
	s_cbranch_execz .LBB6_15361
; %bb.15356:                            ;   in Loop: Header=BB6_13186 Depth=3
	v_and_b32_e32 v2, 0x7c0000, v22
	v_bfe_u32 v5, v22, 16, 2
	v_cmp_ne_u32_e32 vcc, s45, v2
                                        ; implicit-def: $vgpr2
	s_and_saveexec_b64 s[62:63], vcc
	s_xor_b64 s[34:35], exec, s[62:63]
	s_cbranch_execz .LBB6_15358
; %bb.15357:                            ;   in Loop: Header=BB6_13186 Depth=3
	v_ffbh_u32_e32 v2, v5
	v_min_u32_e32 v21, 32, v2
	v_subrev_u32_e32 v2, 29, v21
	v_lshlrev_b64 v[1:2], v2, v[1:2]
	v_bfe_u32 v20, v22, 18, 5
	v_and_b32_e32 v1, 3, v1
	v_cmp_eq_u32_e32 vcc, 0, v20
	v_sub_u32_e32 v2, 30, v21
	v_cndmask_b32_e32 v1, v5, v1, vcc
	v_lshlrev_b32_e32 v5, 8, v22
	v_cndmask_b32_e32 v2, v20, v2, vcc
	v_and_b32_e32 v5, 0x80000000, v5
	v_lshl_add_u32 v2, v2, 23, v5
	v_lshl_or_b32 v1, v1, 21, v2
	v_add_u32_e32 v2, 0x38000000, v1
                                        ; implicit-def: $vgpr5
                                        ; implicit-def: $vgpr1
.LBB6_15358:                            ;   in Loop: Header=BB6_13186 Depth=3
	s_andn2_saveexec_b64 s[34:35], s[34:35]
; %bb.15359:                            ;   in Loop: Header=BB6_13186 Depth=3
	v_mov_b32_e32 v2, -1
	v_cmp_gt_i16_sdwa vcc, sext(v1), v2 src0_sel:BYTE_0 src1_sel:DWORD
	v_mov_b32_e32 v1, 0xff800000
	v_mov_b32_e32 v2, 0x7f800000
	v_cndmask_b32_e32 v1, v1, v2, vcc
	v_cmp_eq_u32_e32 vcc, 0, v5
	v_mov_b32_e32 v2, 0x7f800001
	v_cndmask_b32_e32 v2, v2, v1, vcc
; %bb.15360:                            ;   in Loop: Header=BB6_13186 Depth=3
	s_or_b64 exec, exec, s[34:35]
.LBB6_15361:                            ;   in Loop: Header=BB6_13186 Depth=3
	s_or_b64 exec, exec, s[30:31]
.LBB6_15362:                            ;   in Loop: Header=BB6_13186 Depth=3
	s_or_b64 exec, exec, s[28:29]
	v_add_f32_e32 v3, v3, v2
	v_and_b32_e32 v20, 0x7f800000, v3
	v_mov_b32_e32 v21, v33
	v_cmp_ne_u64_e32 vcc, s[76:77], v[20:21]
	v_and_b32_e32 v1, 0x7fffff, v3
	v_mov_b32_e32 v2, v33
                                        ; implicit-def: $vgpr5
                                        ; kill: killed $vgpr5
	s_and_saveexec_b64 s[28:29], vcc
	s_xor_b64 s[30:31], exec, s[28:29]
	s_cbranch_execz .LBB6_15376
; %bb.15363:                            ;   in Loop: Header=BB6_13186 Depth=3
	v_and_b32_e32 v20, 0x7fffffff, v3
	v_mov_b32_e32 v21, v33
	v_cmp_gt_u64_e32 vcc, s[78:79], v[20:21]
	v_and_b32_sdwa v5, v3, s97 dst_sel:DWORD dst_unused:UNUSED_PAD src0_sel:BYTE_3 src1_sel:DWORD
                                        ; implicit-def: $vgpr7
                                        ; kill: killed $vgpr7
	s_and_saveexec_b64 s[28:29], vcc
	s_xor_b64 s[34:35], exec, s[28:29]
	s_cbranch_execz .LBB6_15373
; %bb.15364:                            ;   in Loop: Header=BB6_13186 Depth=3
	v_mov_b32_e32 v7, 0
	v_cmp_ne_u32_e32 vcc, 0, v3
	buffer_store_dword v7, off, s[0:3], s33 offset:352 ; 4-byte Folded Spill
	s_and_saveexec_b64 s[36:37], vcc
	s_cbranch_execz .LBB6_15372
; %bb.15365:                            ;   in Loop: Header=BB6_13186 Depth=3
	v_bfe_u32 v20, v3, 23, 8
	v_cmp_gt_u32_e64 s[28:29], s47, v20
	v_sub_u32_e32 v3, 0x71, v20
	v_cmp_eq_u32_e32 vcc, 0, v20
	v_cndmask_b32_e64 v3, 0, v3, s[28:29]
	v_mov_b32_e32 v21, 0x70
	v_cndmask_b32_e32 v21, v3, v21, vcc
	v_or_b32_e32 v31, 0x800000, v1
	v_add_u32_e32 v3, 21, v21
	v_cndmask_b32_e32 v1, v31, v1, vcc
	v_lshlrev_b64 v[31:32], v3, -1
	v_add_u32_e32 v3, 20, v21
	v_bfi_b32 v31, v31, 0, v1
	v_lshlrev_b64 v[51:52], v3, 1
	v_lshrrev_b64 v[1:2], v21, v[1:2]
	v_bfi_b32 v32, v32, 0, 0
	v_cmp_eq_u64_e64 s[28:29], v[31:32], v[51:52]
	v_mov_b32_e32 v3, v2
	v_mov_b32_e32 v2, v1
	s_and_saveexec_b64 s[38:39], s[28:29]
; %bb.15366:                            ;   in Loop: Header=BB6_13186 Depth=3
	v_bfe_u32 v2, v1, 21, 1
	v_add_co_u32_e64 v2, s[28:29], v1, v2
	v_add_co_u32_e64 v2, s[28:29], -1, v2
; %bb.15367:                            ;   in Loop: Header=BB6_13186 Depth=3
	s_or_b64 exec, exec, s[38:39]
	v_add_u32_e32 v3, 0xffffff81, v20
	v_mov_b32_e32 v20, 0xffffff82
	v_cndmask_b32_e32 v3, v3, v20, vcc
	v_lshrrev_b32_e32 v20, 23, v1
	v_add3_u32 v21, v21, v3, v20
	v_add_u32_e32 v20, 14, v21
	v_and_b32_e32 v2, 0x1fffff, v2
	v_add_u32_e32 v1, v2, v1
	v_mov_b32_e32 v2, v33
	v_cmp_ne_u32_e32 vcc, 0, v20
                                        ; implicit-def: $vgpr3
	s_and_saveexec_b64 s[28:29], vcc
	s_xor_b64 s[28:29], exec, s[28:29]
; %bb.15368:                            ;   in Loop: Header=BB6_13186 Depth=3
	v_cmp_lt_u64_e32 vcc, s[88:89], v[1:2]
	v_add_u32_e32 v3, 15, v21
	v_cndmask_b32_e32 v3, v20, v3, vcc
	v_cndmask_b32_e64 v20, 0, 1, vcc
	v_lshrrev_b64 v[1:2], v20, v[1:2]
; %bb.15369:                            ;   in Loop: Header=BB6_13186 Depth=3
	s_andn2_saveexec_b64 s[28:29], s[28:29]
; %bb.15370:                            ;   in Loop: Header=BB6_13186 Depth=3
	v_bfe_u32 v3, v1, 23, 1
; %bb.15371:                            ;   in Loop: Header=BB6_13186 Depth=3
	s_or_b64 exec, exec, s[28:29]
	v_lshrrev_b64 v[1:2], 21, v[1:2]
	v_cmp_gt_i32_e32 vcc, 32, v3
	v_cndmask_b32_e32 v2, 0, v2, vcc
	v_cndmask_b32_e32 v1, 3, v1, vcc
	v_cmp_eq_u64_e64 s[28:29], 0, v[1:2]
	v_min_i32_e32 v2, 31, v3
	v_lshlrev_b32_e32 v2, 2, v2
	v_cmp_eq_u32_e32 vcc, 0, v3
	v_and_b32_e32 v2, 0xfc, v2
	v_and_or_b32 v1, v1, 3, v2
	s_and_b64 s[28:29], vcc, s[28:29]
	v_cndmask_b32_e64 v1, v1, 0, s[28:29]
	v_or_b32_e32 v1, v1, v5
	buffer_store_dword v1, off, s[0:3], s33 offset:352 ; 4-byte Folded Spill
.LBB6_15372:                            ;   in Loop: Header=BB6_13186 Depth=3
	s_or_b64 exec, exec, s[36:37]
                                        ; implicit-def: $vgpr5
.LBB6_15373:                            ;   in Loop: Header=BB6_13186 Depth=3
	s_andn2_saveexec_b64 s[28:29], s[34:35]
	s_cbranch_execz .LBB6_15375
; %bb.15374:                            ;   in Loop: Header=BB6_13186 Depth=3
	v_or_b32_e32 v1, 0x7b, v5
	buffer_store_dword v1, off, s[0:3], s33 offset:352 ; 4-byte Folded Spill
.LBB6_15375:                            ;   in Loop: Header=BB6_13186 Depth=3
	s_or_b64 exec, exec, s[28:29]
                                        ; implicit-def: $vgpr3
                                        ; implicit-def: $vgpr1_vgpr2
.LBB6_15376:                            ;   in Loop: Header=BB6_13186 Depth=3
	s_andn2_saveexec_b64 s[28:29], s[30:31]
	s_cbranch_execz .LBB6_15382
; %bb.15377:                            ;   in Loop: Header=BB6_13186 Depth=3
	v_cmp_ne_u64_e32 vcc, 0, v[1:2]
                                        ; implicit-def: $vgpr1
                                        ; kill: killed $vgpr1
	s_and_saveexec_b64 s[62:63], vcc
	s_xor_b64 vcc, exec, s[62:63]
	s_cbranch_execz .LBB6_15379
; %bb.15378:                            ;   in Loop: Header=BB6_13186 Depth=3
	v_or_b32_sdwa v1, v3, s44 dst_sel:DWORD dst_unused:UNUSED_PAD src0_sel:BYTE_3 src1_sel:DWORD
	buffer_store_dword v1, off, s[0:3], s33 offset:352 ; 4-byte Folded Spill
                                        ; implicit-def: $vgpr3
.LBB6_15379:                            ;   in Loop: Header=BB6_13186 Depth=3
	s_andn2_saveexec_b64 s[30:31], vcc
	s_cbranch_execz .LBB6_15381
; %bb.15380:                            ;   in Loop: Header=BB6_13186 Depth=3
	v_cmp_lt_i32_e32 vcc, -1, v3
	v_bfrev_b32_e32 v1, 0.5
	v_mov_b32_e32 v2, 0x7c
	v_cndmask_b32_e32 v1, v1, v2, vcc
	buffer_store_dword v1, off, s[0:3], s33 offset:352 ; 4-byte Folded Spill
.LBB6_15381:                            ;   in Loop: Header=BB6_13186 Depth=3
	s_or_b64 exec, exec, s[30:31]
.LBB6_15382:                            ;   in Loop: Header=BB6_13186 Depth=3
	s_or_b64 exec, exec, s[28:29]
	v_cmp_lt_u32_e32 vcc, s57, v0
	v_mov_b32_e32 v2, 0
	v_mov_b32_e32 v3, 0
	s_and_saveexec_b64 s[28:29], vcc
	s_cbranch_execz .LBB6_15390
; %bb.15383:                            ;   in Loop: Header=BB6_13186 Depth=3
	v_lshrrev_b32_e32 v1, 24, v0
	v_cmp_ne_u32_e32 vcc, s97, v1
	v_bfrev_b32_e32 v3, 1
	s_and_saveexec_b64 s[30:31], vcc
	s_cbranch_execz .LBB6_15389
; %bb.15384:                            ;   in Loop: Header=BB6_13186 Depth=3
	v_and_b32_e32 v3, 0x7c000000, v0
	v_bfe_u32 v5, v0, 24, 2
	v_cmp_ne_u32_e32 vcc, s68, v3
                                        ; implicit-def: $vgpr3
	s_and_saveexec_b64 s[62:63], vcc
	s_xor_b64 s[34:35], exec, s[62:63]
	s_cbranch_execz .LBB6_15386
; %bb.15385:                            ;   in Loop: Header=BB6_13186 Depth=3
	v_ffbh_u32_e32 v20, v5
	v_min_u32_e32 v31, 32, v20
	v_subrev_u32_e32 v20, 29, v31
	v_bfe_u32 v3, v0, 26, 5
	v_lshlrev_b64 v[20:21], v20, v[1:2]
	v_sub_u32_e32 v1, 30, v31
	v_cmp_eq_u32_e32 vcc, 0, v3
	v_and_b32_e32 v20, 3, v20
	v_cndmask_b32_e32 v1, v3, v1, vcc
	v_and_b32_e32 v0, 0x80000000, v0
	v_cndmask_b32_e32 v3, v5, v20, vcc
	v_lshl_add_u32 v0, v1, 23, v0
	v_lshl_or_b32 v0, v3, 21, v0
	v_add_u32_e32 v3, 0x38000000, v0
                                        ; implicit-def: $vgpr5
                                        ; implicit-def: $vgpr0_vgpr1
.LBB6_15386:                            ;   in Loop: Header=BB6_13186 Depth=3
	s_andn2_saveexec_b64 s[34:35], s[34:35]
; %bb.15387:                            ;   in Loop: Header=BB6_13186 Depth=3
	v_cmp_lt_i32_e32 vcc, -1, v0
	v_mov_b32_e32 v0, 0xff800000
	v_mov_b32_e32 v1, 0x7f800000
	v_cndmask_b32_e32 v0, v0, v1, vcc
	v_cmp_eq_u32_e32 vcc, 0, v5
	v_mov_b32_e32 v1, 0x7f800001
	v_cndmask_b32_e32 v3, v1, v0, vcc
; %bb.15388:                            ;   in Loop: Header=BB6_13186 Depth=3
	s_or_b64 exec, exec, s[34:35]
.LBB6_15389:                            ;   in Loop: Header=BB6_13186 Depth=3
	s_or_b64 exec, exec, s[30:31]
.LBB6_15390:                            ;   in Loop: Header=BB6_13186 Depth=3
	s_or_b64 exec, exec, s[28:29]
	v_cmp_lt_u32_e32 vcc, s57, v22
	s_and_saveexec_b64 s[28:29], vcc
	s_cbranch_execz .LBB6_15398
; %bb.15391:                            ;   in Loop: Header=BB6_13186 Depth=3
	v_lshrrev_b32_e32 v0, 24, v22
	v_cmp_ne_u32_e32 vcc, s97, v0
	v_bfrev_b32_e32 v2, 1
	s_and_saveexec_b64 s[30:31], vcc
	s_cbranch_execz .LBB6_15397
; %bb.15392:                            ;   in Loop: Header=BB6_13186 Depth=3
	v_and_b32_e32 v2, 0x7c000000, v22
	v_bfe_u32 v1, v22, 24, 2
	v_cmp_ne_u32_e32 vcc, s68, v2
                                        ; implicit-def: $vgpr2
	s_and_saveexec_b64 s[62:63], vcc
	s_xor_b64 s[34:35], exec, s[62:63]
	s_cbranch_execz .LBB6_15394
; %bb.15393:                            ;   in Loop: Header=BB6_13186 Depth=3
	v_ffbh_u32_e32 v5, v1
	v_min_u32_e32 v5, 32, v5
	v_subrev_u32_e32 v20, 29, v5
	v_bfe_u32 v2, v22, 26, 5
	v_lshlrev_b64 v[20:21], v20, v[0:1]
	v_sub_u32_e32 v0, 30, v5
	v_cmp_eq_u32_e32 vcc, 0, v2
	v_and_b32_e32 v5, 3, v20
	v_cndmask_b32_e32 v0, v2, v0, vcc
	v_and_b32_e32 v2, 0x80000000, v22
	v_cndmask_b32_e32 v1, v1, v5, vcc
	v_lshl_add_u32 v0, v0, 23, v2
	v_lshl_or_b32 v0, v1, 21, v0
	v_add_u32_e32 v2, 0x38000000, v0
                                        ; implicit-def: $vgpr1
.LBB6_15394:                            ;   in Loop: Header=BB6_13186 Depth=3
	s_andn2_saveexec_b64 s[34:35], s[34:35]
; %bb.15395:                            ;   in Loop: Header=BB6_13186 Depth=3
	v_cmp_lt_i32_e32 vcc, -1, v22
	v_mov_b32_e32 v0, 0xff800000
	v_mov_b32_e32 v2, 0x7f800000
	v_cndmask_b32_e32 v0, v0, v2, vcc
	v_cmp_eq_u32_e32 vcc, 0, v1
	v_mov_b32_e32 v1, 0x7f800001
	v_cndmask_b32_e32 v2, v1, v0, vcc
; %bb.15396:                            ;   in Loop: Header=BB6_13186 Depth=3
	s_or_b64 exec, exec, s[34:35]
.LBB6_15397:                            ;   in Loop: Header=BB6_13186 Depth=3
	s_or_b64 exec, exec, s[30:31]
.LBB6_15398:                            ;   in Loop: Header=BB6_13186 Depth=3
	s_or_b64 exec, exec, s[28:29]
	v_add_f32_e32 v2, v3, v2
	v_and_b32_e32 v20, 0x7f800000, v2
	v_mov_b32_e32 v21, v33
	v_cmp_ne_u64_e32 vcc, s[76:77], v[20:21]
	v_and_b32_e32 v0, 0x7fffff, v2
	v_mov_b32_e32 v1, v33
                                        ; implicit-def: $vgpr3
                                        ; kill: killed $vgpr3
	s_and_saveexec_b64 s[28:29], vcc
	s_xor_b64 s[30:31], exec, s[28:29]
	s_cbranch_execz .LBB6_15412
; %bb.15399:                            ;   in Loop: Header=BB6_13186 Depth=3
	v_and_b32_e32 v20, 0x7fffffff, v2
	v_mov_b32_e32 v21, v33
	v_cmp_gt_u64_e32 vcc, s[78:79], v[20:21]
	v_and_b32_sdwa v3, v2, s97 dst_sel:DWORD dst_unused:UNUSED_PAD src0_sel:BYTE_3 src1_sel:DWORD
                                        ; implicit-def: $vgpr5
                                        ; kill: killed $vgpr5
	s_and_saveexec_b64 s[28:29], vcc
	s_xor_b64 s[34:35], exec, s[28:29]
	s_cbranch_execz .LBB6_15409
; %bb.15400:                            ;   in Loop: Header=BB6_13186 Depth=3
	v_mov_b32_e32 v5, 0
	v_cmp_ne_u32_e32 vcc, 0, v2
	buffer_store_dword v5, off, s[0:3], s33 offset:368 ; 4-byte Folded Spill
	s_and_saveexec_b64 s[36:37], vcc
	s_cbranch_execz .LBB6_15408
; %bb.15401:                            ;   in Loop: Header=BB6_13186 Depth=3
	v_bfe_u32 v5, v2, 23, 8
	v_cmp_gt_u32_e64 s[28:29], s47, v5
	v_sub_u32_e32 v2, 0x71, v5
	v_cmp_eq_u32_e32 vcc, 0, v5
	v_cndmask_b32_e64 v2, 0, v2, s[28:29]
	v_mov_b32_e32 v20, 0x70
	v_cndmask_b32_e32 v20, v2, v20, vcc
	v_add_u32_e32 v2, 21, v20
	v_or_b32_e32 v21, 0x800000, v0
	v_lshlrev_b64 v[31:32], v2, -1
	v_cndmask_b32_e32 v0, v21, v0, vcc
	v_add_u32_e32 v2, 20, v20
	v_bfi_b32 v31, v31, 0, v0
	v_lshlrev_b64 v[51:52], v2, 1
	v_lshrrev_b64 v[0:1], v20, v[0:1]
	v_bfi_b32 v32, v32, 0, 0
	v_cmp_eq_u64_e64 s[28:29], v[31:32], v[51:52]
	v_mov_b32_e32 v2, v1
	v_mov_b32_e32 v1, v0
	s_and_saveexec_b64 s[38:39], s[28:29]
; %bb.15402:                            ;   in Loop: Header=BB6_13186 Depth=3
	v_bfe_u32 v1, v0, 21, 1
	v_add_co_u32_e64 v1, s[28:29], v0, v1
	v_add_co_u32_e64 v1, s[28:29], -1, v1
; %bb.15403:                            ;   in Loop: Header=BB6_13186 Depth=3
	s_or_b64 exec, exec, s[38:39]
	v_add_u32_e32 v2, 0xffffff81, v5
	v_mov_b32_e32 v5, 0xffffff82
	v_cndmask_b32_e32 v2, v2, v5, vcc
	v_lshrrev_b32_e32 v5, 23, v0
	v_add3_u32 v20, v20, v2, v5
	v_add_u32_e32 v5, 14, v20
	v_and_b32_e32 v1, 0x1fffff, v1
	v_add_u32_e32 v0, v1, v0
	v_mov_b32_e32 v1, v33
	v_cmp_ne_u32_e32 vcc, 0, v5
                                        ; implicit-def: $vgpr2
	s_and_saveexec_b64 s[28:29], vcc
	s_xor_b64 s[28:29], exec, s[28:29]
; %bb.15404:                            ;   in Loop: Header=BB6_13186 Depth=3
	v_cmp_lt_u64_e32 vcc, s[88:89], v[0:1]
	v_add_u32_e32 v2, 15, v20
	v_cndmask_b32_e32 v2, v5, v2, vcc
	v_cndmask_b32_e64 v5, 0, 1, vcc
	v_lshrrev_b64 v[0:1], v5, v[0:1]
; %bb.15405:                            ;   in Loop: Header=BB6_13186 Depth=3
	s_andn2_saveexec_b64 s[28:29], s[28:29]
; %bb.15406:                            ;   in Loop: Header=BB6_13186 Depth=3
	v_bfe_u32 v2, v0, 23, 1
; %bb.15407:                            ;   in Loop: Header=BB6_13186 Depth=3
	s_or_b64 exec, exec, s[28:29]
	v_lshrrev_b64 v[0:1], 21, v[0:1]
	v_cmp_gt_i32_e32 vcc, 32, v2
	v_cndmask_b32_e32 v1, 0, v1, vcc
	v_cndmask_b32_e32 v0, 3, v0, vcc
	v_cmp_eq_u64_e64 s[28:29], 0, v[0:1]
	v_min_i32_e32 v1, 31, v2
	v_lshlrev_b32_e32 v1, 2, v1
	v_cmp_eq_u32_e32 vcc, 0, v2
	v_and_b32_e32 v1, 0xfc, v1
	v_and_or_b32 v0, v0, 3, v1
	s_and_b64 s[28:29], vcc, s[28:29]
	v_cndmask_b32_e64 v0, v0, 0, s[28:29]
	v_or_b32_e32 v0, v0, v3
	buffer_store_dword v0, off, s[0:3], s33 offset:368 ; 4-byte Folded Spill
.LBB6_15408:                            ;   in Loop: Header=BB6_13186 Depth=3
	s_or_b64 exec, exec, s[36:37]
                                        ; implicit-def: $vgpr3
.LBB6_15409:                            ;   in Loop: Header=BB6_13186 Depth=3
	s_andn2_saveexec_b64 s[28:29], s[34:35]
	s_cbranch_execz .LBB6_15411
; %bb.15410:                            ;   in Loop: Header=BB6_13186 Depth=3
	v_or_b32_e32 v0, 0x7b, v3
	buffer_store_dword v0, off, s[0:3], s33 offset:368 ; 4-byte Folded Spill
.LBB6_15411:                            ;   in Loop: Header=BB6_13186 Depth=3
	s_or_b64 exec, exec, s[28:29]
                                        ; implicit-def: $vgpr2
                                        ; implicit-def: $vgpr0_vgpr1
.LBB6_15412:                            ;   in Loop: Header=BB6_13186 Depth=3
	s_andn2_saveexec_b64 s[28:29], s[30:31]
	s_cbranch_execz .LBB6_15418
; %bb.15413:                            ;   in Loop: Header=BB6_13186 Depth=3
	v_cmp_ne_u64_e32 vcc, 0, v[0:1]
                                        ; implicit-def: $vgpr0
                                        ; kill: killed $vgpr0
	s_and_saveexec_b64 s[62:63], vcc
	s_xor_b64 vcc, exec, s[62:63]
	s_cbranch_execz .LBB6_15415
; %bb.15414:                            ;   in Loop: Header=BB6_13186 Depth=3
	v_or_b32_sdwa v0, v2, s44 dst_sel:DWORD dst_unused:UNUSED_PAD src0_sel:BYTE_3 src1_sel:DWORD
	buffer_store_dword v0, off, s[0:3], s33 offset:368 ; 4-byte Folded Spill
                                        ; implicit-def: $vgpr2
.LBB6_15415:                            ;   in Loop: Header=BB6_13186 Depth=3
	s_andn2_saveexec_b64 s[30:31], vcc
	s_cbranch_execz .LBB6_15417
; %bb.15416:                            ;   in Loop: Header=BB6_13186 Depth=3
	v_cmp_lt_i32_e32 vcc, -1, v2
	v_bfrev_b32_e32 v0, 0.5
	v_mov_b32_e32 v1, 0x7c
	v_cndmask_b32_e32 v0, v0, v1, vcc
	buffer_store_dword v0, off, s[0:3], s33 offset:368 ; 4-byte Folded Spill
.LBB6_15417:                            ;   in Loop: Header=BB6_13186 Depth=3
	s_or_b64 exec, exec, s[30:31]
.LBB6_15418:                            ;   in Loop: Header=BB6_13186 Depth=3
	s_or_b64 exec, exec, s[28:29]
	buffer_load_dword v2, off, s[0:3], s33 offset:380 ; 4-byte Folded Reload
	v_lshlrev_b32_e32 v0, 24, v48
	v_lshlrev_b32_e32 v1, 16, v38
	v_cmp_ne_u32_e32 vcc, 0, v56
	v_mov_b32_e32 v3, 0
	s_waitcnt vmcnt(0)
	v_lshl_or_b32 v5, v2, 8, v56
	v_or3_b32 v0, v1, v0, v5
	v_mov_b32_e32 v1, v33
	v_mov_b32_e32 v2, 0
	s_and_saveexec_b64 s[30:31], vcc
	s_cbranch_execz .LBB6_15426
; %bb.15419:                            ;   in Loop: Header=BB6_13186 Depth=3
	v_cmp_ne_u32_e32 vcc, s97, v56
	v_bfrev_b32_e32 v3, 1
	s_and_saveexec_b64 s[34:35], vcc
	s_cbranch_execz .LBB6_15425
; %bb.15420:                            ;   in Loop: Header=BB6_13186 Depth=3
	v_and_b32_e32 v3, 0x7c, v56
	v_and_b32_e32 v20, 3, v56
	v_cmp_ne_u32_e32 vcc, s86, v3
                                        ; implicit-def: $vgpr3
	s_and_saveexec_b64 s[28:29], vcc
	s_xor_b64 s[28:29], exec, s[28:29]
	s_cbranch_execz .LBB6_15422
; %bb.15421:                            ;   in Loop: Header=BB6_13186 Depth=3
	v_ffbh_u32_e32 v21, v20
	v_min_u32_e32 v21, 32, v21
	v_subrev_u32_e32 v31, 29, v21
	v_lshlrev_b64 v[31:32], v31, v[0:1]
	v_bfe_u32 v3, v56, 2, 5
	v_sub_u32_e32 v1, 30, v21
	v_and_b32_e32 v21, 3, v31
	v_cmp_eq_u32_e32 vcc, 0, v3
	v_cndmask_b32_e32 v1, v3, v1, vcc
	v_cndmask_b32_e32 v3, v20, v21, vcc
	v_lshlrev_b32_e32 v20, 24, v56
	v_and_b32_e32 v20, 0x80000000, v20
	v_lshl_add_u32 v1, v1, 23, v20
	v_lshl_or_b32 v1, v3, 21, v1
	v_add_u32_e32 v3, 0x38000000, v1
                                        ; implicit-def: $vgpr20
                                        ; implicit-def: $vgpr56
.LBB6_15422:                            ;   in Loop: Header=BB6_13186 Depth=3
	s_andn2_saveexec_b64 s[36:37], s[28:29]
; %bb.15423:                            ;   in Loop: Header=BB6_13186 Depth=3
	v_and_b32_e32 v1, 0x80, v56
	v_cmp_eq_u32_e64 s[28:29], 0, v1
	v_mov_b32_e32 v1, 0xff800000
	v_mov_b32_e32 v3, 0x7f800000
	v_cmp_eq_u32_e32 vcc, 0, v20
	v_cndmask_b32_e64 v1, v1, v3, s[28:29]
	v_mov_b32_e32 v3, 0x7f800001
	v_cndmask_b32_e32 v3, v3, v1, vcc
; %bb.15424:                            ;   in Loop: Header=BB6_13186 Depth=3
	s_or_b64 exec, exec, s[36:37]
.LBB6_15425:                            ;   in Loop: Header=BB6_13186 Depth=3
	s_or_b64 exec, exec, s[34:35]
.LBB6_15426:                            ;   in Loop: Header=BB6_13186 Depth=3
	s_or_b64 exec, exec, s[30:31]
	v_cmp_ne_u16_sdwa s[62:63], v23, v33 src0_sel:BYTE_0 src1_sel:DWORD
	s_and_saveexec_b64 s[28:29], s[62:63]
	s_cbranch_execz .LBB6_15434
; %bb.15427:                            ;   in Loop: Header=BB6_13186 Depth=3
	v_cmp_ne_u16_sdwa s[62:63], v23, s97 src0_sel:BYTE_0 src1_sel:DWORD
	v_bfrev_b32_e32 v2, 1
	s_and_saveexec_b64 s[30:31], s[62:63]
	s_cbranch_execz .LBB6_15433
; %bb.15428:                            ;   in Loop: Header=BB6_13186 Depth=3
	v_and_b32_e32 v2, 0x7c, v23
	v_and_b32_e32 v1, 3, v23
	v_cmp_ne_u32_e32 vcc, s86, v2
                                        ; implicit-def: $vgpr2
	s_and_saveexec_b64 s[62:63], vcc
	s_xor_b64 s[34:35], exec, s[62:63]
	s_cbranch_execz .LBB6_15430
; %bb.15429:                            ;   in Loop: Header=BB6_13186 Depth=3
	v_ffbh_u32_e32 v31, v1
	v_min_u32_e32 v31, 32, v31
	v_mov_b32_e32 v20, v23
	v_mov_b32_e32 v21, v33
	v_subrev_u32_e32 v32, 29, v31
	v_lshlrev_b64 v[20:21], v32, v[20:21]
	v_bfe_u32 v2, v23, 2, 5
	v_and_b32_e32 v20, 3, v20
	v_cmp_eq_u32_e32 vcc, 0, v2
	v_sub_u32_e32 v21, 30, v31
	v_cndmask_b32_e32 v1, v1, v20, vcc
	v_lshlrev_b32_e32 v20, 24, v23
	v_cndmask_b32_e32 v2, v2, v21, vcc
	v_and_b32_e32 v20, 0x80000000, v20
	v_lshl_add_u32 v2, v2, 23, v20
	v_lshl_or_b32 v1, v1, 21, v2
	v_add_u32_e32 v2, 0x38000000, v1
                                        ; implicit-def: $vgpr1
.LBB6_15430:                            ;   in Loop: Header=BB6_13186 Depth=3
	s_andn2_saveexec_b64 s[34:35], s[34:35]
; %bb.15431:                            ;   in Loop: Header=BB6_13186 Depth=3
	v_mov_b32_e32 v2, -1
	v_cmp_gt_i16_sdwa vcc, sext(v23), v2 src0_sel:BYTE_0 src1_sel:DWORD
	v_mov_b32_e32 v2, 0xff800000
	v_mov_b32_e32 v20, 0x7f800000
	v_cndmask_b32_e32 v2, v2, v20, vcc
	v_cmp_eq_u32_e32 vcc, 0, v1
	v_mov_b32_e32 v1, 0x7f800001
	v_cndmask_b32_e32 v2, v1, v2, vcc
; %bb.15432:                            ;   in Loop: Header=BB6_13186 Depth=3
	s_or_b64 exec, exec, s[34:35]
.LBB6_15433:                            ;   in Loop: Header=BB6_13186 Depth=3
	s_or_b64 exec, exec, s[30:31]
.LBB6_15434:                            ;   in Loop: Header=BB6_13186 Depth=3
	s_or_b64 exec, exec, s[28:29]
	v_add_f32_e32 v3, v3, v2
	v_and_b32_e32 v20, 0x7f800000, v3
	v_mov_b32_e32 v21, v33
	v_cmp_ne_u64_e32 vcc, s[76:77], v[20:21]
	v_and_b32_e32 v1, 0x7fffff, v3
	v_mov_b32_e32 v2, v33
                                        ; implicit-def: $vgpr7
                                        ; kill: killed $vgpr7
	s_and_saveexec_b64 s[28:29], vcc
	s_xor_b64 s[30:31], exec, s[28:29]
	s_cbranch_execz .LBB6_15448
; %bb.15435:                            ;   in Loop: Header=BB6_13186 Depth=3
	v_and_b32_e32 v20, 0x7fffffff, v3
	v_mov_b32_e32 v21, v33
	v_cmp_gt_u64_e32 vcc, s[78:79], v[20:21]
	v_and_b32_sdwa v20, v3, s97 dst_sel:DWORD dst_unused:UNUSED_PAD src0_sel:BYTE_3 src1_sel:DWORD
                                        ; implicit-def: $vgpr7
                                        ; kill: killed $vgpr7
	s_and_saveexec_b64 s[28:29], vcc
	s_xor_b64 s[34:35], exec, s[28:29]
	s_cbranch_execz .LBB6_15445
; %bb.15436:                            ;   in Loop: Header=BB6_13186 Depth=3
	v_mov_b32_e32 v7, 0
	v_cmp_ne_u32_e32 vcc, 0, v3
	buffer_store_dword v7, off, s[0:3], s33 offset:380 ; 4-byte Folded Spill
	s_and_saveexec_b64 s[36:37], vcc
	s_cbranch_execz .LBB6_15444
; %bb.15437:                            ;   in Loop: Header=BB6_13186 Depth=3
	v_bfe_u32 v21, v3, 23, 8
	v_cmp_gt_u32_e64 s[28:29], s47, v21
	v_sub_u32_e32 v3, 0x71, v21
	v_cmp_eq_u32_e32 vcc, 0, v21
	v_cndmask_b32_e64 v3, 0, v3, s[28:29]
	v_mov_b32_e32 v32, 0x70
	v_cndmask_b32_e32 v32, v3, v32, vcc
	v_add_u32_e32 v3, 21, v32
	v_or_b32_e32 v31, 0x800000, v1
	v_lshlrev_b64 v[38:39], v3, -1
	v_cndmask_b32_e32 v1, v31, v1, vcc
	v_add_u32_e32 v3, 20, v32
	v_bfi_b32 v38, v38, 0, v1
	v_lshlrev_b64 v[51:52], v3, 1
	v_lshrrev_b64 v[1:2], v32, v[1:2]
	v_bfi_b32 v39, v39, 0, 0
	v_cmp_eq_u64_e64 s[28:29], v[38:39], v[51:52]
	v_mov_b32_e32 v3, v2
	v_mov_b32_e32 v2, v1
	s_and_saveexec_b64 s[38:39], s[28:29]
; %bb.15438:                            ;   in Loop: Header=BB6_13186 Depth=3
	v_bfe_u32 v2, v1, 21, 1
	v_add_co_u32_e64 v2, s[28:29], v1, v2
	v_add_co_u32_e64 v2, s[28:29], -1, v2
; %bb.15439:                            ;   in Loop: Header=BB6_13186 Depth=3
	s_or_b64 exec, exec, s[38:39]
	v_add_u32_e32 v3, 0xffffff81, v21
	v_mov_b32_e32 v21, 0xffffff82
	v_cndmask_b32_e32 v3, v3, v21, vcc
	v_lshrrev_b32_e32 v21, 23, v1
	v_add3_u32 v32, v32, v3, v21
	v_add_u32_e32 v21, 14, v32
	v_and_b32_e32 v2, 0x1fffff, v2
	v_add_u32_e32 v1, v2, v1
	v_mov_b32_e32 v2, v33
	v_cmp_ne_u32_e32 vcc, 0, v21
                                        ; implicit-def: $vgpr3
	s_and_saveexec_b64 s[28:29], vcc
	s_xor_b64 s[28:29], exec, s[28:29]
; %bb.15440:                            ;   in Loop: Header=BB6_13186 Depth=3
	v_cmp_lt_u64_e32 vcc, s[88:89], v[1:2]
	v_add_u32_e32 v3, 15, v32
	v_cndmask_b32_e32 v3, v21, v3, vcc
	v_cndmask_b32_e64 v21, 0, 1, vcc
	v_lshrrev_b64 v[1:2], v21, v[1:2]
; %bb.15441:                            ;   in Loop: Header=BB6_13186 Depth=3
	s_andn2_saveexec_b64 s[28:29], s[28:29]
; %bb.15442:                            ;   in Loop: Header=BB6_13186 Depth=3
	v_bfe_u32 v3, v1, 23, 1
; %bb.15443:                            ;   in Loop: Header=BB6_13186 Depth=3
	s_or_b64 exec, exec, s[28:29]
	v_lshrrev_b64 v[1:2], 21, v[1:2]
	v_cmp_gt_i32_e32 vcc, 32, v3
	v_cndmask_b32_e32 v2, 0, v2, vcc
	v_cndmask_b32_e32 v1, 3, v1, vcc
	v_cmp_eq_u64_e64 s[28:29], 0, v[1:2]
	v_min_i32_e32 v2, 31, v3
	v_lshlrev_b32_e32 v2, 2, v2
	v_cmp_eq_u32_e32 vcc, 0, v3
	v_and_b32_e32 v2, 0xfc, v2
	v_and_or_b32 v1, v1, 3, v2
	s_and_b64 s[28:29], vcc, s[28:29]
	v_cndmask_b32_e64 v1, v1, 0, s[28:29]
	v_or_b32_e32 v1, v1, v20
	buffer_store_dword v1, off, s[0:3], s33 offset:380 ; 4-byte Folded Spill
.LBB6_15444:                            ;   in Loop: Header=BB6_13186 Depth=3
	s_or_b64 exec, exec, s[36:37]
                                        ; implicit-def: $vgpr20
.LBB6_15445:                            ;   in Loop: Header=BB6_13186 Depth=3
	s_andn2_saveexec_b64 s[28:29], s[34:35]
	s_cbranch_execz .LBB6_15447
; %bb.15446:                            ;   in Loop: Header=BB6_13186 Depth=3
	v_or_b32_e32 v1, 0x7b, v20
	buffer_store_dword v1, off, s[0:3], s33 offset:380 ; 4-byte Folded Spill
.LBB6_15447:                            ;   in Loop: Header=BB6_13186 Depth=3
	s_or_b64 exec, exec, s[28:29]
                                        ; implicit-def: $vgpr3
                                        ; implicit-def: $vgpr1_vgpr2
.LBB6_15448:                            ;   in Loop: Header=BB6_13186 Depth=3
	s_andn2_saveexec_b64 s[28:29], s[30:31]
	s_cbranch_execz .LBB6_15454
; %bb.15449:                            ;   in Loop: Header=BB6_13186 Depth=3
	v_cmp_ne_u64_e32 vcc, 0, v[1:2]
                                        ; implicit-def: $vgpr1
                                        ; kill: killed $vgpr1
	s_and_saveexec_b64 s[62:63], vcc
	s_xor_b64 vcc, exec, s[62:63]
	s_cbranch_execz .LBB6_15451
; %bb.15450:                            ;   in Loop: Header=BB6_13186 Depth=3
	v_or_b32_sdwa v1, v3, s44 dst_sel:DWORD dst_unused:UNUSED_PAD src0_sel:BYTE_3 src1_sel:DWORD
	buffer_store_dword v1, off, s[0:3], s33 offset:380 ; 4-byte Folded Spill
                                        ; implicit-def: $vgpr3
.LBB6_15451:                            ;   in Loop: Header=BB6_13186 Depth=3
	s_andn2_saveexec_b64 s[30:31], vcc
	s_cbranch_execz .LBB6_15453
; %bb.15452:                            ;   in Loop: Header=BB6_13186 Depth=3
	v_cmp_lt_i32_e32 vcc, -1, v3
	v_bfrev_b32_e32 v1, 0.5
	v_mov_b32_e32 v2, 0x7c
	v_cndmask_b32_e32 v1, v1, v2, vcc
	buffer_store_dword v1, off, s[0:3], s33 offset:380 ; 4-byte Folded Spill
.LBB6_15453:                            ;   in Loop: Header=BB6_13186 Depth=3
	s_or_b64 exec, exec, s[30:31]
.LBB6_15454:                            ;   in Loop: Header=BB6_13186 Depth=3
	s_or_b64 exec, exec, s[28:29]
	v_lshrrev_b16_e32 v1, 8, v5
	v_cmp_ne_u16_e32 vcc, 0, v1
	v_mov_b32_e32 v3, 0
	v_mov_b32_e32 v20, 0
	s_and_saveexec_b64 s[28:29], vcc
	s_cbranch_execz .LBB6_15462
; %bb.15455:                            ;   in Loop: Header=BB6_13186 Depth=3
	v_cmp_ne_u16_e32 vcc, s97, v1
	v_bfrev_b32_e32 v20, 1
	s_and_saveexec_b64 s[30:31], vcc
	s_cbranch_execz .LBB6_15461
; %bb.15456:                            ;   in Loop: Header=BB6_13186 Depth=3
	v_and_b32_e32 v2, 0x7c, v1
	v_and_b32_e32 v21, 3, v1
	v_cmp_ne_u32_e32 vcc, s86, v2
                                        ; implicit-def: $vgpr20
	s_and_saveexec_b64 s[62:63], vcc
	s_xor_b64 s[34:35], exec, s[62:63]
	s_cbranch_execz .LBB6_15458
; %bb.15457:                            ;   in Loop: Header=BB6_13186 Depth=3
	v_ffbh_u32_e32 v31, v21
	v_min_u32_e32 v31, 32, v31
	v_mov_b32_e32 v2, v33
	v_subrev_u32_e32 v32, 29, v31
	v_bfe_u32 v20, v1, 2, 5
	v_lshlrev_b64 v[1:2], v32, v[1:2]
	v_sub_u32_e32 v2, 30, v31
	v_cmp_eq_u32_e32 vcc, 0, v20
	v_lshlrev_b32_e32 v5, 16, v5
	v_and_b32_e32 v1, 3, v1
	v_cndmask_b32_e32 v2, v20, v2, vcc
	v_and_b32_e32 v5, 0x80000000, v5
	v_cndmask_b32_e32 v1, v21, v1, vcc
	v_lshl_add_u32 v2, v2, 23, v5
	v_lshl_or_b32 v1, v1, 21, v2
	v_add_u32_e32 v20, 0x38000000, v1
                                        ; implicit-def: $vgpr21
                                        ; implicit-def: $vgpr5
.LBB6_15458:                            ;   in Loop: Header=BB6_13186 Depth=3
	s_andn2_saveexec_b64 s[34:35], s[34:35]
; %bb.15459:                            ;   in Loop: Header=BB6_13186 Depth=3
	v_cmp_lt_i16_e32 vcc, -1, v5
	v_mov_b32_e32 v1, 0xff800000
	v_mov_b32_e32 v2, 0x7f800000
	v_cndmask_b32_e32 v1, v1, v2, vcc
	v_cmp_eq_u32_e32 vcc, 0, v21
	v_mov_b32_e32 v2, 0x7f800001
	v_cndmask_b32_e32 v20, v2, v1, vcc
; %bb.15460:                            ;   in Loop: Header=BB6_13186 Depth=3
	s_or_b64 exec, exec, s[34:35]
.LBB6_15461:                            ;   in Loop: Header=BB6_13186 Depth=3
	s_or_b64 exec, exec, s[30:31]
.LBB6_15462:                            ;   in Loop: Header=BB6_13186 Depth=3
	s_or_b64 exec, exec, s[28:29]
	v_lshrrev_b16_e32 v1, 8, v23
	v_cmp_ne_u16_e32 vcc, 0, v1
	s_and_saveexec_b64 s[28:29], vcc
	s_cbranch_execz .LBB6_15470
; %bb.15463:                            ;   in Loop: Header=BB6_13186 Depth=3
	v_cmp_ne_u16_e32 vcc, s97, v1
	v_bfrev_b32_e32 v3, 1
	s_and_saveexec_b64 s[30:31], vcc
	s_cbranch_execz .LBB6_15469
; %bb.15464:                            ;   in Loop: Header=BB6_13186 Depth=3
	v_and_b32_e32 v2, 0x7c, v1
	v_and_b32_e32 v5, 3, v1
	v_cmp_ne_u32_e32 vcc, s86, v2
                                        ; implicit-def: $vgpr3
	s_and_saveexec_b64 s[62:63], vcc
	s_xor_b64 s[34:35], exec, s[62:63]
	s_cbranch_execz .LBB6_15466
; %bb.15465:                            ;   in Loop: Header=BB6_13186 Depth=3
	v_ffbh_u32_e32 v21, v5
	v_min_u32_e32 v21, 32, v21
	v_mov_b32_e32 v2, v33
	v_subrev_u32_e32 v31, 29, v21
	v_bfe_u32 v3, v1, 2, 5
	v_lshlrev_b64 v[1:2], v31, v[1:2]
	v_sub_u32_e32 v2, 30, v21
	v_cmp_eq_u32_e32 vcc, 0, v3
	v_cndmask_b32_e32 v2, v3, v2, vcc
	v_lshlrev_b32_e32 v3, 16, v23
	v_and_b32_e32 v1, 3, v1
	v_and_b32_e32 v3, 0x80000000, v3
	v_cndmask_b32_e32 v1, v5, v1, vcc
	v_lshl_add_u32 v2, v2, 23, v3
	v_lshl_or_b32 v1, v1, 21, v2
	v_add_u32_e32 v3, 0x38000000, v1
                                        ; implicit-def: $vgpr5
.LBB6_15466:                            ;   in Loop: Header=BB6_13186 Depth=3
	s_andn2_saveexec_b64 s[34:35], s[34:35]
; %bb.15467:                            ;   in Loop: Header=BB6_13186 Depth=3
	v_cmp_lt_i16_e32 vcc, -1, v23
	v_mov_b32_e32 v1, 0xff800000
	v_mov_b32_e32 v2, 0x7f800000
	v_cndmask_b32_e32 v1, v1, v2, vcc
	v_cmp_eq_u32_e32 vcc, 0, v5
	v_mov_b32_e32 v2, 0x7f800001
	v_cndmask_b32_e32 v3, v2, v1, vcc
; %bb.15468:                            ;   in Loop: Header=BB6_13186 Depth=3
	s_or_b64 exec, exec, s[34:35]
.LBB6_15469:                            ;   in Loop: Header=BB6_13186 Depth=3
	s_or_b64 exec, exec, s[30:31]
.LBB6_15470:                            ;   in Loop: Header=BB6_13186 Depth=3
	s_or_b64 exec, exec, s[28:29]
	v_add_f32_e32 v3, v20, v3
	v_and_b32_e32 v20, 0x7f800000, v3
	v_mov_b32_e32 v21, v33
	v_cmp_ne_u64_e32 vcc, s[76:77], v[20:21]
	v_and_b32_e32 v1, 0x7fffff, v3
	v_mov_b32_e32 v2, v33
                                        ; implicit-def: $vgpr5
                                        ; kill: killed $vgpr5
	s_and_saveexec_b64 s[28:29], vcc
	s_xor_b64 s[30:31], exec, s[28:29]
	s_cbranch_execz .LBB6_15484
; %bb.15471:                            ;   in Loop: Header=BB6_13186 Depth=3
	v_and_b32_e32 v20, 0x7fffffff, v3
	v_mov_b32_e32 v21, v33
	v_cmp_gt_u64_e32 vcc, s[78:79], v[20:21]
	v_and_b32_sdwa v5, v3, s97 dst_sel:DWORD dst_unused:UNUSED_PAD src0_sel:BYTE_3 src1_sel:DWORD
                                        ; implicit-def: $vgpr7
                                        ; kill: killed $vgpr7
	s_and_saveexec_b64 s[28:29], vcc
	s_xor_b64 s[34:35], exec, s[28:29]
	s_cbranch_execz .LBB6_15481
; %bb.15472:                            ;   in Loop: Header=BB6_13186 Depth=3
	v_mov_b32_e32 v7, 0
	v_cmp_ne_u32_e32 vcc, 0, v3
	buffer_store_dword v7, off, s[0:3], s33 offset:388 ; 4-byte Folded Spill
	s_and_saveexec_b64 s[36:37], vcc
	s_cbranch_execz .LBB6_15480
; %bb.15473:                            ;   in Loop: Header=BB6_13186 Depth=3
	v_bfe_u32 v20, v3, 23, 8
	v_cmp_gt_u32_e64 s[28:29], s47, v20
	v_sub_u32_e32 v3, 0x71, v20
	v_cmp_eq_u32_e32 vcc, 0, v20
	v_cndmask_b32_e64 v3, 0, v3, s[28:29]
	v_mov_b32_e32 v21, 0x70
	v_cndmask_b32_e32 v21, v3, v21, vcc
	v_or_b32_e32 v31, 0x800000, v1
	v_add_u32_e32 v3, 21, v21
	v_cndmask_b32_e32 v1, v31, v1, vcc
	v_lshlrev_b64 v[31:32], v3, -1
	v_add_u32_e32 v3, 20, v21
	v_bfi_b32 v31, v31, 0, v1
	v_lshlrev_b64 v[38:39], v3, 1
	v_lshrrev_b64 v[1:2], v21, v[1:2]
	v_bfi_b32 v32, v32, 0, 0
	v_cmp_eq_u64_e64 s[28:29], v[31:32], v[38:39]
	v_mov_b32_e32 v3, v2
	v_mov_b32_e32 v2, v1
	s_and_saveexec_b64 s[38:39], s[28:29]
; %bb.15474:                            ;   in Loop: Header=BB6_13186 Depth=3
	v_bfe_u32 v2, v1, 21, 1
	v_add_co_u32_e64 v2, s[28:29], v1, v2
	v_add_co_u32_e64 v2, s[28:29], -1, v2
; %bb.15475:                            ;   in Loop: Header=BB6_13186 Depth=3
	s_or_b64 exec, exec, s[38:39]
	v_add_u32_e32 v3, 0xffffff81, v20
	v_mov_b32_e32 v20, 0xffffff82
	v_cndmask_b32_e32 v3, v3, v20, vcc
	v_lshrrev_b32_e32 v20, 23, v1
	v_add3_u32 v21, v21, v3, v20
	v_add_u32_e32 v20, 14, v21
	v_and_b32_e32 v2, 0x1fffff, v2
	v_add_u32_e32 v1, v2, v1
	v_mov_b32_e32 v2, v33
	v_cmp_ne_u32_e32 vcc, 0, v20
                                        ; implicit-def: $vgpr3
	s_and_saveexec_b64 s[28:29], vcc
	s_xor_b64 s[28:29], exec, s[28:29]
; %bb.15476:                            ;   in Loop: Header=BB6_13186 Depth=3
	v_cmp_lt_u64_e32 vcc, s[88:89], v[1:2]
	v_add_u32_e32 v3, 15, v21
	v_cndmask_b32_e32 v3, v20, v3, vcc
	v_cndmask_b32_e64 v20, 0, 1, vcc
	v_lshrrev_b64 v[1:2], v20, v[1:2]
; %bb.15477:                            ;   in Loop: Header=BB6_13186 Depth=3
	s_andn2_saveexec_b64 s[28:29], s[28:29]
; %bb.15478:                            ;   in Loop: Header=BB6_13186 Depth=3
	v_bfe_u32 v3, v1, 23, 1
; %bb.15479:                            ;   in Loop: Header=BB6_13186 Depth=3
	s_or_b64 exec, exec, s[28:29]
	v_lshrrev_b64 v[1:2], 21, v[1:2]
	v_cmp_gt_i32_e32 vcc, 32, v3
	v_cndmask_b32_e32 v2, 0, v2, vcc
	v_cndmask_b32_e32 v1, 3, v1, vcc
	v_cmp_eq_u64_e64 s[28:29], 0, v[1:2]
	v_min_i32_e32 v2, 31, v3
	v_lshlrev_b32_e32 v2, 2, v2
	v_cmp_eq_u32_e32 vcc, 0, v3
	v_and_b32_e32 v2, 0xfc, v2
	v_and_or_b32 v1, v1, 3, v2
	s_and_b64 s[28:29], vcc, s[28:29]
	v_cndmask_b32_e64 v1, v1, 0, s[28:29]
	v_or_b32_e32 v1, v1, v5
	buffer_store_dword v1, off, s[0:3], s33 offset:388 ; 4-byte Folded Spill
.LBB6_15480:                            ;   in Loop: Header=BB6_13186 Depth=3
	s_or_b64 exec, exec, s[36:37]
                                        ; implicit-def: $vgpr5
.LBB6_15481:                            ;   in Loop: Header=BB6_13186 Depth=3
	s_andn2_saveexec_b64 s[28:29], s[34:35]
	s_cbranch_execz .LBB6_15483
; %bb.15482:                            ;   in Loop: Header=BB6_13186 Depth=3
	v_or_b32_e32 v1, 0x7b, v5
	buffer_store_dword v1, off, s[0:3], s33 offset:388 ; 4-byte Folded Spill
.LBB6_15483:                            ;   in Loop: Header=BB6_13186 Depth=3
	s_or_b64 exec, exec, s[28:29]
                                        ; implicit-def: $vgpr3
                                        ; implicit-def: $vgpr1_vgpr2
.LBB6_15484:                            ;   in Loop: Header=BB6_13186 Depth=3
	s_andn2_saveexec_b64 s[28:29], s[30:31]
	s_cbranch_execz .LBB6_15490
; %bb.15485:                            ;   in Loop: Header=BB6_13186 Depth=3
	v_cmp_ne_u64_e32 vcc, 0, v[1:2]
                                        ; implicit-def: $vgpr1
                                        ; kill: killed $vgpr1
	s_and_saveexec_b64 s[62:63], vcc
	s_xor_b64 vcc, exec, s[62:63]
	s_cbranch_execz .LBB6_15487
; %bb.15486:                            ;   in Loop: Header=BB6_13186 Depth=3
	v_or_b32_sdwa v1, v3, s44 dst_sel:DWORD dst_unused:UNUSED_PAD src0_sel:BYTE_3 src1_sel:DWORD
	buffer_store_dword v1, off, s[0:3], s33 offset:388 ; 4-byte Folded Spill
                                        ; implicit-def: $vgpr3
.LBB6_15487:                            ;   in Loop: Header=BB6_13186 Depth=3
	s_andn2_saveexec_b64 s[30:31], vcc
	s_cbranch_execz .LBB6_15489
; %bb.15488:                            ;   in Loop: Header=BB6_13186 Depth=3
	v_cmp_lt_i32_e32 vcc, -1, v3
	v_bfrev_b32_e32 v1, 0.5
	v_mov_b32_e32 v2, 0x7c
	v_cndmask_b32_e32 v1, v1, v2, vcc
	buffer_store_dword v1, off, s[0:3], s33 offset:388 ; 4-byte Folded Spill
.LBB6_15489:                            ;   in Loop: Header=BB6_13186 Depth=3
	s_or_b64 exec, exec, s[30:31]
.LBB6_15490:                            ;   in Loop: Header=BB6_13186 Depth=3
	s_or_b64 exec, exec, s[28:29]
	v_and_b32_sdwa v5, v0, s96 dst_sel:DWORD dst_unused:UNUSED_PAD src0_sel:WORD_1 src1_sel:DWORD
	v_lshrrev_b32_e32 v1, 16, v0
	v_cmp_ne_u16_e32 vcc, 0, v5
	v_mov_b32_e32 v2, 0
	v_mov_b32_e32 v3, 0
	s_and_saveexec_b64 s[28:29], vcc
	s_cbranch_execz .LBB6_15498
; %bb.15491:                            ;   in Loop: Header=BB6_13186 Depth=3
	v_cmp_ne_u16_e32 vcc, s97, v5
	v_bfrev_b32_e32 v3, 1
	s_and_saveexec_b64 s[30:31], vcc
	s_cbranch_execz .LBB6_15497
; %bb.15492:                            ;   in Loop: Header=BB6_13186 Depth=3
	v_and_b32_e32 v3, 0x7c0000, v0
	v_bfe_u32 v5, v0, 16, 2
	v_cmp_ne_u32_e32 vcc, s45, v3
                                        ; implicit-def: $vgpr3
	s_and_saveexec_b64 s[62:63], vcc
	s_xor_b64 s[34:35], exec, s[62:63]
	s_cbranch_execz .LBB6_15494
; %bb.15493:                            ;   in Loop: Header=BB6_13186 Depth=3
	v_ffbh_u32_e32 v20, v5
	v_min_u32_e32 v31, 32, v20
	v_subrev_u32_e32 v20, 29, v31
	v_lshlrev_b64 v[20:21], v20, v[1:2]
	v_bfe_u32 v3, v0, 18, 5
	v_sub_u32_e32 v1, 30, v31
	v_and_b32_e32 v20, 3, v20
	v_cmp_eq_u32_e32 vcc, 0, v3
	v_cndmask_b32_e32 v1, v3, v1, vcc
	v_cndmask_b32_e32 v3, v5, v20, vcc
	v_lshlrev_b32_e32 v5, 8, v0
	v_and_b32_e32 v5, 0x80000000, v5
	v_lshl_add_u32 v1, v1, 23, v5
	v_lshl_or_b32 v1, v3, 21, v1
	v_add_u32_e32 v3, 0x38000000, v1
                                        ; implicit-def: $vgpr5
                                        ; implicit-def: $vgpr1
.LBB6_15494:                            ;   in Loop: Header=BB6_13186 Depth=3
	s_andn2_saveexec_b64 s[34:35], s[34:35]
; %bb.15495:                            ;   in Loop: Header=BB6_13186 Depth=3
	v_mov_b32_e32 v3, -1
	v_cmp_gt_i16_sdwa vcc, sext(v1), v3 src0_sel:BYTE_0 src1_sel:DWORD
	v_mov_b32_e32 v1, 0xff800000
	v_mov_b32_e32 v3, 0x7f800000
	v_cndmask_b32_e32 v1, v1, v3, vcc
	v_cmp_eq_u32_e32 vcc, 0, v5
	v_mov_b32_e32 v3, 0x7f800001
	v_cndmask_b32_e32 v3, v3, v1, vcc
; %bb.15496:                            ;   in Loop: Header=BB6_13186 Depth=3
	s_or_b64 exec, exec, s[34:35]
.LBB6_15497:                            ;   in Loop: Header=BB6_13186 Depth=3
	s_or_b64 exec, exec, s[30:31]
.LBB6_15498:                            ;   in Loop: Header=BB6_13186 Depth=3
	s_or_b64 exec, exec, s[28:29]
	v_lshrrev_b32_e32 v1, 16, v23
	v_cmp_ne_u16_sdwa s[62:63], v1, v33 src0_sel:BYTE_0 src1_sel:DWORD
	s_and_saveexec_b64 s[28:29], s[62:63]
	s_cbranch_execz .LBB6_15506
; %bb.15499:                            ;   in Loop: Header=BB6_13186 Depth=3
	v_cmp_ne_u16_sdwa s[62:63], v1, s97 src0_sel:BYTE_0 src1_sel:DWORD
	v_bfrev_b32_e32 v2, 1
	s_and_saveexec_b64 s[30:31], s[62:63]
	s_cbranch_execz .LBB6_15505
; %bb.15500:                            ;   in Loop: Header=BB6_13186 Depth=3
	v_and_b32_e32 v2, 0x7c0000, v23
	v_bfe_u32 v5, v23, 16, 2
	v_cmp_ne_u32_e32 vcc, s45, v2
                                        ; implicit-def: $vgpr2
	s_and_saveexec_b64 s[62:63], vcc
	s_xor_b64 s[34:35], exec, s[62:63]
	s_cbranch_execz .LBB6_15502
; %bb.15501:                            ;   in Loop: Header=BB6_13186 Depth=3
	v_ffbh_u32_e32 v2, v5
	v_min_u32_e32 v21, 32, v2
	v_subrev_u32_e32 v2, 29, v21
	v_lshlrev_b64 v[1:2], v2, v[1:2]
	v_bfe_u32 v20, v23, 18, 5
	v_and_b32_e32 v1, 3, v1
	v_cmp_eq_u32_e32 vcc, 0, v20
	v_sub_u32_e32 v2, 30, v21
	v_cndmask_b32_e32 v1, v5, v1, vcc
	v_lshlrev_b32_e32 v5, 8, v23
	v_cndmask_b32_e32 v2, v20, v2, vcc
	v_and_b32_e32 v5, 0x80000000, v5
	v_lshl_add_u32 v2, v2, 23, v5
	v_lshl_or_b32 v1, v1, 21, v2
	v_add_u32_e32 v2, 0x38000000, v1
                                        ; implicit-def: $vgpr5
                                        ; implicit-def: $vgpr1
.LBB6_15502:                            ;   in Loop: Header=BB6_13186 Depth=3
	s_andn2_saveexec_b64 s[34:35], s[34:35]
; %bb.15503:                            ;   in Loop: Header=BB6_13186 Depth=3
	v_mov_b32_e32 v2, -1
	v_cmp_gt_i16_sdwa vcc, sext(v1), v2 src0_sel:BYTE_0 src1_sel:DWORD
	v_mov_b32_e32 v1, 0xff800000
	v_mov_b32_e32 v2, 0x7f800000
	v_cndmask_b32_e32 v1, v1, v2, vcc
	v_cmp_eq_u32_e32 vcc, 0, v5
	v_mov_b32_e32 v2, 0x7f800001
	v_cndmask_b32_e32 v2, v2, v1, vcc
; %bb.15504:                            ;   in Loop: Header=BB6_13186 Depth=3
	s_or_b64 exec, exec, s[34:35]
.LBB6_15505:                            ;   in Loop: Header=BB6_13186 Depth=3
	s_or_b64 exec, exec, s[30:31]
.LBB6_15506:                            ;   in Loop: Header=BB6_13186 Depth=3
	s_or_b64 exec, exec, s[28:29]
	v_add_f32_e32 v3, v3, v2
	v_and_b32_e32 v20, 0x7f800000, v3
	v_mov_b32_e32 v21, v33
	v_cmp_ne_u64_e32 vcc, s[76:77], v[20:21]
	v_and_b32_e32 v1, 0x7fffff, v3
	v_mov_b32_e32 v2, v33
                                        ; implicit-def: $vgpr5
                                        ; kill: killed $vgpr5
	s_and_saveexec_b64 s[28:29], vcc
	s_xor_b64 s[30:31], exec, s[28:29]
	s_cbranch_execz .LBB6_15520
; %bb.15507:                            ;   in Loop: Header=BB6_13186 Depth=3
	v_and_b32_e32 v20, 0x7fffffff, v3
	v_mov_b32_e32 v21, v33
	v_cmp_gt_u64_e32 vcc, s[78:79], v[20:21]
	v_and_b32_sdwa v5, v3, s97 dst_sel:DWORD dst_unused:UNUSED_PAD src0_sel:BYTE_3 src1_sel:DWORD
                                        ; implicit-def: $vgpr7
                                        ; kill: killed $vgpr7
	s_and_saveexec_b64 s[28:29], vcc
	s_xor_b64 s[34:35], exec, s[28:29]
	s_cbranch_execz .LBB6_15517
; %bb.15508:                            ;   in Loop: Header=BB6_13186 Depth=3
	v_mov_b32_e32 v7, 0
	v_cmp_ne_u32_e32 vcc, 0, v3
	buffer_store_dword v7, off, s[0:3], s33 offset:400 ; 4-byte Folded Spill
	s_and_saveexec_b64 s[36:37], vcc
	s_cbranch_execz .LBB6_15516
; %bb.15509:                            ;   in Loop: Header=BB6_13186 Depth=3
	v_bfe_u32 v20, v3, 23, 8
	v_cmp_gt_u32_e64 s[28:29], s47, v20
	v_sub_u32_e32 v3, 0x71, v20
	v_cmp_eq_u32_e32 vcc, 0, v20
	v_cndmask_b32_e64 v3, 0, v3, s[28:29]
	v_mov_b32_e32 v21, 0x70
	v_cndmask_b32_e32 v21, v3, v21, vcc
	v_or_b32_e32 v31, 0x800000, v1
	v_add_u32_e32 v3, 21, v21
	v_cndmask_b32_e32 v1, v31, v1, vcc
	v_lshlrev_b64 v[31:32], v3, -1
	v_add_u32_e32 v3, 20, v21
	v_bfi_b32 v31, v31, 0, v1
	v_lshlrev_b64 v[38:39], v3, 1
	v_lshrrev_b64 v[1:2], v21, v[1:2]
	v_bfi_b32 v32, v32, 0, 0
	v_cmp_eq_u64_e64 s[28:29], v[31:32], v[38:39]
	v_mov_b32_e32 v3, v2
	v_mov_b32_e32 v2, v1
	s_and_saveexec_b64 s[38:39], s[28:29]
; %bb.15510:                            ;   in Loop: Header=BB6_13186 Depth=3
	v_bfe_u32 v2, v1, 21, 1
	v_add_co_u32_e64 v2, s[28:29], v1, v2
	v_add_co_u32_e64 v2, s[28:29], -1, v2
; %bb.15511:                            ;   in Loop: Header=BB6_13186 Depth=3
	s_or_b64 exec, exec, s[38:39]
	v_add_u32_e32 v3, 0xffffff81, v20
	v_mov_b32_e32 v20, 0xffffff82
	v_cndmask_b32_e32 v3, v3, v20, vcc
	v_lshrrev_b32_e32 v20, 23, v1
	v_add3_u32 v21, v21, v3, v20
	v_add_u32_e32 v20, 14, v21
	v_and_b32_e32 v2, 0x1fffff, v2
	v_add_u32_e32 v1, v2, v1
	v_mov_b32_e32 v2, v33
	v_cmp_ne_u32_e32 vcc, 0, v20
                                        ; implicit-def: $vgpr3
	s_and_saveexec_b64 s[28:29], vcc
	s_xor_b64 s[28:29], exec, s[28:29]
; %bb.15512:                            ;   in Loop: Header=BB6_13186 Depth=3
	v_cmp_lt_u64_e32 vcc, s[88:89], v[1:2]
	v_add_u32_e32 v3, 15, v21
	v_cndmask_b32_e32 v3, v20, v3, vcc
	v_cndmask_b32_e64 v20, 0, 1, vcc
	v_lshrrev_b64 v[1:2], v20, v[1:2]
; %bb.15513:                            ;   in Loop: Header=BB6_13186 Depth=3
	s_andn2_saveexec_b64 s[28:29], s[28:29]
; %bb.15514:                            ;   in Loop: Header=BB6_13186 Depth=3
	v_bfe_u32 v3, v1, 23, 1
; %bb.15515:                            ;   in Loop: Header=BB6_13186 Depth=3
	s_or_b64 exec, exec, s[28:29]
	v_lshrrev_b64 v[1:2], 21, v[1:2]
	v_cmp_gt_i32_e32 vcc, 32, v3
	v_cndmask_b32_e32 v2, 0, v2, vcc
	v_cndmask_b32_e32 v1, 3, v1, vcc
	v_cmp_eq_u64_e64 s[28:29], 0, v[1:2]
	v_min_i32_e32 v2, 31, v3
	v_lshlrev_b32_e32 v2, 2, v2
	v_cmp_eq_u32_e32 vcc, 0, v3
	v_and_b32_e32 v2, 0xfc, v2
	v_and_or_b32 v1, v1, 3, v2
	s_and_b64 s[28:29], vcc, s[28:29]
	v_cndmask_b32_e64 v1, v1, 0, s[28:29]
	v_or_b32_e32 v1, v1, v5
	buffer_store_dword v1, off, s[0:3], s33 offset:400 ; 4-byte Folded Spill
.LBB6_15516:                            ;   in Loop: Header=BB6_13186 Depth=3
	s_or_b64 exec, exec, s[36:37]
                                        ; implicit-def: $vgpr5
.LBB6_15517:                            ;   in Loop: Header=BB6_13186 Depth=3
	s_andn2_saveexec_b64 s[28:29], s[34:35]
	s_cbranch_execz .LBB6_15519
; %bb.15518:                            ;   in Loop: Header=BB6_13186 Depth=3
	v_or_b32_e32 v1, 0x7b, v5
	buffer_store_dword v1, off, s[0:3], s33 offset:400 ; 4-byte Folded Spill
.LBB6_15519:                            ;   in Loop: Header=BB6_13186 Depth=3
	s_or_b64 exec, exec, s[28:29]
                                        ; implicit-def: $vgpr3
                                        ; implicit-def: $vgpr1_vgpr2
.LBB6_15520:                            ;   in Loop: Header=BB6_13186 Depth=3
	s_andn2_saveexec_b64 s[28:29], s[30:31]
	s_cbranch_execz .LBB6_15526
; %bb.15521:                            ;   in Loop: Header=BB6_13186 Depth=3
	v_cmp_ne_u64_e32 vcc, 0, v[1:2]
                                        ; implicit-def: $vgpr1
                                        ; kill: killed $vgpr1
	s_and_saveexec_b64 s[62:63], vcc
	s_xor_b64 vcc, exec, s[62:63]
	s_cbranch_execz .LBB6_15523
; %bb.15522:                            ;   in Loop: Header=BB6_13186 Depth=3
	v_or_b32_sdwa v1, v3, s44 dst_sel:DWORD dst_unused:UNUSED_PAD src0_sel:BYTE_3 src1_sel:DWORD
	buffer_store_dword v1, off, s[0:3], s33 offset:400 ; 4-byte Folded Spill
                                        ; implicit-def: $vgpr3
.LBB6_15523:                            ;   in Loop: Header=BB6_13186 Depth=3
	s_andn2_saveexec_b64 s[30:31], vcc
	s_cbranch_execz .LBB6_15525
; %bb.15524:                            ;   in Loop: Header=BB6_13186 Depth=3
	v_cmp_lt_i32_e32 vcc, -1, v3
	v_bfrev_b32_e32 v1, 0.5
	v_mov_b32_e32 v2, 0x7c
	v_cndmask_b32_e32 v1, v1, v2, vcc
	buffer_store_dword v1, off, s[0:3], s33 offset:400 ; 4-byte Folded Spill
.LBB6_15525:                            ;   in Loop: Header=BB6_13186 Depth=3
	s_or_b64 exec, exec, s[30:31]
.LBB6_15526:                            ;   in Loop: Header=BB6_13186 Depth=3
	s_or_b64 exec, exec, s[28:29]
	v_cmp_lt_u32_e32 vcc, s57, v0
	v_mov_b32_e32 v2, 0
	v_mov_b32_e32 v3, 0
	s_and_saveexec_b64 s[28:29], vcc
	s_cbranch_execz .LBB6_15534
; %bb.15527:                            ;   in Loop: Header=BB6_13186 Depth=3
	v_lshrrev_b32_e32 v1, 24, v0
	v_cmp_ne_u32_e32 vcc, s97, v1
	v_bfrev_b32_e32 v3, 1
	s_and_saveexec_b64 s[30:31], vcc
	s_cbranch_execz .LBB6_15533
; %bb.15528:                            ;   in Loop: Header=BB6_13186 Depth=3
	v_and_b32_e32 v3, 0x7c000000, v0
	v_bfe_u32 v5, v0, 24, 2
	v_cmp_ne_u32_e32 vcc, s68, v3
                                        ; implicit-def: $vgpr3
	s_and_saveexec_b64 s[62:63], vcc
	s_xor_b64 s[34:35], exec, s[62:63]
	s_cbranch_execz .LBB6_15530
; %bb.15529:                            ;   in Loop: Header=BB6_13186 Depth=3
	v_ffbh_u32_e32 v20, v5
	v_min_u32_e32 v31, 32, v20
	v_subrev_u32_e32 v20, 29, v31
	v_bfe_u32 v3, v0, 26, 5
	v_lshlrev_b64 v[20:21], v20, v[1:2]
	v_sub_u32_e32 v1, 30, v31
	v_cmp_eq_u32_e32 vcc, 0, v3
	v_and_b32_e32 v20, 3, v20
	v_cndmask_b32_e32 v1, v3, v1, vcc
	v_and_b32_e32 v0, 0x80000000, v0
	v_cndmask_b32_e32 v3, v5, v20, vcc
	v_lshl_add_u32 v0, v1, 23, v0
	v_lshl_or_b32 v0, v3, 21, v0
	v_add_u32_e32 v3, 0x38000000, v0
                                        ; implicit-def: $vgpr5
                                        ; implicit-def: $vgpr0_vgpr1
.LBB6_15530:                            ;   in Loop: Header=BB6_13186 Depth=3
	s_andn2_saveexec_b64 s[34:35], s[34:35]
; %bb.15531:                            ;   in Loop: Header=BB6_13186 Depth=3
	v_cmp_lt_i32_e32 vcc, -1, v0
	v_mov_b32_e32 v0, 0xff800000
	v_mov_b32_e32 v1, 0x7f800000
	v_cndmask_b32_e32 v0, v0, v1, vcc
	v_cmp_eq_u32_e32 vcc, 0, v5
	v_mov_b32_e32 v1, 0x7f800001
	v_cndmask_b32_e32 v3, v1, v0, vcc
; %bb.15532:                            ;   in Loop: Header=BB6_13186 Depth=3
	s_or_b64 exec, exec, s[34:35]
.LBB6_15533:                            ;   in Loop: Header=BB6_13186 Depth=3
	s_or_b64 exec, exec, s[30:31]
.LBB6_15534:                            ;   in Loop: Header=BB6_13186 Depth=3
	s_or_b64 exec, exec, s[28:29]
	v_cmp_lt_u64_e32 vcc, s[56:57], v[22:23]
	s_and_saveexec_b64 s[28:29], vcc
	s_cbranch_execz .LBB6_15542
; %bb.15535:                            ;   in Loop: Header=BB6_13186 Depth=3
	v_lshrrev_b32_e32 v0, 24, v23
	v_cmp_ne_u32_e32 vcc, s97, v0
	v_bfrev_b32_e32 v2, 1
	s_and_saveexec_b64 s[30:31], vcc
	s_cbranch_execz .LBB6_15541
; %bb.15536:                            ;   in Loop: Header=BB6_13186 Depth=3
	v_and_b32_e32 v2, 0x7c000000, v23
	v_bfe_u32 v1, v23, 24, 2
	v_cmp_ne_u32_e32 vcc, s68, v2
                                        ; implicit-def: $vgpr2
	s_and_saveexec_b64 s[62:63], vcc
	s_xor_b64 s[34:35], exec, s[62:63]
	s_cbranch_execz .LBB6_15538
; %bb.15537:                            ;   in Loop: Header=BB6_13186 Depth=3
	v_ffbh_u32_e32 v5, v1
	v_min_u32_e32 v5, 32, v5
	v_subrev_u32_e32 v20, 29, v5
	v_bfe_u32 v2, v23, 26, 5
	v_lshlrev_b64 v[20:21], v20, v[0:1]
	v_sub_u32_e32 v0, 30, v5
	v_cmp_eq_u32_e32 vcc, 0, v2
	v_and_b32_e32 v5, 3, v20
	v_cndmask_b32_e32 v0, v2, v0, vcc
	v_and_b32_e32 v2, 0x80000000, v23
	v_cndmask_b32_e32 v1, v1, v5, vcc
	v_lshl_add_u32 v0, v0, 23, v2
	v_lshl_or_b32 v0, v1, 21, v0
	v_add_u32_e32 v2, 0x38000000, v0
                                        ; implicit-def: $vgpr1
                                        ; implicit-def: $vgpr22_vgpr23
.LBB6_15538:                            ;   in Loop: Header=BB6_13186 Depth=3
	s_andn2_saveexec_b64 s[34:35], s[34:35]
; %bb.15539:                            ;   in Loop: Header=BB6_13186 Depth=3
	v_cmp_lt_i64_e32 vcc, -1, v[22:23]
	v_mov_b32_e32 v0, 0xff800000
	v_mov_b32_e32 v2, 0x7f800000
	v_cndmask_b32_e32 v0, v0, v2, vcc
	v_cmp_eq_u32_e32 vcc, 0, v1
	v_mov_b32_e32 v1, 0x7f800001
	v_cndmask_b32_e32 v2, v1, v0, vcc
; %bb.15540:                            ;   in Loop: Header=BB6_13186 Depth=3
	s_or_b64 exec, exec, s[34:35]
.LBB6_15541:                            ;   in Loop: Header=BB6_13186 Depth=3
	s_or_b64 exec, exec, s[30:31]
.LBB6_15542:                            ;   in Loop: Header=BB6_13186 Depth=3
	s_or_b64 exec, exec, s[28:29]
	v_add_f32_e32 v2, v3, v2
	v_and_b32_e32 v20, 0x7f800000, v2
	v_mov_b32_e32 v21, v33
	v_cmp_ne_u64_e32 vcc, s[76:77], v[20:21]
	v_and_b32_e32 v0, 0x7fffff, v2
	v_mov_b32_e32 v1, v33
                                        ; implicit-def: $vgpr3
                                        ; kill: killed $vgpr3
	s_and_saveexec_b64 s[28:29], vcc
	s_xor_b64 s[30:31], exec, s[28:29]
	s_cbranch_execz .LBB6_15556
; %bb.15543:                            ;   in Loop: Header=BB6_13186 Depth=3
	v_and_b32_e32 v20, 0x7fffffff, v2
	v_mov_b32_e32 v21, v33
	v_cmp_gt_u64_e32 vcc, s[78:79], v[20:21]
	v_and_b32_sdwa v3, v2, s97 dst_sel:DWORD dst_unused:UNUSED_PAD src0_sel:BYTE_3 src1_sel:DWORD
                                        ; implicit-def: $vgpr5
                                        ; kill: killed $vgpr5
	s_and_saveexec_b64 s[28:29], vcc
	s_xor_b64 s[34:35], exec, s[28:29]
	s_cbranch_execz .LBB6_15553
; %bb.15544:                            ;   in Loop: Header=BB6_13186 Depth=3
	v_mov_b32_e32 v5, 0
	v_cmp_ne_u32_e32 vcc, 0, v2
	buffer_store_dword v5, off, s[0:3], s33 offset:448 ; 4-byte Folded Spill
	s_and_saveexec_b64 s[36:37], vcc
	s_cbranch_execz .LBB6_15552
; %bb.15545:                            ;   in Loop: Header=BB6_13186 Depth=3
	v_bfe_u32 v5, v2, 23, 8
	v_cmp_gt_u32_e64 s[28:29], s47, v5
	v_sub_u32_e32 v2, 0x71, v5
	v_cmp_eq_u32_e32 vcc, 0, v5
	v_cndmask_b32_e64 v2, 0, v2, s[28:29]
	v_mov_b32_e32 v20, 0x70
	v_cndmask_b32_e32 v20, v2, v20, vcc
	v_or_b32_e32 v21, 0x800000, v0
	v_add_u32_e32 v2, 21, v20
	v_cndmask_b32_e32 v0, v21, v0, vcc
	v_lshlrev_b64 v[21:22], v2, -1
	v_add_u32_e32 v2, 20, v20
	v_bfi_b32 v21, v21, 0, v0
	v_lshlrev_b64 v[31:32], v2, 1
	v_lshrrev_b64 v[0:1], v20, v[0:1]
	v_bfi_b32 v22, v22, 0, 0
	v_cmp_eq_u64_e64 s[28:29], v[21:22], v[31:32]
	v_mov_b32_e32 v2, v1
	v_mov_b32_e32 v1, v0
	s_and_saveexec_b64 s[38:39], s[28:29]
; %bb.15546:                            ;   in Loop: Header=BB6_13186 Depth=3
	v_bfe_u32 v1, v0, 21, 1
	v_add_co_u32_e64 v1, s[28:29], v0, v1
	v_add_co_u32_e64 v1, s[28:29], -1, v1
; %bb.15547:                            ;   in Loop: Header=BB6_13186 Depth=3
	s_or_b64 exec, exec, s[38:39]
	v_add_u32_e32 v2, 0xffffff81, v5
	v_mov_b32_e32 v5, 0xffffff82
	v_cndmask_b32_e32 v2, v2, v5, vcc
	v_lshrrev_b32_e32 v5, 23, v0
	v_add3_u32 v20, v20, v2, v5
	v_add_u32_e32 v5, 14, v20
	v_and_b32_e32 v1, 0x1fffff, v1
	v_add_u32_e32 v0, v1, v0
	v_mov_b32_e32 v1, v33
	v_cmp_ne_u32_e32 vcc, 0, v5
                                        ; implicit-def: $vgpr2
	s_and_saveexec_b64 s[28:29], vcc
	s_xor_b64 s[28:29], exec, s[28:29]
; %bb.15548:                            ;   in Loop: Header=BB6_13186 Depth=3
	v_cmp_lt_u64_e32 vcc, s[88:89], v[0:1]
	v_add_u32_e32 v2, 15, v20
	v_cndmask_b32_e32 v2, v5, v2, vcc
	v_cndmask_b32_e64 v5, 0, 1, vcc
	v_lshrrev_b64 v[0:1], v5, v[0:1]
; %bb.15549:                            ;   in Loop: Header=BB6_13186 Depth=3
	s_andn2_saveexec_b64 s[28:29], s[28:29]
; %bb.15550:                            ;   in Loop: Header=BB6_13186 Depth=3
	v_bfe_u32 v2, v0, 23, 1
; %bb.15551:                            ;   in Loop: Header=BB6_13186 Depth=3
	s_or_b64 exec, exec, s[28:29]
	v_lshrrev_b64 v[0:1], 21, v[0:1]
	v_cmp_gt_i32_e32 vcc, 32, v2
	v_cndmask_b32_e32 v1, 0, v1, vcc
	v_cndmask_b32_e32 v0, 3, v0, vcc
	v_cmp_eq_u64_e64 s[28:29], 0, v[0:1]
	v_min_i32_e32 v1, 31, v2
	v_lshlrev_b32_e32 v1, 2, v1
	v_cmp_eq_u32_e32 vcc, 0, v2
	v_and_b32_e32 v1, 0xfc, v1
	v_and_or_b32 v0, v0, 3, v1
	s_and_b64 s[28:29], vcc, s[28:29]
	v_cndmask_b32_e64 v0, v0, 0, s[28:29]
	v_or_b32_e32 v0, v0, v3
	buffer_store_dword v0, off, s[0:3], s33 offset:448 ; 4-byte Folded Spill
.LBB6_15552:                            ;   in Loop: Header=BB6_13186 Depth=3
	s_or_b64 exec, exec, s[36:37]
                                        ; implicit-def: $vgpr3
.LBB6_15553:                            ;   in Loop: Header=BB6_13186 Depth=3
	s_andn2_saveexec_b64 s[28:29], s[34:35]
	s_cbranch_execz .LBB6_15555
; %bb.15554:                            ;   in Loop: Header=BB6_13186 Depth=3
	v_or_b32_e32 v0, 0x7b, v3
	buffer_store_dword v0, off, s[0:3], s33 offset:448 ; 4-byte Folded Spill
.LBB6_15555:                            ;   in Loop: Header=BB6_13186 Depth=3
	s_or_b64 exec, exec, s[28:29]
                                        ; implicit-def: $vgpr2
                                        ; implicit-def: $vgpr0_vgpr1
.LBB6_15556:                            ;   in Loop: Header=BB6_13186 Depth=3
	s_andn2_saveexec_b64 s[28:29], s[30:31]
	s_cbranch_execz .LBB6_15562
; %bb.15557:                            ;   in Loop: Header=BB6_13186 Depth=3
	v_cmp_ne_u64_e32 vcc, 0, v[0:1]
                                        ; implicit-def: $vgpr0
                                        ; kill: killed $vgpr0
	s_and_saveexec_b64 s[62:63], vcc
	s_xor_b64 vcc, exec, s[62:63]
	s_cbranch_execz .LBB6_15559
; %bb.15558:                            ;   in Loop: Header=BB6_13186 Depth=3
	v_or_b32_sdwa v0, v2, s44 dst_sel:DWORD dst_unused:UNUSED_PAD src0_sel:BYTE_3 src1_sel:DWORD
	buffer_store_dword v0, off, s[0:3], s33 offset:448 ; 4-byte Folded Spill
                                        ; implicit-def: $vgpr2
.LBB6_15559:                            ;   in Loop: Header=BB6_13186 Depth=3
	s_andn2_saveexec_b64 s[30:31], vcc
	s_cbranch_execz .LBB6_15561
; %bb.15560:                            ;   in Loop: Header=BB6_13186 Depth=3
	v_cmp_lt_i32_e32 vcc, -1, v2
	v_bfrev_b32_e32 v0, 0.5
	v_mov_b32_e32 v1, 0x7c
	v_cndmask_b32_e32 v0, v0, v1, vcc
	buffer_store_dword v0, off, s[0:3], s33 offset:448 ; 4-byte Folded Spill
.LBB6_15561:                            ;   in Loop: Header=BB6_13186 Depth=3
	s_or_b64 exec, exec, s[30:31]
.LBB6_15562:                            ;   in Loop: Header=BB6_13186 Depth=3
	s_or_b64 exec, exec, s[28:29]
	buffer_load_dword v0, off, s[0:3], s33 offset:364 ; 4-byte Folded Reload
	buffer_load_dword v1, off, s[0:3], s33 offset:384 ; 4-byte Folded Reload
	v_cmp_ne_u32_e32 vcc, 0, v40
	v_mov_b32_e32 v2, 0
	v_mov_b32_e32 v3, 0
	s_waitcnt vmcnt(1)
	v_lshl_or_b32 v20, v0, 8, v40
	buffer_load_dword v0, off, s[0:3], s33 offset:376 ; 4-byte Folded Reload
	s_waitcnt vmcnt(1)
	v_lshlrev_b32_e32 v1, 24, v1
	s_waitcnt vmcnt(0)
	v_lshlrev_b32_e32 v0, 16, v0
	v_or3_b32 v0, v0, v1, v20
	v_mov_b32_e32 v1, v33
	s_and_saveexec_b64 s[30:31], vcc
	s_cbranch_execz .LBB6_15570
; %bb.15563:                            ;   in Loop: Header=BB6_13186 Depth=3
	v_cmp_ne_u32_e32 vcc, s97, v40
	v_bfrev_b32_e32 v3, 1
	s_and_saveexec_b64 s[34:35], vcc
	s_cbranch_execz .LBB6_15569
; %bb.15564:                            ;   in Loop: Header=BB6_13186 Depth=3
	v_and_b32_e32 v3, 0x7c, v40
	v_and_b32_e32 v5, 3, v40
	v_cmp_ne_u32_e32 vcc, s86, v3
                                        ; implicit-def: $vgpr3
	s_and_saveexec_b64 s[28:29], vcc
	s_xor_b64 s[28:29], exec, s[28:29]
	s_cbranch_execz .LBB6_15566
; %bb.15565:                            ;   in Loop: Header=BB6_13186 Depth=3
	v_ffbh_u32_e32 v21, v5
	v_min_u32_e32 v23, 32, v21
	v_subrev_u32_e32 v21, 29, v23
	v_lshlrev_b64 v[21:22], v21, v[0:1]
	v_bfe_u32 v3, v40, 2, 5
	v_sub_u32_e32 v1, 30, v23
	v_and_b32_e32 v21, 3, v21
	v_cmp_eq_u32_e32 vcc, 0, v3
	v_cndmask_b32_e32 v1, v3, v1, vcc
	v_cndmask_b32_e32 v3, v5, v21, vcc
	v_lshlrev_b32_e32 v5, 24, v40
	v_and_b32_e32 v5, 0x80000000, v5
	v_lshl_add_u32 v1, v1, 23, v5
	v_lshl_or_b32 v1, v3, 21, v1
	v_add_u32_e32 v3, 0x38000000, v1
                                        ; implicit-def: $vgpr5
                                        ; implicit-def: $vgpr40
.LBB6_15566:                            ;   in Loop: Header=BB6_13186 Depth=3
	s_andn2_saveexec_b64 s[36:37], s[28:29]
; %bb.15567:                            ;   in Loop: Header=BB6_13186 Depth=3
	v_and_b32_e32 v1, 0x80, v40
	v_cmp_eq_u32_e64 s[28:29], 0, v1
	v_mov_b32_e32 v1, 0xff800000
	v_mov_b32_e32 v3, 0x7f800000
	v_cmp_eq_u32_e32 vcc, 0, v5
	v_cndmask_b32_e64 v1, v1, v3, s[28:29]
	v_mov_b32_e32 v3, 0x7f800001
	v_cndmask_b32_e32 v3, v3, v1, vcc
; %bb.15568:                            ;   in Loop: Header=BB6_13186 Depth=3
	s_or_b64 exec, exec, s[36:37]
.LBB6_15569:                            ;   in Loop: Header=BB6_13186 Depth=3
	s_or_b64 exec, exec, s[34:35]
.LBB6_15570:                            ;   in Loop: Header=BB6_13186 Depth=3
	s_or_b64 exec, exec, s[30:31]
	v_cmp_ne_u16_sdwa s[62:63], v16, v33 src0_sel:BYTE_0 src1_sel:DWORD
	s_and_saveexec_b64 s[28:29], s[62:63]
	s_cbranch_execz .LBB6_15578
; %bb.15571:                            ;   in Loop: Header=BB6_13186 Depth=3
	v_cmp_ne_u16_sdwa s[62:63], sext(v16), s46 src0_sel:BYTE_0 src1_sel:DWORD
	v_bfrev_b32_e32 v2, 1
	s_and_saveexec_b64 s[30:31], s[62:63]
	s_cbranch_execz .LBB6_15577
; %bb.15572:                            ;   in Loop: Header=BB6_13186 Depth=3
	v_and_b32_e32 v2, 0x7c, v16
	v_and_b32_e32 v1, 3, v16
	v_cmp_ne_u32_e32 vcc, s86, v2
                                        ; implicit-def: $vgpr2
	s_and_saveexec_b64 s[62:63], vcc
	s_xor_b64 s[34:35], exec, s[62:63]
	s_cbranch_execz .LBB6_15574
; %bb.15573:                            ;   in Loop: Header=BB6_13186 Depth=3
	v_ffbh_u32_e32 v5, v1
	v_min_u32_e32 v5, 32, v5
	v_bfe_u32 v2, v16, 2, 5
	v_subrev_u32_e32 v21, 29, v5
	v_lshlrev_b64 v[21:22], v21, v[16:17]
	v_sub_u32_e32 v5, 30, v5
	v_cmp_eq_u32_e32 vcc, 0, v2
	v_cndmask_b32_e32 v2, v2, v5, vcc
	v_lshlrev_b32_e32 v5, 24, v16
	v_and_b32_e32 v21, 3, v21
	v_and_b32_e32 v5, 0x80000000, v5
	v_cndmask_b32_e32 v1, v1, v21, vcc
	v_lshl_add_u32 v2, v2, 23, v5
	v_lshl_or_b32 v1, v1, 21, v2
	v_add_u32_e32 v2, 0x38000000, v1
                                        ; implicit-def: $vgpr1
.LBB6_15574:                            ;   in Loop: Header=BB6_13186 Depth=3
	s_andn2_saveexec_b64 s[34:35], s[34:35]
; %bb.15575:                            ;   in Loop: Header=BB6_13186 Depth=3
	v_mov_b32_e32 v2, -1
	v_cmp_gt_i16_sdwa vcc, sext(v16), v2 src0_sel:BYTE_0 src1_sel:DWORD
	v_mov_b32_e32 v2, 0xff800000
	v_mov_b32_e32 v5, 0x7f800000
	v_cndmask_b32_e32 v2, v2, v5, vcc
	v_cmp_eq_u32_e32 vcc, 0, v1
	v_mov_b32_e32 v1, 0x7f800001
	v_cndmask_b32_e32 v2, v1, v2, vcc
; %bb.15576:                            ;   in Loop: Header=BB6_13186 Depth=3
	s_or_b64 exec, exec, s[34:35]
.LBB6_15577:                            ;   in Loop: Header=BB6_13186 Depth=3
	s_or_b64 exec, exec, s[30:31]
.LBB6_15578:                            ;   in Loop: Header=BB6_13186 Depth=3
	s_or_b64 exec, exec, s[28:29]
	v_add_f32_e32 v3, v3, v2
	v_and_b32_e32 v21, 0x7f800000, v3
	v_mov_b32_e32 v22, v33
	v_cmp_ne_u64_e32 vcc, s[76:77], v[21:22]
	v_and_b32_e32 v1, 0x7fffff, v3
	v_mov_b32_e32 v2, v33
                                        ; implicit-def: $vgpr48
	s_and_saveexec_b64 s[28:29], vcc
	s_xor_b64 s[30:31], exec, s[28:29]
	s_cbranch_execz .LBB6_15592
; %bb.15579:                            ;   in Loop: Header=BB6_13186 Depth=3
	v_and_b32_e32 v21, 0x7fffffff, v3
	v_mov_b32_e32 v22, v33
	v_cmp_gt_u64_e32 vcc, s[78:79], v[21:22]
	v_and_b32_sdwa v21, v3, s97 dst_sel:DWORD dst_unused:UNUSED_PAD src0_sel:BYTE_3 src1_sel:DWORD
                                        ; implicit-def: $vgpr48
	s_and_saveexec_b64 s[28:29], vcc
	s_xor_b64 s[34:35], exec, s[28:29]
	s_cbranch_execz .LBB6_15589
; %bb.15580:                            ;   in Loop: Header=BB6_13186 Depth=3
	v_mov_b32_e32 v48, 0
	v_cmp_ne_u32_e32 vcc, 0, v3
	s_and_saveexec_b64 s[36:37], vcc
	s_cbranch_execz .LBB6_15588
; %bb.15581:                            ;   in Loop: Header=BB6_13186 Depth=3
	v_bfe_u32 v5, v3, 23, 8
	v_cmp_gt_u32_e64 s[28:29], s47, v5
	v_sub_u32_e32 v3, 0x71, v5
	v_cmp_eq_u32_e32 vcc, 0, v5
	v_cndmask_b32_e64 v3, 0, v3, s[28:29]
	v_mov_b32_e32 v22, 0x70
	v_cndmask_b32_e32 v22, v3, v22, vcc
	v_add_u32_e32 v3, 21, v22
	v_or_b32_e32 v23, 0x800000, v1
	v_lshlrev_b64 v[31:32], v3, -1
	v_cndmask_b32_e32 v1, v23, v1, vcc
	v_add_u32_e32 v3, 20, v22
	v_bfi_b32 v31, v31, 0, v1
	v_lshlrev_b64 v[38:39], v3, 1
	v_lshrrev_b64 v[1:2], v22, v[1:2]
	v_bfi_b32 v32, v32, 0, 0
	v_cmp_eq_u64_e64 s[28:29], v[31:32], v[38:39]
	v_mov_b32_e32 v3, v2
	v_mov_b32_e32 v2, v1
	s_and_saveexec_b64 s[38:39], s[28:29]
; %bb.15582:                            ;   in Loop: Header=BB6_13186 Depth=3
	v_bfe_u32 v2, v1, 21, 1
	v_add_co_u32_e64 v2, s[28:29], v1, v2
	v_add_co_u32_e64 v2, s[28:29], -1, v2
; %bb.15583:                            ;   in Loop: Header=BB6_13186 Depth=3
	s_or_b64 exec, exec, s[38:39]
	v_add_u32_e32 v3, 0xffffff81, v5
	v_mov_b32_e32 v5, 0xffffff82
	v_cndmask_b32_e32 v3, v3, v5, vcc
	v_lshrrev_b32_e32 v5, 23, v1
	v_add3_u32 v22, v22, v3, v5
	v_add_u32_e32 v5, 14, v22
	v_and_b32_e32 v2, 0x1fffff, v2
	v_add_u32_e32 v1, v2, v1
	v_mov_b32_e32 v2, v33
	v_cmp_ne_u32_e32 vcc, 0, v5
                                        ; implicit-def: $vgpr3
	s_and_saveexec_b64 s[28:29], vcc
	s_xor_b64 s[28:29], exec, s[28:29]
; %bb.15584:                            ;   in Loop: Header=BB6_13186 Depth=3
	v_cmp_lt_u64_e32 vcc, s[88:89], v[1:2]
	v_add_u32_e32 v3, 15, v22
	v_cndmask_b32_e32 v3, v5, v3, vcc
	v_cndmask_b32_e64 v5, 0, 1, vcc
	v_lshrrev_b64 v[1:2], v5, v[1:2]
; %bb.15585:                            ;   in Loop: Header=BB6_13186 Depth=3
	s_andn2_saveexec_b64 s[28:29], s[28:29]
; %bb.15586:                            ;   in Loop: Header=BB6_13186 Depth=3
	v_bfe_u32 v3, v1, 23, 1
; %bb.15587:                            ;   in Loop: Header=BB6_13186 Depth=3
	s_or_b64 exec, exec, s[28:29]
	v_lshrrev_b64 v[1:2], 21, v[1:2]
	v_cmp_gt_i32_e32 vcc, 32, v3
	v_cndmask_b32_e32 v2, 0, v2, vcc
	v_cndmask_b32_e32 v1, 3, v1, vcc
	v_cmp_eq_u64_e64 s[28:29], 0, v[1:2]
	v_min_i32_e32 v2, 31, v3
	v_lshlrev_b32_e32 v2, 2, v2
	v_cmp_eq_u32_e32 vcc, 0, v3
	v_and_b32_e32 v2, 0xfc, v2
	v_and_or_b32 v1, v1, 3, v2
	s_and_b64 s[28:29], vcc, s[28:29]
	v_cndmask_b32_e64 v1, v1, 0, s[28:29]
	v_or_b32_e32 v48, v1, v21
.LBB6_15588:                            ;   in Loop: Header=BB6_13186 Depth=3
	s_or_b64 exec, exec, s[36:37]
                                        ; implicit-def: $vgpr21
.LBB6_15589:                            ;   in Loop: Header=BB6_13186 Depth=3
	s_andn2_saveexec_b64 s[28:29], s[34:35]
; %bb.15590:                            ;   in Loop: Header=BB6_13186 Depth=3
	v_or_b32_e32 v48, 0x7b, v21
; %bb.15591:                            ;   in Loop: Header=BB6_13186 Depth=3
	s_or_b64 exec, exec, s[28:29]
                                        ; implicit-def: $vgpr3
                                        ; implicit-def: $vgpr1_vgpr2
.LBB6_15592:                            ;   in Loop: Header=BB6_13186 Depth=3
	s_andn2_saveexec_b64 s[28:29], s[30:31]
	s_cbranch_execz .LBB6_15598
; %bb.15593:                            ;   in Loop: Header=BB6_13186 Depth=3
	v_cmp_ne_u64_e32 vcc, 0, v[1:2]
                                        ; implicit-def: $vgpr48
	s_and_saveexec_b64 s[62:63], vcc
	s_xor_b64 vcc, exec, s[62:63]
; %bb.15594:                            ;   in Loop: Header=BB6_13186 Depth=3
	v_or_b32_sdwa v48, v3, s44 dst_sel:DWORD dst_unused:UNUSED_PAD src0_sel:BYTE_3 src1_sel:DWORD
                                        ; implicit-def: $vgpr3
; %bb.15595:                            ;   in Loop: Header=BB6_13186 Depth=3
	s_andn2_saveexec_b64 s[30:31], vcc
; %bb.15596:                            ;   in Loop: Header=BB6_13186 Depth=3
	v_cmp_lt_i32_e32 vcc, -1, v3
	v_bfrev_b32_e32 v1, 0.5
	v_mov_b32_e32 v2, 0x7c
	v_cndmask_b32_e32 v48, v1, v2, vcc
; %bb.15597:                            ;   in Loop: Header=BB6_13186 Depth=3
	s_or_b64 exec, exec, s[30:31]
.LBB6_15598:                            ;   in Loop: Header=BB6_13186 Depth=3
	s_or_b64 exec, exec, s[28:29]
	v_lshrrev_b16_e32 v1, 8, v20
	v_cmp_ne_u16_e32 vcc, 0, v1
	v_mov_b32_e32 v3, 0
	v_mov_b32_e32 v5, 0
	s_and_saveexec_b64 s[28:29], vcc
	s_cbranch_execz .LBB6_15606
; %bb.15599:                            ;   in Loop: Header=BB6_13186 Depth=3
	v_cmp_ne_u16_e32 vcc, s97, v1
	v_bfrev_b32_e32 v5, 1
	s_and_saveexec_b64 s[30:31], vcc
	s_cbranch_execz .LBB6_15605
; %bb.15600:                            ;   in Loop: Header=BB6_13186 Depth=3
	v_and_b32_e32 v2, 0x7c, v1
	v_and_b32_e32 v21, 3, v1
	v_cmp_ne_u32_e32 vcc, s86, v2
                                        ; implicit-def: $vgpr5
	s_and_saveexec_b64 s[62:63], vcc
	s_xor_b64 s[34:35], exec, s[62:63]
	s_cbranch_execz .LBB6_15602
; %bb.15601:                            ;   in Loop: Header=BB6_13186 Depth=3
	v_ffbh_u32_e32 v22, v21
	v_min_u32_e32 v22, 32, v22
	v_mov_b32_e32 v2, v33
	v_subrev_u32_e32 v23, 29, v22
	v_bfe_u32 v5, v1, 2, 5
	v_lshlrev_b64 v[1:2], v23, v[1:2]
	v_sub_u32_e32 v2, 30, v22
	v_cmp_eq_u32_e32 vcc, 0, v5
	v_cndmask_b32_e32 v2, v5, v2, vcc
	v_lshlrev_b32_e32 v5, 16, v20
	v_and_b32_e32 v1, 3, v1
	v_and_b32_e32 v5, 0x80000000, v5
	v_cndmask_b32_e32 v1, v21, v1, vcc
	v_lshl_add_u32 v2, v2, 23, v5
	v_lshl_or_b32 v1, v1, 21, v2
	v_add_u32_e32 v5, 0x38000000, v1
                                        ; implicit-def: $vgpr21
                                        ; implicit-def: $vgpr20
.LBB6_15602:                            ;   in Loop: Header=BB6_13186 Depth=3
	s_andn2_saveexec_b64 s[34:35], s[34:35]
; %bb.15603:                            ;   in Loop: Header=BB6_13186 Depth=3
	v_cmp_lt_i16_e32 vcc, -1, v20
	v_mov_b32_e32 v1, 0xff800000
	v_mov_b32_e32 v2, 0x7f800000
	v_cndmask_b32_e32 v1, v1, v2, vcc
	v_cmp_eq_u32_e32 vcc, 0, v21
	v_mov_b32_e32 v2, 0x7f800001
	v_cndmask_b32_e32 v5, v2, v1, vcc
; %bb.15604:                            ;   in Loop: Header=BB6_13186 Depth=3
	s_or_b64 exec, exec, s[34:35]
.LBB6_15605:                            ;   in Loop: Header=BB6_13186 Depth=3
	s_or_b64 exec, exec, s[30:31]
.LBB6_15606:                            ;   in Loop: Header=BB6_13186 Depth=3
	s_or_b64 exec, exec, s[28:29]
	v_lshrrev_b16_e32 v1, 8, v16
	v_cmp_ne_u16_e32 vcc, 0, v1
	s_and_saveexec_b64 s[28:29], vcc
	s_cbranch_execz .LBB6_15614
; %bb.15607:                            ;   in Loop: Header=BB6_13186 Depth=3
	v_cmp_ne_u16_e32 vcc, s97, v1
	v_bfrev_b32_e32 v3, 1
	s_and_saveexec_b64 s[30:31], vcc
	s_cbranch_execz .LBB6_15613
; %bb.15608:                            ;   in Loop: Header=BB6_13186 Depth=3
	v_and_b32_e32 v2, 0x7c, v1
	v_and_b32_e32 v20, 3, v1
	v_cmp_ne_u32_e32 vcc, s86, v2
                                        ; implicit-def: $vgpr3
	s_and_saveexec_b64 s[62:63], vcc
	s_xor_b64 s[34:35], exec, s[62:63]
	s_cbranch_execz .LBB6_15610
; %bb.15609:                            ;   in Loop: Header=BB6_13186 Depth=3
	v_ffbh_u32_e32 v21, v20
	v_min_u32_e32 v21, 32, v21
	v_mov_b32_e32 v2, v33
	v_subrev_u32_e32 v22, 29, v21
	v_bfe_u32 v3, v1, 2, 5
	v_lshlrev_b64 v[1:2], v22, v[1:2]
	v_sub_u32_e32 v2, 30, v21
	v_cmp_eq_u32_e32 vcc, 0, v3
	v_cndmask_b32_e32 v2, v3, v2, vcc
	v_lshlrev_b32_e32 v3, 16, v16
	v_and_b32_e32 v1, 3, v1
	v_and_b32_e32 v3, 0x80000000, v3
	v_cndmask_b32_e32 v1, v20, v1, vcc
	v_lshl_add_u32 v2, v2, 23, v3
	v_lshl_or_b32 v1, v1, 21, v2
	v_add_u32_e32 v3, 0x38000000, v1
                                        ; implicit-def: $vgpr20
.LBB6_15610:                            ;   in Loop: Header=BB6_13186 Depth=3
	s_andn2_saveexec_b64 s[34:35], s[34:35]
; %bb.15611:                            ;   in Loop: Header=BB6_13186 Depth=3
	v_cmp_lt_i16_e32 vcc, -1, v16
	v_mov_b32_e32 v1, 0xff800000
	v_mov_b32_e32 v2, 0x7f800000
	v_cndmask_b32_e32 v1, v1, v2, vcc
	v_cmp_eq_u32_e32 vcc, 0, v20
	v_mov_b32_e32 v2, 0x7f800001
	v_cndmask_b32_e32 v3, v2, v1, vcc
; %bb.15612:                            ;   in Loop: Header=BB6_13186 Depth=3
	s_or_b64 exec, exec, s[34:35]
.LBB6_15613:                            ;   in Loop: Header=BB6_13186 Depth=3
	s_or_b64 exec, exec, s[30:31]
.LBB6_15614:                            ;   in Loop: Header=BB6_13186 Depth=3
	s_or_b64 exec, exec, s[28:29]
	v_add_f32_e32 v3, v5, v3
	v_and_b32_e32 v20, 0x7f800000, v3
	v_mov_b32_e32 v21, v33
	v_cmp_ne_u64_e32 vcc, s[76:77], v[20:21]
	v_and_b32_e32 v1, 0x7fffff, v3
	v_mov_b32_e32 v2, v33
                                        ; implicit-def: $vgpr5
                                        ; kill: killed $vgpr5
	s_and_saveexec_b64 s[28:29], vcc
	s_xor_b64 s[30:31], exec, s[28:29]
	s_cbranch_execz .LBB6_15628
; %bb.15615:                            ;   in Loop: Header=BB6_13186 Depth=3
	v_and_b32_e32 v20, 0x7fffffff, v3
	v_mov_b32_e32 v21, v33
	v_cmp_gt_u64_e32 vcc, s[78:79], v[20:21]
	v_and_b32_sdwa v20, v3, s97 dst_sel:DWORD dst_unused:UNUSED_PAD src0_sel:BYTE_3 src1_sel:DWORD
                                        ; implicit-def: $vgpr5
                                        ; kill: killed $vgpr5
	s_and_saveexec_b64 s[28:29], vcc
	s_xor_b64 s[34:35], exec, s[28:29]
	s_cbranch_execz .LBB6_15625
; %bb.15616:                            ;   in Loop: Header=BB6_13186 Depth=3
	v_mov_b32_e32 v5, 0
	v_cmp_ne_u32_e32 vcc, 0, v3
	buffer_store_dword v5, off, s[0:3], s33 offset:364 ; 4-byte Folded Spill
	s_and_saveexec_b64 s[36:37], vcc
	s_cbranch_execz .LBB6_15624
; %bb.15617:                            ;   in Loop: Header=BB6_13186 Depth=3
	v_bfe_u32 v5, v3, 23, 8
	v_cmp_gt_u32_e64 s[28:29], s47, v5
	v_sub_u32_e32 v3, 0x71, v5
	v_cmp_eq_u32_e32 vcc, 0, v5
	v_cndmask_b32_e64 v3, 0, v3, s[28:29]
	v_mov_b32_e32 v21, 0x70
	v_cndmask_b32_e32 v21, v3, v21, vcc
	v_or_b32_e32 v22, 0x800000, v1
	v_add_u32_e32 v3, 21, v21
	v_cndmask_b32_e32 v1, v22, v1, vcc
	v_lshlrev_b64 v[22:23], v3, -1
	v_add_u32_e32 v3, 20, v21
	v_bfi_b32 v22, v22, 0, v1
	v_lshlrev_b64 v[31:32], v3, 1
	v_lshrrev_b64 v[1:2], v21, v[1:2]
	v_bfi_b32 v23, v23, 0, 0
	v_cmp_eq_u64_e64 s[28:29], v[22:23], v[31:32]
	v_mov_b32_e32 v3, v2
	v_mov_b32_e32 v2, v1
	s_and_saveexec_b64 s[38:39], s[28:29]
; %bb.15618:                            ;   in Loop: Header=BB6_13186 Depth=3
	v_bfe_u32 v2, v1, 21, 1
	v_add_co_u32_e64 v2, s[28:29], v1, v2
	v_add_co_u32_e64 v2, s[28:29], -1, v2
; %bb.15619:                            ;   in Loop: Header=BB6_13186 Depth=3
	s_or_b64 exec, exec, s[38:39]
	v_add_u32_e32 v3, 0xffffff81, v5
	v_mov_b32_e32 v5, 0xffffff82
	v_cndmask_b32_e32 v3, v3, v5, vcc
	v_lshrrev_b32_e32 v5, 23, v1
	v_add3_u32 v21, v21, v3, v5
	v_add_u32_e32 v5, 14, v21
	v_and_b32_e32 v2, 0x1fffff, v2
	v_add_u32_e32 v1, v2, v1
	v_mov_b32_e32 v2, v33
	v_cmp_ne_u32_e32 vcc, 0, v5
                                        ; implicit-def: $vgpr3
	s_and_saveexec_b64 s[28:29], vcc
	s_xor_b64 s[28:29], exec, s[28:29]
; %bb.15620:                            ;   in Loop: Header=BB6_13186 Depth=3
	v_cmp_lt_u64_e32 vcc, s[88:89], v[1:2]
	v_add_u32_e32 v3, 15, v21
	v_cndmask_b32_e32 v3, v5, v3, vcc
	v_cndmask_b32_e64 v5, 0, 1, vcc
	v_lshrrev_b64 v[1:2], v5, v[1:2]
; %bb.15621:                            ;   in Loop: Header=BB6_13186 Depth=3
	s_andn2_saveexec_b64 s[28:29], s[28:29]
; %bb.15622:                            ;   in Loop: Header=BB6_13186 Depth=3
	v_bfe_u32 v3, v1, 23, 1
; %bb.15623:                            ;   in Loop: Header=BB6_13186 Depth=3
	s_or_b64 exec, exec, s[28:29]
	v_lshrrev_b64 v[1:2], 21, v[1:2]
	v_cmp_gt_i32_e32 vcc, 32, v3
	v_cndmask_b32_e32 v2, 0, v2, vcc
	v_cndmask_b32_e32 v1, 3, v1, vcc
	v_cmp_eq_u64_e64 s[28:29], 0, v[1:2]
	v_min_i32_e32 v2, 31, v3
	v_lshlrev_b32_e32 v2, 2, v2
	v_cmp_eq_u32_e32 vcc, 0, v3
	v_and_b32_e32 v2, 0xfc, v2
	v_and_or_b32 v1, v1, 3, v2
	s_and_b64 s[28:29], vcc, s[28:29]
	v_cndmask_b32_e64 v1, v1, 0, s[28:29]
	v_or_b32_e32 v1, v1, v20
	buffer_store_dword v1, off, s[0:3], s33 offset:364 ; 4-byte Folded Spill
.LBB6_15624:                            ;   in Loop: Header=BB6_13186 Depth=3
	s_or_b64 exec, exec, s[36:37]
                                        ; implicit-def: $vgpr20
.LBB6_15625:                            ;   in Loop: Header=BB6_13186 Depth=3
	s_andn2_saveexec_b64 s[28:29], s[34:35]
	s_cbranch_execz .LBB6_15627
; %bb.15626:                            ;   in Loop: Header=BB6_13186 Depth=3
	v_or_b32_e32 v1, 0x7b, v20
	buffer_store_dword v1, off, s[0:3], s33 offset:364 ; 4-byte Folded Spill
.LBB6_15627:                            ;   in Loop: Header=BB6_13186 Depth=3
	s_or_b64 exec, exec, s[28:29]
                                        ; implicit-def: $vgpr3
                                        ; implicit-def: $vgpr1_vgpr2
.LBB6_15628:                            ;   in Loop: Header=BB6_13186 Depth=3
	s_andn2_saveexec_b64 s[28:29], s[30:31]
	s_cbranch_execz .LBB6_15634
; %bb.15629:                            ;   in Loop: Header=BB6_13186 Depth=3
	v_cmp_ne_u64_e32 vcc, 0, v[1:2]
                                        ; implicit-def: $vgpr1
                                        ; kill: killed $vgpr1
	s_and_saveexec_b64 s[62:63], vcc
	s_xor_b64 vcc, exec, s[62:63]
	s_cbranch_execz .LBB6_15631
; %bb.15630:                            ;   in Loop: Header=BB6_13186 Depth=3
	v_or_b32_sdwa v1, v3, s44 dst_sel:DWORD dst_unused:UNUSED_PAD src0_sel:BYTE_3 src1_sel:DWORD
	buffer_store_dword v1, off, s[0:3], s33 offset:364 ; 4-byte Folded Spill
                                        ; implicit-def: $vgpr3
.LBB6_15631:                            ;   in Loop: Header=BB6_13186 Depth=3
	s_andn2_saveexec_b64 s[30:31], vcc
	s_cbranch_execz .LBB6_15633
; %bb.15632:                            ;   in Loop: Header=BB6_13186 Depth=3
	v_cmp_lt_i32_e32 vcc, -1, v3
	v_bfrev_b32_e32 v1, 0.5
	v_mov_b32_e32 v2, 0x7c
	v_cndmask_b32_e32 v1, v1, v2, vcc
	buffer_store_dword v1, off, s[0:3], s33 offset:364 ; 4-byte Folded Spill
.LBB6_15633:                            ;   in Loop: Header=BB6_13186 Depth=3
	s_or_b64 exec, exec, s[30:31]
.LBB6_15634:                            ;   in Loop: Header=BB6_13186 Depth=3
	s_or_b64 exec, exec, s[28:29]
	v_and_b32_sdwa v5, v0, s96 dst_sel:DWORD dst_unused:UNUSED_PAD src0_sel:WORD_1 src1_sel:DWORD
	v_lshrrev_b32_e32 v1, 16, v0
	v_cmp_ne_u16_e32 vcc, 0, v5
	v_mov_b32_e32 v2, 0
	v_mov_b32_e32 v3, 0
	s_and_saveexec_b64 s[28:29], vcc
	s_cbranch_execz .LBB6_15642
; %bb.15635:                            ;   in Loop: Header=BB6_13186 Depth=3
	v_cmp_ne_u16_e32 vcc, s97, v5
	v_bfrev_b32_e32 v3, 1
	s_and_saveexec_b64 s[30:31], vcc
	s_cbranch_execz .LBB6_15641
; %bb.15636:                            ;   in Loop: Header=BB6_13186 Depth=3
	v_and_b32_e32 v3, 0x7c0000, v0
	v_bfe_u32 v5, v0, 16, 2
	v_cmp_ne_u32_e32 vcc, s45, v3
                                        ; implicit-def: $vgpr3
	s_and_saveexec_b64 s[62:63], vcc
	s_xor_b64 s[34:35], exec, s[62:63]
	s_cbranch_execz .LBB6_15638
; %bb.15637:                            ;   in Loop: Header=BB6_13186 Depth=3
	v_ffbh_u32_e32 v20, v5
	v_min_u32_e32 v22, 32, v20
	v_subrev_u32_e32 v20, 29, v22
	v_lshlrev_b64 v[20:21], v20, v[1:2]
	v_bfe_u32 v3, v0, 18, 5
	v_sub_u32_e32 v1, 30, v22
	v_and_b32_e32 v20, 3, v20
	v_cmp_eq_u32_e32 vcc, 0, v3
	v_cndmask_b32_e32 v1, v3, v1, vcc
	v_cndmask_b32_e32 v3, v5, v20, vcc
	v_lshlrev_b32_e32 v5, 8, v0
	v_and_b32_e32 v5, 0x80000000, v5
	v_lshl_add_u32 v1, v1, 23, v5
	v_lshl_or_b32 v1, v3, 21, v1
	v_add_u32_e32 v3, 0x38000000, v1
                                        ; implicit-def: $vgpr5
                                        ; implicit-def: $vgpr1
.LBB6_15638:                            ;   in Loop: Header=BB6_13186 Depth=3
	s_andn2_saveexec_b64 s[34:35], s[34:35]
; %bb.15639:                            ;   in Loop: Header=BB6_13186 Depth=3
	v_mov_b32_e32 v3, -1
	v_cmp_gt_i16_sdwa vcc, sext(v1), v3 src0_sel:BYTE_0 src1_sel:DWORD
	v_mov_b32_e32 v1, 0xff800000
	v_mov_b32_e32 v3, 0x7f800000
	v_cndmask_b32_e32 v1, v1, v3, vcc
	v_cmp_eq_u32_e32 vcc, 0, v5
	v_mov_b32_e32 v3, 0x7f800001
	v_cndmask_b32_e32 v3, v3, v1, vcc
; %bb.15640:                            ;   in Loop: Header=BB6_13186 Depth=3
	s_or_b64 exec, exec, s[34:35]
.LBB6_15641:                            ;   in Loop: Header=BB6_13186 Depth=3
	s_or_b64 exec, exec, s[30:31]
.LBB6_15642:                            ;   in Loop: Header=BB6_13186 Depth=3
	s_or_b64 exec, exec, s[28:29]
	v_lshrrev_b32_e32 v1, 16, v16
	v_cmp_ne_u16_sdwa s[62:63], v1, v33 src0_sel:BYTE_0 src1_sel:DWORD
	s_and_saveexec_b64 s[28:29], s[62:63]
	s_cbranch_execz .LBB6_15650
; %bb.15643:                            ;   in Loop: Header=BB6_13186 Depth=3
	v_cmp_ne_u16_sdwa s[62:63], v1, s97 src0_sel:BYTE_0 src1_sel:DWORD
	v_bfrev_b32_e32 v2, 1
	s_and_saveexec_b64 s[30:31], s[62:63]
	s_cbranch_execz .LBB6_15649
; %bb.15644:                            ;   in Loop: Header=BB6_13186 Depth=3
	v_and_b32_e32 v2, 0x7c0000, v16
	v_bfe_u32 v5, v16, 16, 2
	v_cmp_ne_u32_e32 vcc, s45, v2
                                        ; implicit-def: $vgpr2
	s_and_saveexec_b64 s[62:63], vcc
	s_xor_b64 s[34:35], exec, s[62:63]
	s_cbranch_execz .LBB6_15646
; %bb.15645:                            ;   in Loop: Header=BB6_13186 Depth=3
	v_ffbh_u32_e32 v2, v5
	v_min_u32_e32 v21, 32, v2
	v_subrev_u32_e32 v2, 29, v21
	v_lshlrev_b64 v[1:2], v2, v[1:2]
	v_bfe_u32 v20, v16, 18, 5
	v_and_b32_e32 v1, 3, v1
	v_cmp_eq_u32_e32 vcc, 0, v20
	v_sub_u32_e32 v2, 30, v21
	v_cndmask_b32_e32 v1, v5, v1, vcc
	v_lshlrev_b32_e32 v5, 8, v16
	v_cndmask_b32_e32 v2, v20, v2, vcc
	v_and_b32_e32 v5, 0x80000000, v5
	v_lshl_add_u32 v2, v2, 23, v5
	v_lshl_or_b32 v1, v1, 21, v2
	v_add_u32_e32 v2, 0x38000000, v1
                                        ; implicit-def: $vgpr5
                                        ; implicit-def: $vgpr1
.LBB6_15646:                            ;   in Loop: Header=BB6_13186 Depth=3
	s_andn2_saveexec_b64 s[34:35], s[34:35]
; %bb.15647:                            ;   in Loop: Header=BB6_13186 Depth=3
	v_mov_b32_e32 v2, -1
	v_cmp_gt_i16_sdwa vcc, sext(v1), v2 src0_sel:BYTE_0 src1_sel:DWORD
	v_mov_b32_e32 v1, 0xff800000
	v_mov_b32_e32 v2, 0x7f800000
	v_cndmask_b32_e32 v1, v1, v2, vcc
	v_cmp_eq_u32_e32 vcc, 0, v5
	v_mov_b32_e32 v2, 0x7f800001
	v_cndmask_b32_e32 v2, v2, v1, vcc
; %bb.15648:                            ;   in Loop: Header=BB6_13186 Depth=3
	s_or_b64 exec, exec, s[34:35]
.LBB6_15649:                            ;   in Loop: Header=BB6_13186 Depth=3
	s_or_b64 exec, exec, s[30:31]
.LBB6_15650:                            ;   in Loop: Header=BB6_13186 Depth=3
	s_or_b64 exec, exec, s[28:29]
	v_add_f32_e32 v3, v3, v2
	v_and_b32_e32 v20, 0x7f800000, v3
	v_mov_b32_e32 v21, v33
	v_cmp_ne_u64_e32 vcc, s[76:77], v[20:21]
	v_and_b32_e32 v1, 0x7fffff, v3
	v_mov_b32_e32 v2, v33
                                        ; implicit-def: $vgpr5
                                        ; kill: killed $vgpr5
	s_and_saveexec_b64 s[28:29], vcc
	s_xor_b64 s[30:31], exec, s[28:29]
	s_cbranch_execz .LBB6_15664
; %bb.15651:                            ;   in Loop: Header=BB6_13186 Depth=3
	v_and_b32_e32 v20, 0x7fffffff, v3
	v_mov_b32_e32 v21, v33
	v_cmp_gt_u64_e32 vcc, s[78:79], v[20:21]
	v_and_b32_sdwa v20, v3, s97 dst_sel:DWORD dst_unused:UNUSED_PAD src0_sel:BYTE_3 src1_sel:DWORD
                                        ; implicit-def: $vgpr5
                                        ; kill: killed $vgpr5
	s_and_saveexec_b64 s[28:29], vcc
	s_xor_b64 s[34:35], exec, s[28:29]
	s_cbranch_execz .LBB6_15661
; %bb.15652:                            ;   in Loop: Header=BB6_13186 Depth=3
	v_mov_b32_e32 v5, 0
	v_cmp_ne_u32_e32 vcc, 0, v3
	buffer_store_dword v5, off, s[0:3], s33 offset:376 ; 4-byte Folded Spill
	s_and_saveexec_b64 s[36:37], vcc
	s_cbranch_execz .LBB6_15660
; %bb.15653:                            ;   in Loop: Header=BB6_13186 Depth=3
	v_bfe_u32 v5, v3, 23, 8
	v_cmp_gt_u32_e64 s[28:29], s47, v5
	v_sub_u32_e32 v3, 0x71, v5
	v_cmp_eq_u32_e32 vcc, 0, v5
	v_cndmask_b32_e64 v3, 0, v3, s[28:29]
	v_mov_b32_e32 v21, 0x70
	v_cndmask_b32_e32 v21, v3, v21, vcc
	v_or_b32_e32 v22, 0x800000, v1
	v_add_u32_e32 v3, 21, v21
	v_cndmask_b32_e32 v1, v22, v1, vcc
	v_lshlrev_b64 v[22:23], v3, -1
	v_add_u32_e32 v3, 20, v21
	v_bfi_b32 v22, v22, 0, v1
	v_lshlrev_b64 v[31:32], v3, 1
	v_lshrrev_b64 v[1:2], v21, v[1:2]
	v_bfi_b32 v23, v23, 0, 0
	v_cmp_eq_u64_e64 s[28:29], v[22:23], v[31:32]
	v_mov_b32_e32 v3, v2
	v_mov_b32_e32 v2, v1
	s_and_saveexec_b64 s[38:39], s[28:29]
; %bb.15654:                            ;   in Loop: Header=BB6_13186 Depth=3
	v_bfe_u32 v2, v1, 21, 1
	v_add_co_u32_e64 v2, s[28:29], v1, v2
	v_add_co_u32_e64 v2, s[28:29], -1, v2
; %bb.15655:                            ;   in Loop: Header=BB6_13186 Depth=3
	s_or_b64 exec, exec, s[38:39]
	v_add_u32_e32 v3, 0xffffff81, v5
	v_mov_b32_e32 v5, 0xffffff82
	v_cndmask_b32_e32 v3, v3, v5, vcc
	v_lshrrev_b32_e32 v5, 23, v1
	v_add3_u32 v21, v21, v3, v5
	v_add_u32_e32 v5, 14, v21
	v_and_b32_e32 v2, 0x1fffff, v2
	v_add_u32_e32 v1, v2, v1
	v_mov_b32_e32 v2, v33
	v_cmp_ne_u32_e32 vcc, 0, v5
                                        ; implicit-def: $vgpr3
	s_and_saveexec_b64 s[28:29], vcc
	s_xor_b64 s[28:29], exec, s[28:29]
; %bb.15656:                            ;   in Loop: Header=BB6_13186 Depth=3
	v_cmp_lt_u64_e32 vcc, s[88:89], v[1:2]
	v_add_u32_e32 v3, 15, v21
	v_cndmask_b32_e32 v3, v5, v3, vcc
	v_cndmask_b32_e64 v5, 0, 1, vcc
	v_lshrrev_b64 v[1:2], v5, v[1:2]
; %bb.15657:                            ;   in Loop: Header=BB6_13186 Depth=3
	s_andn2_saveexec_b64 s[28:29], s[28:29]
; %bb.15658:                            ;   in Loop: Header=BB6_13186 Depth=3
	v_bfe_u32 v3, v1, 23, 1
; %bb.15659:                            ;   in Loop: Header=BB6_13186 Depth=3
	s_or_b64 exec, exec, s[28:29]
	v_lshrrev_b64 v[1:2], 21, v[1:2]
	v_cmp_gt_i32_e32 vcc, 32, v3
	v_cndmask_b32_e32 v2, 0, v2, vcc
	v_cndmask_b32_e32 v1, 3, v1, vcc
	v_cmp_eq_u64_e64 s[28:29], 0, v[1:2]
	v_min_i32_e32 v2, 31, v3
	v_lshlrev_b32_e32 v2, 2, v2
	v_cmp_eq_u32_e32 vcc, 0, v3
	v_and_b32_e32 v2, 0xfc, v2
	v_and_or_b32 v1, v1, 3, v2
	s_and_b64 s[28:29], vcc, s[28:29]
	v_cndmask_b32_e64 v1, v1, 0, s[28:29]
	v_or_b32_e32 v1, v1, v20
	buffer_store_dword v1, off, s[0:3], s33 offset:376 ; 4-byte Folded Spill
.LBB6_15660:                            ;   in Loop: Header=BB6_13186 Depth=3
	s_or_b64 exec, exec, s[36:37]
                                        ; implicit-def: $vgpr20
.LBB6_15661:                            ;   in Loop: Header=BB6_13186 Depth=3
	s_andn2_saveexec_b64 s[28:29], s[34:35]
	s_cbranch_execz .LBB6_15663
; %bb.15662:                            ;   in Loop: Header=BB6_13186 Depth=3
	v_or_b32_e32 v1, 0x7b, v20
	buffer_store_dword v1, off, s[0:3], s33 offset:376 ; 4-byte Folded Spill
.LBB6_15663:                            ;   in Loop: Header=BB6_13186 Depth=3
	s_or_b64 exec, exec, s[28:29]
                                        ; implicit-def: $vgpr3
                                        ; implicit-def: $vgpr1_vgpr2
.LBB6_15664:                            ;   in Loop: Header=BB6_13186 Depth=3
	s_andn2_saveexec_b64 s[28:29], s[30:31]
	s_cbranch_execz .LBB6_15670
; %bb.15665:                            ;   in Loop: Header=BB6_13186 Depth=3
	v_cmp_ne_u64_e32 vcc, 0, v[1:2]
                                        ; implicit-def: $vgpr1
                                        ; kill: killed $vgpr1
	s_and_saveexec_b64 s[62:63], vcc
	s_xor_b64 vcc, exec, s[62:63]
	s_cbranch_execz .LBB6_15667
; %bb.15666:                            ;   in Loop: Header=BB6_13186 Depth=3
	v_or_b32_sdwa v1, v3, s44 dst_sel:DWORD dst_unused:UNUSED_PAD src0_sel:BYTE_3 src1_sel:DWORD
	buffer_store_dword v1, off, s[0:3], s33 offset:376 ; 4-byte Folded Spill
                                        ; implicit-def: $vgpr3
.LBB6_15667:                            ;   in Loop: Header=BB6_13186 Depth=3
	s_andn2_saveexec_b64 s[30:31], vcc
	s_cbranch_execz .LBB6_15669
; %bb.15668:                            ;   in Loop: Header=BB6_13186 Depth=3
	v_cmp_lt_i32_e32 vcc, -1, v3
	v_bfrev_b32_e32 v1, 0.5
	v_mov_b32_e32 v2, 0x7c
	v_cndmask_b32_e32 v1, v1, v2, vcc
	buffer_store_dword v1, off, s[0:3], s33 offset:376 ; 4-byte Folded Spill
.LBB6_15669:                            ;   in Loop: Header=BB6_13186 Depth=3
	s_or_b64 exec, exec, s[30:31]
.LBB6_15670:                            ;   in Loop: Header=BB6_13186 Depth=3
	s_or_b64 exec, exec, s[28:29]
	v_cmp_lt_u32_e32 vcc, s57, v0
	v_mov_b32_e32 v2, 0
	v_mov_b32_e32 v3, 0
	s_and_saveexec_b64 s[28:29], vcc
	s_cbranch_execz .LBB6_15678
; %bb.15671:                            ;   in Loop: Header=BB6_13186 Depth=3
	v_lshrrev_b32_e32 v1, 24, v0
	v_cmp_ne_u32_e32 vcc, s97, v1
	v_bfrev_b32_e32 v3, 1
	s_and_saveexec_b64 s[30:31], vcc
	s_cbranch_execz .LBB6_15677
; %bb.15672:                            ;   in Loop: Header=BB6_13186 Depth=3
	v_and_b32_e32 v3, 0x7c000000, v0
	v_bfe_u32 v5, v0, 24, 2
	v_cmp_ne_u32_e32 vcc, s68, v3
                                        ; implicit-def: $vgpr3
	s_and_saveexec_b64 s[62:63], vcc
	s_xor_b64 s[34:35], exec, s[62:63]
	s_cbranch_execz .LBB6_15674
; %bb.15673:                            ;   in Loop: Header=BB6_13186 Depth=3
	v_ffbh_u32_e32 v20, v5
	v_min_u32_e32 v22, 32, v20
	v_subrev_u32_e32 v20, 29, v22
	v_bfe_u32 v3, v0, 26, 5
	v_lshlrev_b64 v[20:21], v20, v[1:2]
	v_sub_u32_e32 v1, 30, v22
	v_cmp_eq_u32_e32 vcc, 0, v3
	v_and_b32_e32 v20, 3, v20
	v_cndmask_b32_e32 v1, v3, v1, vcc
	v_and_b32_e32 v0, 0x80000000, v0
	v_cndmask_b32_e32 v3, v5, v20, vcc
	v_lshl_add_u32 v0, v1, 23, v0
	v_lshl_or_b32 v0, v3, 21, v0
	v_add_u32_e32 v3, 0x38000000, v0
                                        ; implicit-def: $vgpr5
                                        ; implicit-def: $vgpr0_vgpr1
.LBB6_15674:                            ;   in Loop: Header=BB6_13186 Depth=3
	s_andn2_saveexec_b64 s[34:35], s[34:35]
; %bb.15675:                            ;   in Loop: Header=BB6_13186 Depth=3
	v_cmp_lt_i32_e32 vcc, -1, v0
	v_mov_b32_e32 v0, 0xff800000
	v_mov_b32_e32 v1, 0x7f800000
	v_cndmask_b32_e32 v0, v0, v1, vcc
	v_cmp_eq_u32_e32 vcc, 0, v5
	v_mov_b32_e32 v1, 0x7f800001
	v_cndmask_b32_e32 v3, v1, v0, vcc
; %bb.15676:                            ;   in Loop: Header=BB6_13186 Depth=3
	s_or_b64 exec, exec, s[34:35]
.LBB6_15677:                            ;   in Loop: Header=BB6_13186 Depth=3
	s_or_b64 exec, exec, s[30:31]
.LBB6_15678:                            ;   in Loop: Header=BB6_13186 Depth=3
	s_or_b64 exec, exec, s[28:29]
	v_cmp_lt_u32_e32 vcc, s57, v16
	s_and_saveexec_b64 s[28:29], vcc
	s_cbranch_execz .LBB6_15686
; %bb.15679:                            ;   in Loop: Header=BB6_13186 Depth=3
	v_lshrrev_b32_e32 v0, 24, v16
	v_cmp_ne_u32_e32 vcc, s97, v0
	v_bfrev_b32_e32 v2, 1
	s_and_saveexec_b64 s[30:31], vcc
	s_cbranch_execz .LBB6_15685
; %bb.15680:                            ;   in Loop: Header=BB6_13186 Depth=3
	v_and_b32_e32 v2, 0x7c000000, v16
	v_bfe_u32 v1, v16, 24, 2
	v_cmp_ne_u32_e32 vcc, s68, v2
                                        ; implicit-def: $vgpr2
	s_and_saveexec_b64 s[62:63], vcc
	s_xor_b64 s[34:35], exec, s[62:63]
	s_cbranch_execz .LBB6_15682
; %bb.15681:                            ;   in Loop: Header=BB6_13186 Depth=3
	v_ffbh_u32_e32 v5, v1
	v_min_u32_e32 v5, 32, v5
	v_subrev_u32_e32 v20, 29, v5
	v_bfe_u32 v2, v16, 26, 5
	v_lshlrev_b64 v[20:21], v20, v[0:1]
	v_sub_u32_e32 v0, 30, v5
	v_cmp_eq_u32_e32 vcc, 0, v2
	v_and_b32_e32 v5, 3, v20
	v_cndmask_b32_e32 v0, v2, v0, vcc
	v_and_b32_e32 v2, 0x80000000, v16
	v_cndmask_b32_e32 v1, v1, v5, vcc
	v_lshl_add_u32 v0, v0, 23, v2
	v_lshl_or_b32 v0, v1, 21, v0
	v_add_u32_e32 v2, 0x38000000, v0
                                        ; implicit-def: $vgpr1
.LBB6_15682:                            ;   in Loop: Header=BB6_13186 Depth=3
	s_andn2_saveexec_b64 s[34:35], s[34:35]
; %bb.15683:                            ;   in Loop: Header=BB6_13186 Depth=3
	v_cmp_lt_i32_e32 vcc, -1, v16
	v_mov_b32_e32 v0, 0xff800000
	v_mov_b32_e32 v2, 0x7f800000
	v_cndmask_b32_e32 v0, v0, v2, vcc
	v_cmp_eq_u32_e32 vcc, 0, v1
	v_mov_b32_e32 v1, 0x7f800001
	v_cndmask_b32_e32 v2, v1, v0, vcc
; %bb.15684:                            ;   in Loop: Header=BB6_13186 Depth=3
	s_or_b64 exec, exec, s[34:35]
.LBB6_15685:                            ;   in Loop: Header=BB6_13186 Depth=3
	s_or_b64 exec, exec, s[30:31]
.LBB6_15686:                            ;   in Loop: Header=BB6_13186 Depth=3
	s_or_b64 exec, exec, s[28:29]
	v_add_f32_e32 v2, v3, v2
	v_and_b32_e32 v20, 0x7f800000, v2
	v_mov_b32_e32 v21, v33
	v_cmp_ne_u64_e32 vcc, s[76:77], v[20:21]
	v_and_b32_e32 v0, 0x7fffff, v2
	v_mov_b32_e32 v1, v33
                                        ; implicit-def: $vgpr3
                                        ; kill: killed $vgpr3
	s_and_saveexec_b64 s[28:29], vcc
	s_xor_b64 s[30:31], exec, s[28:29]
	s_cbranch_execz .LBB6_15700
; %bb.15687:                            ;   in Loop: Header=BB6_13186 Depth=3
	v_and_b32_e32 v20, 0x7fffffff, v2
	v_mov_b32_e32 v21, v33
	v_cmp_gt_u64_e32 vcc, s[78:79], v[20:21]
	v_and_b32_sdwa v3, v2, s97 dst_sel:DWORD dst_unused:UNUSED_PAD src0_sel:BYTE_3 src1_sel:DWORD
                                        ; implicit-def: $vgpr5
                                        ; kill: killed $vgpr5
	s_and_saveexec_b64 s[28:29], vcc
	s_xor_b64 s[34:35], exec, s[28:29]
	s_cbranch_execz .LBB6_15697
; %bb.15688:                            ;   in Loop: Header=BB6_13186 Depth=3
	v_mov_b32_e32 v5, 0
	v_cmp_ne_u32_e32 vcc, 0, v2
	buffer_store_dword v5, off, s[0:3], s33 offset:384 ; 4-byte Folded Spill
	s_and_saveexec_b64 s[36:37], vcc
	s_cbranch_execz .LBB6_15696
; %bb.15689:                            ;   in Loop: Header=BB6_13186 Depth=3
	v_bfe_u32 v5, v2, 23, 8
	v_cmp_gt_u32_e64 s[28:29], s47, v5
	v_sub_u32_e32 v2, 0x71, v5
	v_cmp_eq_u32_e32 vcc, 0, v5
	v_cndmask_b32_e64 v2, 0, v2, s[28:29]
	v_mov_b32_e32 v20, 0x70
	v_cndmask_b32_e32 v20, v2, v20, vcc
	v_or_b32_e32 v21, 0x800000, v0
	v_add_u32_e32 v2, 21, v20
	v_cndmask_b32_e32 v0, v21, v0, vcc
	v_lshlrev_b64 v[21:22], v2, -1
	v_add_u32_e32 v2, 20, v20
	v_bfi_b32 v21, v21, 0, v0
	v_lshlrev_b64 v[31:32], v2, 1
	v_lshrrev_b64 v[0:1], v20, v[0:1]
	v_bfi_b32 v22, v22, 0, 0
	v_cmp_eq_u64_e64 s[28:29], v[21:22], v[31:32]
	v_mov_b32_e32 v2, v1
	v_mov_b32_e32 v1, v0
	s_and_saveexec_b64 s[38:39], s[28:29]
; %bb.15690:                            ;   in Loop: Header=BB6_13186 Depth=3
	v_bfe_u32 v1, v0, 21, 1
	v_add_co_u32_e64 v1, s[28:29], v0, v1
	v_add_co_u32_e64 v1, s[28:29], -1, v1
; %bb.15691:                            ;   in Loop: Header=BB6_13186 Depth=3
	s_or_b64 exec, exec, s[38:39]
	v_add_u32_e32 v2, 0xffffff81, v5
	v_mov_b32_e32 v5, 0xffffff82
	v_cndmask_b32_e32 v2, v2, v5, vcc
	v_lshrrev_b32_e32 v5, 23, v0
	v_add3_u32 v20, v20, v2, v5
	v_add_u32_e32 v5, 14, v20
	v_and_b32_e32 v1, 0x1fffff, v1
	v_add_u32_e32 v0, v1, v0
	v_mov_b32_e32 v1, v33
	v_cmp_ne_u32_e32 vcc, 0, v5
                                        ; implicit-def: $vgpr2
	s_and_saveexec_b64 s[28:29], vcc
	s_xor_b64 s[28:29], exec, s[28:29]
; %bb.15692:                            ;   in Loop: Header=BB6_13186 Depth=3
	v_cmp_lt_u64_e32 vcc, s[88:89], v[0:1]
	v_add_u32_e32 v2, 15, v20
	v_cndmask_b32_e32 v2, v5, v2, vcc
	v_cndmask_b32_e64 v5, 0, 1, vcc
	v_lshrrev_b64 v[0:1], v5, v[0:1]
; %bb.15693:                            ;   in Loop: Header=BB6_13186 Depth=3
	s_andn2_saveexec_b64 s[28:29], s[28:29]
; %bb.15694:                            ;   in Loop: Header=BB6_13186 Depth=3
	v_bfe_u32 v2, v0, 23, 1
; %bb.15695:                            ;   in Loop: Header=BB6_13186 Depth=3
	s_or_b64 exec, exec, s[28:29]
	v_lshrrev_b64 v[0:1], 21, v[0:1]
	v_cmp_gt_i32_e32 vcc, 32, v2
	v_cndmask_b32_e32 v1, 0, v1, vcc
	v_cndmask_b32_e32 v0, 3, v0, vcc
	v_cmp_eq_u64_e64 s[28:29], 0, v[0:1]
	v_min_i32_e32 v1, 31, v2
	v_lshlrev_b32_e32 v1, 2, v1
	v_cmp_eq_u32_e32 vcc, 0, v2
	v_and_b32_e32 v1, 0xfc, v1
	v_and_or_b32 v0, v0, 3, v1
	s_and_b64 s[28:29], vcc, s[28:29]
	v_cndmask_b32_e64 v0, v0, 0, s[28:29]
	v_or_b32_e32 v0, v0, v3
	buffer_store_dword v0, off, s[0:3], s33 offset:384 ; 4-byte Folded Spill
.LBB6_15696:                            ;   in Loop: Header=BB6_13186 Depth=3
	s_or_b64 exec, exec, s[36:37]
                                        ; implicit-def: $vgpr3
.LBB6_15697:                            ;   in Loop: Header=BB6_13186 Depth=3
	s_andn2_saveexec_b64 s[28:29], s[34:35]
	s_cbranch_execz .LBB6_15699
; %bb.15698:                            ;   in Loop: Header=BB6_13186 Depth=3
	v_or_b32_e32 v0, 0x7b, v3
	buffer_store_dword v0, off, s[0:3], s33 offset:384 ; 4-byte Folded Spill
.LBB6_15699:                            ;   in Loop: Header=BB6_13186 Depth=3
	s_or_b64 exec, exec, s[28:29]
                                        ; implicit-def: $vgpr2
                                        ; implicit-def: $vgpr0_vgpr1
.LBB6_15700:                            ;   in Loop: Header=BB6_13186 Depth=3
	s_andn2_saveexec_b64 s[28:29], s[30:31]
	s_cbranch_execz .LBB6_15706
; %bb.15701:                            ;   in Loop: Header=BB6_13186 Depth=3
	v_cmp_ne_u64_e32 vcc, 0, v[0:1]
                                        ; implicit-def: $vgpr0
                                        ; kill: killed $vgpr0
	s_and_saveexec_b64 s[62:63], vcc
	s_xor_b64 vcc, exec, s[62:63]
	s_cbranch_execz .LBB6_15703
; %bb.15702:                            ;   in Loop: Header=BB6_13186 Depth=3
	v_or_b32_sdwa v0, v2, s44 dst_sel:DWORD dst_unused:UNUSED_PAD src0_sel:BYTE_3 src1_sel:DWORD
	buffer_store_dword v0, off, s[0:3], s33 offset:384 ; 4-byte Folded Spill
                                        ; implicit-def: $vgpr2
.LBB6_15703:                            ;   in Loop: Header=BB6_13186 Depth=3
	s_andn2_saveexec_b64 s[30:31], vcc
	s_cbranch_execz .LBB6_15705
; %bb.15704:                            ;   in Loop: Header=BB6_13186 Depth=3
	v_cmp_lt_i32_e32 vcc, -1, v2
	v_bfrev_b32_e32 v0, 0.5
	v_mov_b32_e32 v1, 0x7c
	v_cndmask_b32_e32 v0, v0, v1, vcc
	buffer_store_dword v0, off, s[0:3], s33 offset:384 ; 4-byte Folded Spill
.LBB6_15705:                            ;   in Loop: Header=BB6_13186 Depth=3
	s_or_b64 exec, exec, s[30:31]
.LBB6_15706:                            ;   in Loop: Header=BB6_13186 Depth=3
	s_or_b64 exec, exec, s[28:29]
	buffer_load_dword v0, off, s[0:3], s33 offset:348 ; 4-byte Folded Reload
	buffer_load_dword v1, off, s[0:3], s33 offset:372 ; 4-byte Folded Reload
	v_cmp_ne_u32_e32 vcc, 0, v49
	v_mov_b32_e32 v2, 0
	v_mov_b32_e32 v3, 0
	s_waitcnt vmcnt(1)
	v_lshl_or_b32 v20, v0, 8, v49
	buffer_load_dword v0, off, s[0:3], s33 offset:360 ; 4-byte Folded Reload
	s_waitcnt vmcnt(1)
	v_lshlrev_b32_e32 v1, 24, v1
	s_waitcnt vmcnt(0)
	v_lshlrev_b32_e32 v0, 16, v0
	v_or3_b32 v0, v0, v1, v20
	v_mov_b32_e32 v1, v33
	s_and_saveexec_b64 s[30:31], vcc
	s_cbranch_execz .LBB6_15714
; %bb.15707:                            ;   in Loop: Header=BB6_13186 Depth=3
	v_cmp_ne_u32_e32 vcc, s97, v49
	v_bfrev_b32_e32 v3, 1
	s_and_saveexec_b64 s[34:35], vcc
	s_cbranch_execz .LBB6_15713
; %bb.15708:                            ;   in Loop: Header=BB6_13186 Depth=3
	v_and_b32_e32 v3, 0x7c, v49
	v_and_b32_e32 v5, 3, v49
	v_cmp_ne_u32_e32 vcc, s86, v3
                                        ; implicit-def: $vgpr3
	s_and_saveexec_b64 s[28:29], vcc
	s_xor_b64 s[28:29], exec, s[28:29]
	s_cbranch_execz .LBB6_15710
; %bb.15709:                            ;   in Loop: Header=BB6_13186 Depth=3
	v_ffbh_u32_e32 v7, v5
	v_min_u32_e32 v7, 32, v7
	v_subrev_u32_e32 v21, 29, v7
	v_lshlrev_b64 v[21:22], v21, v[0:1]
	v_bfe_u32 v3, v49, 2, 5
	v_sub_u32_e32 v1, 30, v7
	v_and_b32_e32 v7, 3, v21
	v_cmp_eq_u32_e32 vcc, 0, v3
	v_cndmask_b32_e32 v1, v3, v1, vcc
	v_cndmask_b32_e32 v3, v5, v7, vcc
	v_lshlrev_b32_e32 v5, 24, v49
	v_and_b32_e32 v5, 0x80000000, v5
	v_lshl_add_u32 v1, v1, 23, v5
	v_lshl_or_b32 v1, v3, 21, v1
	v_add_u32_e32 v3, 0x38000000, v1
                                        ; implicit-def: $vgpr5
                                        ; implicit-def: $vgpr49
.LBB6_15710:                            ;   in Loop: Header=BB6_13186 Depth=3
	s_andn2_saveexec_b64 s[36:37], s[28:29]
; %bb.15711:                            ;   in Loop: Header=BB6_13186 Depth=3
	v_and_b32_e32 v1, 0x80, v49
	v_cmp_eq_u32_e64 s[28:29], 0, v1
	v_mov_b32_e32 v1, 0xff800000
	v_mov_b32_e32 v3, 0x7f800000
	v_cmp_eq_u32_e32 vcc, 0, v5
	v_cndmask_b32_e64 v1, v1, v3, s[28:29]
	v_mov_b32_e32 v3, 0x7f800001
	v_cndmask_b32_e32 v3, v3, v1, vcc
; %bb.15712:                            ;   in Loop: Header=BB6_13186 Depth=3
	s_or_b64 exec, exec, s[36:37]
.LBB6_15713:                            ;   in Loop: Header=BB6_13186 Depth=3
	s_or_b64 exec, exec, s[34:35]
.LBB6_15714:                            ;   in Loop: Header=BB6_13186 Depth=3
	s_or_b64 exec, exec, s[30:31]
	v_cmp_ne_u16_sdwa s[62:63], v17, v33 src0_sel:BYTE_0 src1_sel:DWORD
	s_and_saveexec_b64 s[28:29], s[62:63]
	s_cbranch_execz .LBB6_15722
; %bb.15715:                            ;   in Loop: Header=BB6_13186 Depth=3
	v_cmp_ne_u16_sdwa s[62:63], v17, s97 src0_sel:BYTE_0 src1_sel:DWORD
	v_bfrev_b32_e32 v2, 1
	s_and_saveexec_b64 s[30:31], s[62:63]
	s_cbranch_execz .LBB6_15721
; %bb.15716:                            ;   in Loop: Header=BB6_13186 Depth=3
	v_and_b32_e32 v2, 0x7c, v17
	v_and_b32_e32 v1, 3, v17
	v_cmp_ne_u32_e32 vcc, s86, v2
                                        ; implicit-def: $vgpr2
	s_and_saveexec_b64 s[62:63], vcc
	s_xor_b64 s[34:35], exec, s[62:63]
	s_cbranch_execz .LBB6_15718
; %bb.15717:                            ;   in Loop: Header=BB6_13186 Depth=3
	v_ffbh_u32_e32 v5, v1
	v_min_u32_e32 v5, 32, v5
	v_mov_b32_e32 v21, v17
	v_mov_b32_e32 v22, v33
	v_bfe_u32 v2, v17, 2, 5
	v_subrev_u32_e32 v7, 29, v5
	v_lshlrev_b64 v[21:22], v7, v[21:22]
	v_sub_u32_e32 v5, 30, v5
	v_cmp_eq_u32_e32 vcc, 0, v2
	v_cndmask_b32_e32 v2, v2, v5, vcc
	v_lshlrev_b32_e32 v5, 24, v17
	v_and_b32_e32 v7, 3, v21
	v_and_b32_e32 v5, 0x80000000, v5
	v_cndmask_b32_e32 v1, v1, v7, vcc
	v_lshl_add_u32 v2, v2, 23, v5
	v_lshl_or_b32 v1, v1, 21, v2
	v_add_u32_e32 v2, 0x38000000, v1
                                        ; implicit-def: $vgpr1
.LBB6_15718:                            ;   in Loop: Header=BB6_13186 Depth=3
	s_andn2_saveexec_b64 s[34:35], s[34:35]
; %bb.15719:                            ;   in Loop: Header=BB6_13186 Depth=3
	v_mov_b32_e32 v2, -1
	v_cmp_gt_i16_sdwa vcc, sext(v17), v2 src0_sel:BYTE_0 src1_sel:DWORD
	v_mov_b32_e32 v2, 0xff800000
	v_mov_b32_e32 v5, 0x7f800000
	v_cndmask_b32_e32 v2, v2, v5, vcc
	v_cmp_eq_u32_e32 vcc, 0, v1
	v_mov_b32_e32 v1, 0x7f800001
	v_cndmask_b32_e32 v2, v1, v2, vcc
; %bb.15720:                            ;   in Loop: Header=BB6_13186 Depth=3
	s_or_b64 exec, exec, s[34:35]
.LBB6_15721:                            ;   in Loop: Header=BB6_13186 Depth=3
	s_or_b64 exec, exec, s[30:31]
.LBB6_15722:                            ;   in Loop: Header=BB6_13186 Depth=3
	s_or_b64 exec, exec, s[28:29]
	v_add_f32_e32 v3, v3, v2
	v_and_b32_e32 v21, 0x7f800000, v3
	v_mov_b32_e32 v22, v33
	v_cmp_ne_u64_e32 vcc, s[76:77], v[21:22]
	v_and_b32_e32 v1, 0x7fffff, v3
	v_mov_b32_e32 v2, v33
                                        ; implicit-def: $vgpr49
	s_and_saveexec_b64 s[28:29], vcc
	s_xor_b64 s[30:31], exec, s[28:29]
	s_cbranch_execz .LBB6_15736
; %bb.15723:                            ;   in Loop: Header=BB6_13186 Depth=3
	v_and_b32_e32 v21, 0x7fffffff, v3
	v_mov_b32_e32 v22, v33
	v_cmp_gt_u64_e32 vcc, s[78:79], v[21:22]
	v_and_b32_sdwa v21, v3, s97 dst_sel:DWORD dst_unused:UNUSED_PAD src0_sel:BYTE_3 src1_sel:DWORD
                                        ; implicit-def: $vgpr49
	s_and_saveexec_b64 s[28:29], vcc
	s_xor_b64 s[34:35], exec, s[28:29]
	s_cbranch_execz .LBB6_15733
; %bb.15724:                            ;   in Loop: Header=BB6_13186 Depth=3
	v_mov_b32_e32 v49, 0
	v_cmp_ne_u32_e32 vcc, 0, v3
	s_and_saveexec_b64 s[36:37], vcc
	s_cbranch_execz .LBB6_15732
; %bb.15725:                            ;   in Loop: Header=BB6_13186 Depth=3
	v_bfe_u32 v5, v3, 23, 8
	v_cmp_gt_u32_e64 s[28:29], s47, v5
	v_sub_u32_e32 v3, 0x71, v5
	v_cmp_eq_u32_e32 vcc, 0, v5
	v_cndmask_b32_e64 v3, 0, v3, s[28:29]
	v_mov_b32_e32 v7, 0x70
	v_cndmask_b32_e32 v7, v3, v7, vcc
	v_or_b32_e32 v22, 0x800000, v1
	v_add_u32_e32 v3, 21, v7
	v_cndmask_b32_e32 v1, v22, v1, vcc
	v_lshlrev_b64 v[22:23], v3, -1
	v_add_u32_e32 v3, 20, v7
	v_bfi_b32 v22, v22, 0, v1
	v_lshlrev_b64 v[31:32], v3, 1
	v_lshrrev_b64 v[1:2], v7, v[1:2]
	v_bfi_b32 v23, v23, 0, 0
	v_cmp_eq_u64_e64 s[28:29], v[22:23], v[31:32]
	v_mov_b32_e32 v3, v2
	v_mov_b32_e32 v2, v1
	s_and_saveexec_b64 s[38:39], s[28:29]
; %bb.15726:                            ;   in Loop: Header=BB6_13186 Depth=3
	v_bfe_u32 v2, v1, 21, 1
	v_add_co_u32_e64 v2, s[28:29], v1, v2
	v_add_co_u32_e64 v2, s[28:29], -1, v2
; %bb.15727:                            ;   in Loop: Header=BB6_13186 Depth=3
	s_or_b64 exec, exec, s[38:39]
	v_add_u32_e32 v3, 0xffffff81, v5
	v_mov_b32_e32 v5, 0xffffff82
	v_cndmask_b32_e32 v3, v3, v5, vcc
	v_lshrrev_b32_e32 v5, 23, v1
	v_add3_u32 v7, v7, v3, v5
	v_add_u32_e32 v5, 14, v7
	v_and_b32_e32 v2, 0x1fffff, v2
	v_add_u32_e32 v1, v2, v1
	v_mov_b32_e32 v2, v33
	v_cmp_ne_u32_e32 vcc, 0, v5
                                        ; implicit-def: $vgpr3
	s_and_saveexec_b64 s[28:29], vcc
	s_xor_b64 s[28:29], exec, s[28:29]
; %bb.15728:                            ;   in Loop: Header=BB6_13186 Depth=3
	v_cmp_lt_u64_e32 vcc, s[88:89], v[1:2]
	v_add_u32_e32 v3, 15, v7
	v_cndmask_b32_e32 v3, v5, v3, vcc
	v_cndmask_b32_e64 v5, 0, 1, vcc
	v_lshrrev_b64 v[1:2], v5, v[1:2]
; %bb.15729:                            ;   in Loop: Header=BB6_13186 Depth=3
	s_andn2_saveexec_b64 s[28:29], s[28:29]
; %bb.15730:                            ;   in Loop: Header=BB6_13186 Depth=3
	v_bfe_u32 v3, v1, 23, 1
; %bb.15731:                            ;   in Loop: Header=BB6_13186 Depth=3
	s_or_b64 exec, exec, s[28:29]
	v_lshrrev_b64 v[1:2], 21, v[1:2]
	v_cmp_gt_i32_e32 vcc, 32, v3
	v_cndmask_b32_e32 v2, 0, v2, vcc
	v_cndmask_b32_e32 v1, 3, v1, vcc
	v_cmp_eq_u64_e64 s[28:29], 0, v[1:2]
	v_min_i32_e32 v2, 31, v3
	v_lshlrev_b32_e32 v2, 2, v2
	v_cmp_eq_u32_e32 vcc, 0, v3
	v_and_b32_e32 v2, 0xfc, v2
	v_and_or_b32 v1, v1, 3, v2
	s_and_b64 s[28:29], vcc, s[28:29]
	v_cndmask_b32_e64 v1, v1, 0, s[28:29]
	v_or_b32_e32 v49, v1, v21
.LBB6_15732:                            ;   in Loop: Header=BB6_13186 Depth=3
	s_or_b64 exec, exec, s[36:37]
                                        ; implicit-def: $vgpr21
.LBB6_15733:                            ;   in Loop: Header=BB6_13186 Depth=3
	s_andn2_saveexec_b64 s[28:29], s[34:35]
; %bb.15734:                            ;   in Loop: Header=BB6_13186 Depth=3
	v_or_b32_e32 v49, 0x7b, v21
; %bb.15735:                            ;   in Loop: Header=BB6_13186 Depth=3
	s_or_b64 exec, exec, s[28:29]
                                        ; implicit-def: $vgpr3
                                        ; implicit-def: $vgpr1_vgpr2
.LBB6_15736:                            ;   in Loop: Header=BB6_13186 Depth=3
	s_andn2_saveexec_b64 s[28:29], s[30:31]
	s_cbranch_execz .LBB6_15742
; %bb.15737:                            ;   in Loop: Header=BB6_13186 Depth=3
	v_cmp_ne_u64_e32 vcc, 0, v[1:2]
                                        ; implicit-def: $vgpr49
	s_and_saveexec_b64 s[62:63], vcc
	s_xor_b64 vcc, exec, s[62:63]
; %bb.15738:                            ;   in Loop: Header=BB6_13186 Depth=3
	v_or_b32_sdwa v49, v3, s44 dst_sel:DWORD dst_unused:UNUSED_PAD src0_sel:BYTE_3 src1_sel:DWORD
                                        ; implicit-def: $vgpr3
; %bb.15739:                            ;   in Loop: Header=BB6_13186 Depth=3
	s_andn2_saveexec_b64 s[30:31], vcc
; %bb.15740:                            ;   in Loop: Header=BB6_13186 Depth=3
	v_cmp_lt_i32_e32 vcc, -1, v3
	v_bfrev_b32_e32 v1, 0.5
	v_mov_b32_e32 v2, 0x7c
	v_cndmask_b32_e32 v49, v1, v2, vcc
; %bb.15741:                            ;   in Loop: Header=BB6_13186 Depth=3
	s_or_b64 exec, exec, s[30:31]
.LBB6_15742:                            ;   in Loop: Header=BB6_13186 Depth=3
	s_or_b64 exec, exec, s[28:29]
	v_lshrrev_b16_e32 v1, 8, v20
	v_cmp_ne_u16_e32 vcc, 0, v1
	v_mov_b32_e32 v3, 0
	v_mov_b32_e32 v5, 0
	s_and_saveexec_b64 s[28:29], vcc
	s_cbranch_execz .LBB6_15750
; %bb.15743:                            ;   in Loop: Header=BB6_13186 Depth=3
	v_cmp_ne_u16_e32 vcc, s97, v1
	v_bfrev_b32_e32 v5, 1
	s_and_saveexec_b64 s[30:31], vcc
	s_cbranch_execz .LBB6_15749
; %bb.15744:                            ;   in Loop: Header=BB6_13186 Depth=3
	v_and_b32_e32 v2, 0x7c, v1
	v_and_b32_e32 v21, 3, v1
	v_cmp_ne_u32_e32 vcc, s86, v2
                                        ; implicit-def: $vgpr5
	s_and_saveexec_b64 s[62:63], vcc
	s_xor_b64 s[34:35], exec, s[62:63]
	s_cbranch_execz .LBB6_15746
; %bb.15745:                            ;   in Loop: Header=BB6_13186 Depth=3
	v_ffbh_u32_e32 v7, v21
	v_min_u32_e32 v7, 32, v7
	v_mov_b32_e32 v2, v33
	v_subrev_u32_e32 v22, 29, v7
	v_bfe_u32 v5, v1, 2, 5
	v_lshlrev_b64 v[1:2], v22, v[1:2]
	v_sub_u32_e32 v2, 30, v7
	v_cmp_eq_u32_e32 vcc, 0, v5
	v_cndmask_b32_e32 v2, v5, v2, vcc
	v_lshlrev_b32_e32 v5, 16, v20
	v_and_b32_e32 v1, 3, v1
	v_and_b32_e32 v5, 0x80000000, v5
	v_cndmask_b32_e32 v1, v21, v1, vcc
	v_lshl_add_u32 v2, v2, 23, v5
	v_lshl_or_b32 v1, v1, 21, v2
	v_add_u32_e32 v5, 0x38000000, v1
                                        ; implicit-def: $vgpr21
                                        ; implicit-def: $vgpr20
.LBB6_15746:                            ;   in Loop: Header=BB6_13186 Depth=3
	s_andn2_saveexec_b64 s[34:35], s[34:35]
; %bb.15747:                            ;   in Loop: Header=BB6_13186 Depth=3
	v_cmp_lt_i16_e32 vcc, -1, v20
	v_mov_b32_e32 v1, 0xff800000
	v_mov_b32_e32 v2, 0x7f800000
	v_cndmask_b32_e32 v1, v1, v2, vcc
	v_cmp_eq_u32_e32 vcc, 0, v21
	v_mov_b32_e32 v2, 0x7f800001
	v_cndmask_b32_e32 v5, v2, v1, vcc
; %bb.15748:                            ;   in Loop: Header=BB6_13186 Depth=3
	s_or_b64 exec, exec, s[34:35]
.LBB6_15749:                            ;   in Loop: Header=BB6_13186 Depth=3
	s_or_b64 exec, exec, s[30:31]
.LBB6_15750:                            ;   in Loop: Header=BB6_13186 Depth=3
	s_or_b64 exec, exec, s[28:29]
	v_lshrrev_b16_e32 v1, 8, v17
	v_cmp_ne_u16_e32 vcc, 0, v1
	s_and_saveexec_b64 s[28:29], vcc
	s_cbranch_execz .LBB6_15758
; %bb.15751:                            ;   in Loop: Header=BB6_13186 Depth=3
	v_cmp_ne_u16_e32 vcc, s97, v1
	v_bfrev_b32_e32 v3, 1
	s_and_saveexec_b64 s[30:31], vcc
	s_cbranch_execz .LBB6_15757
; %bb.15752:                            ;   in Loop: Header=BB6_13186 Depth=3
	v_and_b32_e32 v2, 0x7c, v1
	v_and_b32_e32 v20, 3, v1
	v_cmp_ne_u32_e32 vcc, s86, v2
                                        ; implicit-def: $vgpr3
	s_and_saveexec_b64 s[62:63], vcc
	s_xor_b64 s[34:35], exec, s[62:63]
	s_cbranch_execz .LBB6_15754
; %bb.15753:                            ;   in Loop: Header=BB6_13186 Depth=3
	v_ffbh_u32_e32 v7, v20
	v_min_u32_e32 v7, 32, v7
	v_mov_b32_e32 v2, v33
	v_subrev_u32_e32 v21, 29, v7
	v_bfe_u32 v3, v1, 2, 5
	v_lshlrev_b64 v[1:2], v21, v[1:2]
	v_sub_u32_e32 v2, 30, v7
	v_cmp_eq_u32_e32 vcc, 0, v3
	v_cndmask_b32_e32 v2, v3, v2, vcc
	v_lshlrev_b32_e32 v3, 16, v17
	v_and_b32_e32 v1, 3, v1
	v_and_b32_e32 v3, 0x80000000, v3
	v_cndmask_b32_e32 v1, v20, v1, vcc
	v_lshl_add_u32 v2, v2, 23, v3
	v_lshl_or_b32 v1, v1, 21, v2
	v_add_u32_e32 v3, 0x38000000, v1
                                        ; implicit-def: $vgpr20
.LBB6_15754:                            ;   in Loop: Header=BB6_13186 Depth=3
	s_andn2_saveexec_b64 s[34:35], s[34:35]
; %bb.15755:                            ;   in Loop: Header=BB6_13186 Depth=3
	v_cmp_lt_i16_e32 vcc, -1, v17
	v_mov_b32_e32 v1, 0xff800000
	v_mov_b32_e32 v2, 0x7f800000
	v_cndmask_b32_e32 v1, v1, v2, vcc
	v_cmp_eq_u32_e32 vcc, 0, v20
	v_mov_b32_e32 v2, 0x7f800001
	v_cndmask_b32_e32 v3, v2, v1, vcc
; %bb.15756:                            ;   in Loop: Header=BB6_13186 Depth=3
	s_or_b64 exec, exec, s[34:35]
.LBB6_15757:                            ;   in Loop: Header=BB6_13186 Depth=3
	s_or_b64 exec, exec, s[30:31]
.LBB6_15758:                            ;   in Loop: Header=BB6_13186 Depth=3
	s_or_b64 exec, exec, s[28:29]
	v_add_f32_e32 v3, v5, v3
	v_and_b32_e32 v20, 0x7f800000, v3
	v_mov_b32_e32 v21, v33
	v_cmp_ne_u64_e32 vcc, s[76:77], v[20:21]
	v_and_b32_e32 v1, 0x7fffff, v3
	v_mov_b32_e32 v2, v33
                                        ; implicit-def: $vgpr5
                                        ; kill: killed $vgpr5
	s_and_saveexec_b64 s[28:29], vcc
	s_xor_b64 s[30:31], exec, s[28:29]
	s_cbranch_execz .LBB6_15772
; %bb.15759:                            ;   in Loop: Header=BB6_13186 Depth=3
	v_and_b32_e32 v20, 0x7fffffff, v3
	v_mov_b32_e32 v21, v33
	v_cmp_gt_u64_e32 vcc, s[78:79], v[20:21]
	v_and_b32_sdwa v20, v3, s97 dst_sel:DWORD dst_unused:UNUSED_PAD src0_sel:BYTE_3 src1_sel:DWORD
                                        ; implicit-def: $vgpr5
                                        ; kill: killed $vgpr5
	s_and_saveexec_b64 s[28:29], vcc
	s_xor_b64 s[34:35], exec, s[28:29]
	s_cbranch_execz .LBB6_15769
; %bb.15760:                            ;   in Loop: Header=BB6_13186 Depth=3
	v_mov_b32_e32 v5, 0
	v_cmp_ne_u32_e32 vcc, 0, v3
	buffer_store_dword v5, off, s[0:3], s33 offset:348 ; 4-byte Folded Spill
	s_and_saveexec_b64 s[36:37], vcc
	s_cbranch_execz .LBB6_15768
; %bb.15761:                            ;   in Loop: Header=BB6_13186 Depth=3
	v_bfe_u32 v5, v3, 23, 8
	v_cmp_gt_u32_e64 s[28:29], s47, v5
	v_sub_u32_e32 v3, 0x71, v5
	v_cmp_eq_u32_e32 vcc, 0, v5
	v_cndmask_b32_e64 v3, 0, v3, s[28:29]
	v_mov_b32_e32 v21, 0x70
	v_cndmask_b32_e32 v21, v3, v21, vcc
	v_add_u32_e32 v3, 21, v21
	v_or_b32_e32 v7, 0x800000, v1
	v_lshlrev_b64 v[22:23], v3, -1
	v_cndmask_b32_e32 v1, v7, v1, vcc
	v_add_u32_e32 v3, 20, v21
	v_bfi_b32 v22, v22, 0, v1
	v_lshlrev_b64 v[31:32], v3, 1
	v_lshrrev_b64 v[1:2], v21, v[1:2]
	v_bfi_b32 v23, v23, 0, 0
	v_cmp_eq_u64_e64 s[28:29], v[22:23], v[31:32]
	v_mov_b32_e32 v3, v2
	v_mov_b32_e32 v2, v1
	s_and_saveexec_b64 s[38:39], s[28:29]
; %bb.15762:                            ;   in Loop: Header=BB6_13186 Depth=3
	v_bfe_u32 v2, v1, 21, 1
	v_add_co_u32_e64 v2, s[28:29], v1, v2
	v_add_co_u32_e64 v2, s[28:29], -1, v2
; %bb.15763:                            ;   in Loop: Header=BB6_13186 Depth=3
	s_or_b64 exec, exec, s[38:39]
	v_add_u32_e32 v3, 0xffffff81, v5
	v_mov_b32_e32 v5, 0xffffff82
	v_cndmask_b32_e32 v3, v3, v5, vcc
	v_lshrrev_b32_e32 v5, 23, v1
	v_add3_u32 v21, v21, v3, v5
	v_add_u32_e32 v5, 14, v21
	v_and_b32_e32 v2, 0x1fffff, v2
	v_add_u32_e32 v1, v2, v1
	v_mov_b32_e32 v2, v33
	v_cmp_ne_u32_e32 vcc, 0, v5
                                        ; implicit-def: $vgpr3
	s_and_saveexec_b64 s[28:29], vcc
	s_xor_b64 s[28:29], exec, s[28:29]
; %bb.15764:                            ;   in Loop: Header=BB6_13186 Depth=3
	v_cmp_lt_u64_e32 vcc, s[88:89], v[1:2]
	v_add_u32_e32 v3, 15, v21
	v_cndmask_b32_e32 v3, v5, v3, vcc
	v_cndmask_b32_e64 v5, 0, 1, vcc
	v_lshrrev_b64 v[1:2], v5, v[1:2]
; %bb.15765:                            ;   in Loop: Header=BB6_13186 Depth=3
	s_andn2_saveexec_b64 s[28:29], s[28:29]
; %bb.15766:                            ;   in Loop: Header=BB6_13186 Depth=3
	v_bfe_u32 v3, v1, 23, 1
; %bb.15767:                            ;   in Loop: Header=BB6_13186 Depth=3
	s_or_b64 exec, exec, s[28:29]
	v_lshrrev_b64 v[1:2], 21, v[1:2]
	v_cmp_gt_i32_e32 vcc, 32, v3
	v_cndmask_b32_e32 v2, 0, v2, vcc
	v_cndmask_b32_e32 v1, 3, v1, vcc
	v_cmp_eq_u64_e64 s[28:29], 0, v[1:2]
	v_min_i32_e32 v2, 31, v3
	v_lshlrev_b32_e32 v2, 2, v2
	v_cmp_eq_u32_e32 vcc, 0, v3
	v_and_b32_e32 v2, 0xfc, v2
	v_and_or_b32 v1, v1, 3, v2
	s_and_b64 s[28:29], vcc, s[28:29]
	v_cndmask_b32_e64 v1, v1, 0, s[28:29]
	v_or_b32_e32 v1, v1, v20
	buffer_store_dword v1, off, s[0:3], s33 offset:348 ; 4-byte Folded Spill
.LBB6_15768:                            ;   in Loop: Header=BB6_13186 Depth=3
	s_or_b64 exec, exec, s[36:37]
                                        ; implicit-def: $vgpr20
.LBB6_15769:                            ;   in Loop: Header=BB6_13186 Depth=3
	s_andn2_saveexec_b64 s[28:29], s[34:35]
	s_cbranch_execz .LBB6_15771
; %bb.15770:                            ;   in Loop: Header=BB6_13186 Depth=3
	v_or_b32_e32 v1, 0x7b, v20
	buffer_store_dword v1, off, s[0:3], s33 offset:348 ; 4-byte Folded Spill
.LBB6_15771:                            ;   in Loop: Header=BB6_13186 Depth=3
	s_or_b64 exec, exec, s[28:29]
                                        ; implicit-def: $vgpr3
                                        ; implicit-def: $vgpr1_vgpr2
.LBB6_15772:                            ;   in Loop: Header=BB6_13186 Depth=3
	s_andn2_saveexec_b64 s[28:29], s[30:31]
	s_cbranch_execz .LBB6_15778
; %bb.15773:                            ;   in Loop: Header=BB6_13186 Depth=3
	v_cmp_ne_u64_e32 vcc, 0, v[1:2]
                                        ; implicit-def: $vgpr1
                                        ; kill: killed $vgpr1
	s_and_saveexec_b64 s[62:63], vcc
	s_xor_b64 vcc, exec, s[62:63]
	s_cbranch_execz .LBB6_15775
; %bb.15774:                            ;   in Loop: Header=BB6_13186 Depth=3
	v_or_b32_sdwa v1, v3, s44 dst_sel:DWORD dst_unused:UNUSED_PAD src0_sel:BYTE_3 src1_sel:DWORD
	buffer_store_dword v1, off, s[0:3], s33 offset:348 ; 4-byte Folded Spill
                                        ; implicit-def: $vgpr3
.LBB6_15775:                            ;   in Loop: Header=BB6_13186 Depth=3
	s_andn2_saveexec_b64 s[30:31], vcc
	s_cbranch_execz .LBB6_15777
; %bb.15776:                            ;   in Loop: Header=BB6_13186 Depth=3
	v_cmp_lt_i32_e32 vcc, -1, v3
	v_bfrev_b32_e32 v1, 0.5
	v_mov_b32_e32 v2, 0x7c
	v_cndmask_b32_e32 v1, v1, v2, vcc
	buffer_store_dword v1, off, s[0:3], s33 offset:348 ; 4-byte Folded Spill
.LBB6_15777:                            ;   in Loop: Header=BB6_13186 Depth=3
	s_or_b64 exec, exec, s[30:31]
.LBB6_15778:                            ;   in Loop: Header=BB6_13186 Depth=3
	s_or_b64 exec, exec, s[28:29]
	v_and_b32_sdwa v5, v0, s96 dst_sel:DWORD dst_unused:UNUSED_PAD src0_sel:WORD_1 src1_sel:DWORD
	v_lshrrev_b32_e32 v1, 16, v0
	v_cmp_ne_u16_e32 vcc, 0, v5
	v_mov_b32_e32 v2, 0
	v_mov_b32_e32 v3, 0
	s_and_saveexec_b64 s[28:29], vcc
	s_cbranch_execz .LBB6_15786
; %bb.15779:                            ;   in Loop: Header=BB6_13186 Depth=3
	v_cmp_ne_u16_e32 vcc, s97, v5
	v_bfrev_b32_e32 v3, 1
	s_and_saveexec_b64 s[30:31], vcc
	s_cbranch_execz .LBB6_15785
; %bb.15780:                            ;   in Loop: Header=BB6_13186 Depth=3
	v_and_b32_e32 v3, 0x7c0000, v0
	v_bfe_u32 v5, v0, 16, 2
	v_cmp_ne_u32_e32 vcc, s45, v3
                                        ; implicit-def: $vgpr3
	s_and_saveexec_b64 s[62:63], vcc
	s_xor_b64 s[34:35], exec, s[62:63]
	s_cbranch_execz .LBB6_15782
; %bb.15781:                            ;   in Loop: Header=BB6_13186 Depth=3
	v_ffbh_u32_e32 v7, v5
	v_min_u32_e32 v7, 32, v7
	v_subrev_u32_e32 v20, 29, v7
	v_lshlrev_b64 v[20:21], v20, v[1:2]
	v_bfe_u32 v3, v0, 18, 5
	v_sub_u32_e32 v1, 30, v7
	v_and_b32_e32 v7, 3, v20
	v_cmp_eq_u32_e32 vcc, 0, v3
	v_cndmask_b32_e32 v1, v3, v1, vcc
	v_cndmask_b32_e32 v3, v5, v7, vcc
	v_lshlrev_b32_e32 v5, 8, v0
	v_and_b32_e32 v5, 0x80000000, v5
	v_lshl_add_u32 v1, v1, 23, v5
	v_lshl_or_b32 v1, v3, 21, v1
	v_add_u32_e32 v3, 0x38000000, v1
                                        ; implicit-def: $vgpr5
                                        ; implicit-def: $vgpr1
.LBB6_15782:                            ;   in Loop: Header=BB6_13186 Depth=3
	s_andn2_saveexec_b64 s[34:35], s[34:35]
; %bb.15783:                            ;   in Loop: Header=BB6_13186 Depth=3
	v_mov_b32_e32 v3, -1
	v_cmp_gt_i16_sdwa vcc, sext(v1), v3 src0_sel:BYTE_0 src1_sel:DWORD
	v_mov_b32_e32 v1, 0xff800000
	v_mov_b32_e32 v3, 0x7f800000
	v_cndmask_b32_e32 v1, v1, v3, vcc
	v_cmp_eq_u32_e32 vcc, 0, v5
	v_mov_b32_e32 v3, 0x7f800001
	v_cndmask_b32_e32 v3, v3, v1, vcc
; %bb.15784:                            ;   in Loop: Header=BB6_13186 Depth=3
	s_or_b64 exec, exec, s[34:35]
.LBB6_15785:                            ;   in Loop: Header=BB6_13186 Depth=3
	s_or_b64 exec, exec, s[30:31]
.LBB6_15786:                            ;   in Loop: Header=BB6_13186 Depth=3
	s_or_b64 exec, exec, s[28:29]
	v_lshrrev_b32_e32 v1, 16, v17
	v_cmp_ne_u16_sdwa s[62:63], v1, v33 src0_sel:BYTE_0 src1_sel:DWORD
	s_and_saveexec_b64 s[28:29], s[62:63]
	s_cbranch_execz .LBB6_15794
; %bb.15787:                            ;   in Loop: Header=BB6_13186 Depth=3
	v_cmp_ne_u16_sdwa s[62:63], v1, s97 src0_sel:BYTE_0 src1_sel:DWORD
	v_bfrev_b32_e32 v2, 1
	s_and_saveexec_b64 s[30:31], s[62:63]
	s_cbranch_execz .LBB6_15793
; %bb.15788:                            ;   in Loop: Header=BB6_13186 Depth=3
	v_and_b32_e32 v2, 0x7c0000, v17
	v_bfe_u32 v5, v17, 16, 2
	v_cmp_ne_u32_e32 vcc, s45, v2
                                        ; implicit-def: $vgpr2
	s_and_saveexec_b64 s[62:63], vcc
	s_xor_b64 s[34:35], exec, s[62:63]
	s_cbranch_execz .LBB6_15790
; %bb.15789:                            ;   in Loop: Header=BB6_13186 Depth=3
	v_ffbh_u32_e32 v2, v5
	v_min_u32_e32 v20, 32, v2
	v_subrev_u32_e32 v2, 29, v20
	v_lshlrev_b64 v[1:2], v2, v[1:2]
	v_bfe_u32 v7, v17, 18, 5
	v_and_b32_e32 v1, 3, v1
	v_cmp_eq_u32_e32 vcc, 0, v7
	v_sub_u32_e32 v2, 30, v20
	v_cndmask_b32_e32 v1, v5, v1, vcc
	v_lshlrev_b32_e32 v5, 8, v17
	v_cndmask_b32_e32 v2, v7, v2, vcc
	v_and_b32_e32 v5, 0x80000000, v5
	v_lshl_add_u32 v2, v2, 23, v5
	v_lshl_or_b32 v1, v1, 21, v2
	v_add_u32_e32 v2, 0x38000000, v1
                                        ; implicit-def: $vgpr5
                                        ; implicit-def: $vgpr1
.LBB6_15790:                            ;   in Loop: Header=BB6_13186 Depth=3
	s_andn2_saveexec_b64 s[34:35], s[34:35]
; %bb.15791:                            ;   in Loop: Header=BB6_13186 Depth=3
	v_mov_b32_e32 v2, -1
	v_cmp_gt_i16_sdwa vcc, sext(v1), v2 src0_sel:BYTE_0 src1_sel:DWORD
	v_mov_b32_e32 v1, 0xff800000
	v_mov_b32_e32 v2, 0x7f800000
	v_cndmask_b32_e32 v1, v1, v2, vcc
	v_cmp_eq_u32_e32 vcc, 0, v5
	v_mov_b32_e32 v2, 0x7f800001
	v_cndmask_b32_e32 v2, v2, v1, vcc
; %bb.15792:                            ;   in Loop: Header=BB6_13186 Depth=3
	s_or_b64 exec, exec, s[34:35]
.LBB6_15793:                            ;   in Loop: Header=BB6_13186 Depth=3
	s_or_b64 exec, exec, s[30:31]
.LBB6_15794:                            ;   in Loop: Header=BB6_13186 Depth=3
	s_or_b64 exec, exec, s[28:29]
	v_add_f32_e32 v3, v3, v2
	v_and_b32_e32 v20, 0x7f800000, v3
	v_mov_b32_e32 v21, v33
	v_cmp_ne_u64_e32 vcc, s[76:77], v[20:21]
	v_and_b32_e32 v1, 0x7fffff, v3
	v_mov_b32_e32 v2, v33
                                        ; implicit-def: $vgpr5
                                        ; kill: killed $vgpr5
	s_and_saveexec_b64 s[28:29], vcc
	s_xor_b64 s[30:31], exec, s[28:29]
	s_cbranch_execz .LBB6_15808
; %bb.15795:                            ;   in Loop: Header=BB6_13186 Depth=3
	v_and_b32_e32 v20, 0x7fffffff, v3
	v_mov_b32_e32 v21, v33
	v_cmp_gt_u64_e32 vcc, s[78:79], v[20:21]
	v_and_b32_sdwa v20, v3, s97 dst_sel:DWORD dst_unused:UNUSED_PAD src0_sel:BYTE_3 src1_sel:DWORD
                                        ; implicit-def: $vgpr5
                                        ; kill: killed $vgpr5
	s_and_saveexec_b64 s[28:29], vcc
	s_xor_b64 s[34:35], exec, s[28:29]
	s_cbranch_execz .LBB6_15805
; %bb.15796:                            ;   in Loop: Header=BB6_13186 Depth=3
	v_mov_b32_e32 v5, 0
	v_cmp_ne_u32_e32 vcc, 0, v3
	buffer_store_dword v5, off, s[0:3], s33 offset:360 ; 4-byte Folded Spill
	s_and_saveexec_b64 s[36:37], vcc
	s_cbranch_execz .LBB6_15804
; %bb.15797:                            ;   in Loop: Header=BB6_13186 Depth=3
	v_bfe_u32 v5, v3, 23, 8
	v_cmp_gt_u32_e64 s[28:29], s47, v5
	v_sub_u32_e32 v3, 0x71, v5
	v_cmp_eq_u32_e32 vcc, 0, v5
	v_cndmask_b32_e64 v3, 0, v3, s[28:29]
	v_mov_b32_e32 v21, 0x70
	v_cndmask_b32_e32 v21, v3, v21, vcc
	v_add_u32_e32 v3, 21, v21
	v_or_b32_e32 v7, 0x800000, v1
	v_lshlrev_b64 v[22:23], v3, -1
	v_cndmask_b32_e32 v1, v7, v1, vcc
	v_add_u32_e32 v3, 20, v21
	v_bfi_b32 v22, v22, 0, v1
	v_lshlrev_b64 v[31:32], v3, 1
	v_lshrrev_b64 v[1:2], v21, v[1:2]
	v_bfi_b32 v23, v23, 0, 0
	v_cmp_eq_u64_e64 s[28:29], v[22:23], v[31:32]
	v_mov_b32_e32 v3, v2
	v_mov_b32_e32 v2, v1
	s_and_saveexec_b64 s[38:39], s[28:29]
; %bb.15798:                            ;   in Loop: Header=BB6_13186 Depth=3
	v_bfe_u32 v2, v1, 21, 1
	v_add_co_u32_e64 v2, s[28:29], v1, v2
	v_add_co_u32_e64 v2, s[28:29], -1, v2
; %bb.15799:                            ;   in Loop: Header=BB6_13186 Depth=3
	s_or_b64 exec, exec, s[38:39]
	v_add_u32_e32 v3, 0xffffff81, v5
	v_mov_b32_e32 v5, 0xffffff82
	v_cndmask_b32_e32 v3, v3, v5, vcc
	v_lshrrev_b32_e32 v5, 23, v1
	v_add3_u32 v21, v21, v3, v5
	v_add_u32_e32 v5, 14, v21
	v_and_b32_e32 v2, 0x1fffff, v2
	v_add_u32_e32 v1, v2, v1
	v_mov_b32_e32 v2, v33
	v_cmp_ne_u32_e32 vcc, 0, v5
                                        ; implicit-def: $vgpr3
	s_and_saveexec_b64 s[28:29], vcc
	s_xor_b64 s[28:29], exec, s[28:29]
; %bb.15800:                            ;   in Loop: Header=BB6_13186 Depth=3
	v_cmp_lt_u64_e32 vcc, s[88:89], v[1:2]
	v_add_u32_e32 v3, 15, v21
	v_cndmask_b32_e32 v3, v5, v3, vcc
	v_cndmask_b32_e64 v5, 0, 1, vcc
	v_lshrrev_b64 v[1:2], v5, v[1:2]
; %bb.15801:                            ;   in Loop: Header=BB6_13186 Depth=3
	s_andn2_saveexec_b64 s[28:29], s[28:29]
; %bb.15802:                            ;   in Loop: Header=BB6_13186 Depth=3
	v_bfe_u32 v3, v1, 23, 1
; %bb.15803:                            ;   in Loop: Header=BB6_13186 Depth=3
	s_or_b64 exec, exec, s[28:29]
	v_lshrrev_b64 v[1:2], 21, v[1:2]
	v_cmp_gt_i32_e32 vcc, 32, v3
	v_cndmask_b32_e32 v2, 0, v2, vcc
	v_cndmask_b32_e32 v1, 3, v1, vcc
	v_cmp_eq_u64_e64 s[28:29], 0, v[1:2]
	v_min_i32_e32 v2, 31, v3
	v_lshlrev_b32_e32 v2, 2, v2
	v_cmp_eq_u32_e32 vcc, 0, v3
	v_and_b32_e32 v2, 0xfc, v2
	v_and_or_b32 v1, v1, 3, v2
	s_and_b64 s[28:29], vcc, s[28:29]
	v_cndmask_b32_e64 v1, v1, 0, s[28:29]
	v_or_b32_e32 v1, v1, v20
	buffer_store_dword v1, off, s[0:3], s33 offset:360 ; 4-byte Folded Spill
.LBB6_15804:                            ;   in Loop: Header=BB6_13186 Depth=3
	s_or_b64 exec, exec, s[36:37]
                                        ; implicit-def: $vgpr20
.LBB6_15805:                            ;   in Loop: Header=BB6_13186 Depth=3
	s_andn2_saveexec_b64 s[28:29], s[34:35]
	s_cbranch_execz .LBB6_15807
; %bb.15806:                            ;   in Loop: Header=BB6_13186 Depth=3
	v_or_b32_e32 v1, 0x7b, v20
	buffer_store_dword v1, off, s[0:3], s33 offset:360 ; 4-byte Folded Spill
.LBB6_15807:                            ;   in Loop: Header=BB6_13186 Depth=3
	s_or_b64 exec, exec, s[28:29]
                                        ; implicit-def: $vgpr3
                                        ; implicit-def: $vgpr1_vgpr2
.LBB6_15808:                            ;   in Loop: Header=BB6_13186 Depth=3
	s_andn2_saveexec_b64 s[28:29], s[30:31]
	s_cbranch_execz .LBB6_15814
; %bb.15809:                            ;   in Loop: Header=BB6_13186 Depth=3
	v_cmp_ne_u64_e32 vcc, 0, v[1:2]
                                        ; implicit-def: $vgpr1
                                        ; kill: killed $vgpr1
	s_and_saveexec_b64 s[62:63], vcc
	s_xor_b64 vcc, exec, s[62:63]
	s_cbranch_execz .LBB6_15811
; %bb.15810:                            ;   in Loop: Header=BB6_13186 Depth=3
	v_or_b32_sdwa v1, v3, s44 dst_sel:DWORD dst_unused:UNUSED_PAD src0_sel:BYTE_3 src1_sel:DWORD
	buffer_store_dword v1, off, s[0:3], s33 offset:360 ; 4-byte Folded Spill
                                        ; implicit-def: $vgpr3
.LBB6_15811:                            ;   in Loop: Header=BB6_13186 Depth=3
	s_andn2_saveexec_b64 s[30:31], vcc
	s_cbranch_execz .LBB6_15813
; %bb.15812:                            ;   in Loop: Header=BB6_13186 Depth=3
	v_cmp_lt_i32_e32 vcc, -1, v3
	v_bfrev_b32_e32 v1, 0.5
	v_mov_b32_e32 v2, 0x7c
	v_cndmask_b32_e32 v1, v1, v2, vcc
	buffer_store_dword v1, off, s[0:3], s33 offset:360 ; 4-byte Folded Spill
.LBB6_15813:                            ;   in Loop: Header=BB6_13186 Depth=3
	s_or_b64 exec, exec, s[30:31]
.LBB6_15814:                            ;   in Loop: Header=BB6_13186 Depth=3
	s_or_b64 exec, exec, s[28:29]
	v_cmp_lt_u32_e32 vcc, s57, v0
	v_mov_b32_e32 v2, 0
	v_mov_b32_e32 v3, 0
	s_and_saveexec_b64 s[28:29], vcc
	s_cbranch_execz .LBB6_15822
; %bb.15815:                            ;   in Loop: Header=BB6_13186 Depth=3
	v_lshrrev_b32_e32 v1, 24, v0
	v_cmp_ne_u32_e32 vcc, s97, v1
	v_bfrev_b32_e32 v3, 1
	s_and_saveexec_b64 s[30:31], vcc
	s_cbranch_execz .LBB6_15821
; %bb.15816:                            ;   in Loop: Header=BB6_13186 Depth=3
	v_and_b32_e32 v3, 0x7c000000, v0
	v_bfe_u32 v5, v0, 24, 2
	v_cmp_ne_u32_e32 vcc, s68, v3
                                        ; implicit-def: $vgpr3
	s_and_saveexec_b64 s[62:63], vcc
	s_xor_b64 s[34:35], exec, s[62:63]
	s_cbranch_execz .LBB6_15818
; %bb.15817:                            ;   in Loop: Header=BB6_13186 Depth=3
	v_ffbh_u32_e32 v7, v5
	v_min_u32_e32 v7, 32, v7
	v_subrev_u32_e32 v20, 29, v7
	v_bfe_u32 v3, v0, 26, 5
	v_lshlrev_b64 v[20:21], v20, v[1:2]
	v_sub_u32_e32 v1, 30, v7
	v_cmp_eq_u32_e32 vcc, 0, v3
	v_and_b32_e32 v7, 3, v20
	v_cndmask_b32_e32 v1, v3, v1, vcc
	v_and_b32_e32 v0, 0x80000000, v0
	v_cndmask_b32_e32 v3, v5, v7, vcc
	v_lshl_add_u32 v0, v1, 23, v0
	v_lshl_or_b32 v0, v3, 21, v0
	v_add_u32_e32 v3, 0x38000000, v0
                                        ; implicit-def: $vgpr5
                                        ; implicit-def: $vgpr0_vgpr1
.LBB6_15818:                            ;   in Loop: Header=BB6_13186 Depth=3
	s_andn2_saveexec_b64 s[34:35], s[34:35]
; %bb.15819:                            ;   in Loop: Header=BB6_13186 Depth=3
	v_cmp_lt_i32_e32 vcc, -1, v0
	v_mov_b32_e32 v0, 0xff800000
	v_mov_b32_e32 v1, 0x7f800000
	v_cndmask_b32_e32 v0, v0, v1, vcc
	v_cmp_eq_u32_e32 vcc, 0, v5
	v_mov_b32_e32 v1, 0x7f800001
	v_cndmask_b32_e32 v3, v1, v0, vcc
; %bb.15820:                            ;   in Loop: Header=BB6_13186 Depth=3
	s_or_b64 exec, exec, s[34:35]
.LBB6_15821:                            ;   in Loop: Header=BB6_13186 Depth=3
	s_or_b64 exec, exec, s[30:31]
.LBB6_15822:                            ;   in Loop: Header=BB6_13186 Depth=3
	s_or_b64 exec, exec, s[28:29]
	v_cmp_lt_u64_e32 vcc, s[56:57], v[16:17]
	s_and_saveexec_b64 s[28:29], vcc
	s_cbranch_execz .LBB6_15830
; %bb.15823:                            ;   in Loop: Header=BB6_13186 Depth=3
	v_lshrrev_b32_e32 v0, 24, v17
	v_cmp_ne_u32_e32 vcc, s97, v0
	v_bfrev_b32_e32 v2, 1
	s_and_saveexec_b64 s[30:31], vcc
	s_cbranch_execz .LBB6_15829
; %bb.15824:                            ;   in Loop: Header=BB6_13186 Depth=3
	v_and_b32_e32 v2, 0x7c000000, v17
	v_bfe_u32 v1, v17, 24, 2
	v_cmp_ne_u32_e32 vcc, s68, v2
                                        ; implicit-def: $vgpr2
	s_and_saveexec_b64 s[62:63], vcc
	s_xor_b64 s[34:35], exec, s[62:63]
	s_cbranch_execz .LBB6_15826
; %bb.15825:                            ;   in Loop: Header=BB6_13186 Depth=3
	v_ffbh_u32_e32 v5, v1
	v_min_u32_e32 v5, 32, v5
	v_subrev_u32_e32 v7, 29, v5
	v_bfe_u32 v2, v17, 26, 5
	v_lshlrev_b64 v[20:21], v7, v[0:1]
	v_sub_u32_e32 v0, 30, v5
	v_cmp_eq_u32_e32 vcc, 0, v2
	v_and_b32_e32 v5, 3, v20
	v_cndmask_b32_e32 v0, v2, v0, vcc
	v_and_b32_e32 v2, 0x80000000, v17
	v_cndmask_b32_e32 v1, v1, v5, vcc
	v_lshl_add_u32 v0, v0, 23, v2
	v_lshl_or_b32 v0, v1, 21, v0
	v_add_u32_e32 v2, 0x38000000, v0
                                        ; implicit-def: $vgpr1
.LBB6_15826:                            ;   in Loop: Header=BB6_13186 Depth=3
	s_andn2_saveexec_b64 s[34:35], s[34:35]
; %bb.15827:                            ;   in Loop: Header=BB6_13186 Depth=3
	v_cmp_lt_i64_e32 vcc, -1, v[16:17]
	v_mov_b32_e32 v0, 0xff800000
	v_mov_b32_e32 v2, 0x7f800000
	v_cndmask_b32_e32 v0, v0, v2, vcc
	v_cmp_eq_u32_e32 vcc, 0, v1
	v_mov_b32_e32 v1, 0x7f800001
	v_cndmask_b32_e32 v2, v1, v0, vcc
; %bb.15828:                            ;   in Loop: Header=BB6_13186 Depth=3
	s_or_b64 exec, exec, s[34:35]
.LBB6_15829:                            ;   in Loop: Header=BB6_13186 Depth=3
	s_or_b64 exec, exec, s[30:31]
.LBB6_15830:                            ;   in Loop: Header=BB6_13186 Depth=3
	s_or_b64 exec, exec, s[28:29]
	v_add_f32_e32 v2, v3, v2
	v_and_b32_e32 v16, 0x7f800000, v2
	v_mov_b32_e32 v17, v33
	v_cmp_ne_u64_e32 vcc, s[76:77], v[16:17]
	v_and_b32_e32 v0, 0x7fffff, v2
	v_mov_b32_e32 v1, v33
                                        ; implicit-def: $vgpr3
                                        ; kill: killed $vgpr3
	s_and_saveexec_b64 s[28:29], vcc
	s_xor_b64 s[30:31], exec, s[28:29]
	s_cbranch_execz .LBB6_15844
; %bb.15831:                            ;   in Loop: Header=BB6_13186 Depth=3
	v_and_b32_e32 v16, 0x7fffffff, v2
	v_mov_b32_e32 v17, v33
	v_cmp_gt_u64_e32 vcc, s[78:79], v[16:17]
	v_and_b32_sdwa v3, v2, s97 dst_sel:DWORD dst_unused:UNUSED_PAD src0_sel:BYTE_3 src1_sel:DWORD
                                        ; implicit-def: $vgpr5
                                        ; kill: killed $vgpr5
	s_and_saveexec_b64 s[28:29], vcc
	s_xor_b64 s[34:35], exec, s[28:29]
	s_cbranch_execz .LBB6_15841
; %bb.15832:                            ;   in Loop: Header=BB6_13186 Depth=3
	v_mov_b32_e32 v5, 0
	v_cmp_ne_u32_e32 vcc, 0, v2
	buffer_store_dword v5, off, s[0:3], s33 offset:372 ; 4-byte Folded Spill
	s_and_saveexec_b64 s[36:37], vcc
	s_cbranch_execz .LBB6_15840
; %bb.15833:                            ;   in Loop: Header=BB6_13186 Depth=3
	v_bfe_u32 v5, v2, 23, 8
	v_cmp_gt_u32_e64 s[28:29], s47, v5
	v_sub_u32_e32 v2, 0x71, v5
	v_cmp_eq_u32_e32 vcc, 0, v5
	v_cndmask_b32_e64 v2, 0, v2, s[28:29]
	v_mov_b32_e32 v16, 0x70
	v_cndmask_b32_e32 v16, v2, v16, vcc
	v_add_u32_e32 v2, 21, v16
	v_or_b32_e32 v7, 0x800000, v0
	v_lshlrev_b64 v[20:21], v2, -1
	v_cndmask_b32_e32 v0, v7, v0, vcc
	v_add_u32_e32 v2, 20, v16
	v_bfi_b32 v20, v20, 0, v0
	v_lshlrev_b64 v[22:23], v2, 1
	v_lshrrev_b64 v[0:1], v16, v[0:1]
	v_bfi_b32 v21, v21, 0, 0
	v_cmp_eq_u64_e64 s[28:29], v[20:21], v[22:23]
	v_mov_b32_e32 v2, v1
	v_mov_b32_e32 v1, v0
	s_and_saveexec_b64 s[38:39], s[28:29]
; %bb.15834:                            ;   in Loop: Header=BB6_13186 Depth=3
	v_bfe_u32 v1, v0, 21, 1
	v_add_co_u32_e64 v1, s[28:29], v0, v1
	v_add_co_u32_e64 v1, s[28:29], -1, v1
; %bb.15835:                            ;   in Loop: Header=BB6_13186 Depth=3
	s_or_b64 exec, exec, s[38:39]
	v_add_u32_e32 v2, 0xffffff81, v5
	v_mov_b32_e32 v5, 0xffffff82
	v_cndmask_b32_e32 v2, v2, v5, vcc
	v_lshrrev_b32_e32 v5, 23, v0
	v_add3_u32 v16, v16, v2, v5
	v_add_u32_e32 v5, 14, v16
	v_and_b32_e32 v1, 0x1fffff, v1
	v_add_u32_e32 v0, v1, v0
	v_mov_b32_e32 v1, v33
	v_cmp_ne_u32_e32 vcc, 0, v5
                                        ; implicit-def: $vgpr2
	s_and_saveexec_b64 s[28:29], vcc
	s_xor_b64 s[28:29], exec, s[28:29]
; %bb.15836:                            ;   in Loop: Header=BB6_13186 Depth=3
	v_cmp_lt_u64_e32 vcc, s[88:89], v[0:1]
	v_add_u32_e32 v2, 15, v16
	v_cndmask_b32_e32 v2, v5, v2, vcc
	v_cndmask_b32_e64 v5, 0, 1, vcc
	v_lshrrev_b64 v[0:1], v5, v[0:1]
; %bb.15837:                            ;   in Loop: Header=BB6_13186 Depth=3
	s_andn2_saveexec_b64 s[28:29], s[28:29]
; %bb.15838:                            ;   in Loop: Header=BB6_13186 Depth=3
	v_bfe_u32 v2, v0, 23, 1
; %bb.15839:                            ;   in Loop: Header=BB6_13186 Depth=3
	s_or_b64 exec, exec, s[28:29]
	v_lshrrev_b64 v[0:1], 21, v[0:1]
	v_cmp_gt_i32_e32 vcc, 32, v2
	v_cndmask_b32_e32 v1, 0, v1, vcc
	v_cndmask_b32_e32 v0, 3, v0, vcc
	v_cmp_eq_u64_e64 s[28:29], 0, v[0:1]
	v_min_i32_e32 v1, 31, v2
	v_lshlrev_b32_e32 v1, 2, v1
	v_cmp_eq_u32_e32 vcc, 0, v2
	v_and_b32_e32 v1, 0xfc, v1
	v_and_or_b32 v0, v0, 3, v1
	s_and_b64 s[28:29], vcc, s[28:29]
	v_cndmask_b32_e64 v0, v0, 0, s[28:29]
	v_or_b32_e32 v0, v0, v3
	buffer_store_dword v0, off, s[0:3], s33 offset:372 ; 4-byte Folded Spill
.LBB6_15840:                            ;   in Loop: Header=BB6_13186 Depth=3
	s_or_b64 exec, exec, s[36:37]
                                        ; implicit-def: $vgpr3
.LBB6_15841:                            ;   in Loop: Header=BB6_13186 Depth=3
	s_andn2_saveexec_b64 s[28:29], s[34:35]
	s_cbranch_execz .LBB6_15843
; %bb.15842:                            ;   in Loop: Header=BB6_13186 Depth=3
	v_or_b32_e32 v0, 0x7b, v3
	buffer_store_dword v0, off, s[0:3], s33 offset:372 ; 4-byte Folded Spill
.LBB6_15843:                            ;   in Loop: Header=BB6_13186 Depth=3
	s_or_b64 exec, exec, s[28:29]
                                        ; implicit-def: $vgpr2
                                        ; implicit-def: $vgpr0_vgpr1
.LBB6_15844:                            ;   in Loop: Header=BB6_13186 Depth=3
	s_andn2_saveexec_b64 s[28:29], s[30:31]
	s_cbranch_execz .LBB6_15850
; %bb.15845:                            ;   in Loop: Header=BB6_13186 Depth=3
	v_cmp_ne_u64_e32 vcc, 0, v[0:1]
                                        ; implicit-def: $vgpr0
                                        ; kill: killed $vgpr0
	s_and_saveexec_b64 s[62:63], vcc
	s_xor_b64 vcc, exec, s[62:63]
	s_cbranch_execz .LBB6_15847
; %bb.15846:                            ;   in Loop: Header=BB6_13186 Depth=3
	v_or_b32_sdwa v0, v2, s44 dst_sel:DWORD dst_unused:UNUSED_PAD src0_sel:BYTE_3 src1_sel:DWORD
	buffer_store_dword v0, off, s[0:3], s33 offset:372 ; 4-byte Folded Spill
                                        ; implicit-def: $vgpr2
.LBB6_15847:                            ;   in Loop: Header=BB6_13186 Depth=3
	s_andn2_saveexec_b64 s[30:31], vcc
	s_cbranch_execz .LBB6_15849
; %bb.15848:                            ;   in Loop: Header=BB6_13186 Depth=3
	v_cmp_lt_i32_e32 vcc, -1, v2
	v_bfrev_b32_e32 v0, 0.5
	v_mov_b32_e32 v1, 0x7c
	v_cndmask_b32_e32 v0, v0, v1, vcc
	buffer_store_dword v0, off, s[0:3], s33 offset:372 ; 4-byte Folded Spill
.LBB6_15849:                            ;   in Loop: Header=BB6_13186 Depth=3
	s_or_b64 exec, exec, s[30:31]
.LBB6_15850:                            ;   in Loop: Header=BB6_13186 Depth=3
	s_or_b64 exec, exec, s[28:29]
	buffer_load_dword v0, off, s[0:3], s33 offset:332 ; 4-byte Folded Reload
	buffer_load_dword v1, off, s[0:3], s33 offset:356 ; 4-byte Folded Reload
	v_cmp_ne_u32_e32 vcc, 0, v36
	v_mov_b32_e32 v2, 0
	v_mov_b32_e32 v3, 0
	s_waitcnt vmcnt(1)
	v_lshl_or_b32 v20, v0, 8, v36
	buffer_load_dword v0, off, s[0:3], s33 offset:340 ; 4-byte Folded Reload
	s_waitcnt vmcnt(1)
	v_lshlrev_b32_e32 v1, 24, v1
	s_waitcnt vmcnt(0)
	v_lshlrev_b32_e32 v0, 16, v0
	v_or3_b32 v0, v0, v1, v20
	v_mov_b32_e32 v1, v33
	s_and_saveexec_b64 s[30:31], vcc
	s_cbranch_execz .LBB6_15858
; %bb.15851:                            ;   in Loop: Header=BB6_13186 Depth=3
	v_cmp_ne_u32_e32 vcc, s97, v36
	v_bfrev_b32_e32 v3, 1
	s_and_saveexec_b64 s[34:35], vcc
	s_cbranch_execz .LBB6_15857
; %bb.15852:                            ;   in Loop: Header=BB6_13186 Depth=3
	v_and_b32_e32 v3, 0x7c, v36
	v_and_b32_e32 v5, 3, v36
	v_cmp_ne_u32_e32 vcc, s86, v3
                                        ; implicit-def: $vgpr3
	s_and_saveexec_b64 s[28:29], vcc
	s_xor_b64 s[28:29], exec, s[28:29]
	s_cbranch_execz .LBB6_15854
; %bb.15853:                            ;   in Loop: Header=BB6_13186 Depth=3
	v_ffbh_u32_e32 v16, v5
	v_min_u32_e32 v16, 32, v16
	v_subrev_u32_e32 v17, 29, v16
	v_lshlrev_b64 v[21:22], v17, v[0:1]
	v_bfe_u32 v3, v36, 2, 5
	v_sub_u32_e32 v1, 30, v16
	v_and_b32_e32 v16, 3, v21
	v_cmp_eq_u32_e32 vcc, 0, v3
	v_cndmask_b32_e32 v1, v3, v1, vcc
	v_cndmask_b32_e32 v3, v5, v16, vcc
	v_lshlrev_b32_e32 v5, 24, v36
	v_and_b32_e32 v5, 0x80000000, v5
	v_lshl_add_u32 v1, v1, 23, v5
	v_lshl_or_b32 v1, v3, 21, v1
	v_add_u32_e32 v3, 0x38000000, v1
                                        ; implicit-def: $vgpr5
                                        ; implicit-def: $vgpr36
.LBB6_15854:                            ;   in Loop: Header=BB6_13186 Depth=3
	s_andn2_saveexec_b64 s[36:37], s[28:29]
; %bb.15855:                            ;   in Loop: Header=BB6_13186 Depth=3
	v_and_b32_e32 v1, 0x80, v36
	v_cmp_eq_u32_e64 s[28:29], 0, v1
	v_mov_b32_e32 v1, 0xff800000
	v_mov_b32_e32 v3, 0x7f800000
	v_cmp_eq_u32_e32 vcc, 0, v5
	v_cndmask_b32_e64 v1, v1, v3, s[28:29]
	v_mov_b32_e32 v3, 0x7f800001
	v_cndmask_b32_e32 v3, v3, v1, vcc
; %bb.15856:                            ;   in Loop: Header=BB6_13186 Depth=3
	s_or_b64 exec, exec, s[36:37]
.LBB6_15857:                            ;   in Loop: Header=BB6_13186 Depth=3
	s_or_b64 exec, exec, s[34:35]
.LBB6_15858:                            ;   in Loop: Header=BB6_13186 Depth=3
	s_or_b64 exec, exec, s[30:31]
	v_cmp_ne_u16_sdwa s[62:63], v18, v33 src0_sel:BYTE_0 src1_sel:DWORD
	s_and_saveexec_b64 s[28:29], s[62:63]
	s_cbranch_execz .LBB6_15866
; %bb.15859:                            ;   in Loop: Header=BB6_13186 Depth=3
	v_cmp_ne_u16_sdwa s[62:63], sext(v18), s46 src0_sel:BYTE_0 src1_sel:DWORD
	v_bfrev_b32_e32 v2, 1
	s_and_saveexec_b64 s[30:31], s[62:63]
	s_cbranch_execz .LBB6_15865
; %bb.15860:                            ;   in Loop: Header=BB6_13186 Depth=3
	v_and_b32_e32 v2, 0x7c, v18
	v_and_b32_e32 v1, 3, v18
	v_cmp_ne_u32_e32 vcc, s86, v2
                                        ; implicit-def: $vgpr2
	s_and_saveexec_b64 s[62:63], vcc
	s_xor_b64 s[34:35], exec, s[62:63]
	s_cbranch_execz .LBB6_15862
; %bb.15861:                            ;   in Loop: Header=BB6_13186 Depth=3
	v_ffbh_u32_e32 v5, v1
	v_min_u32_e32 v5, 32, v5
	v_bfe_u32 v2, v18, 2, 5
	v_subrev_u32_e32 v16, 29, v5
	v_lshlrev_b64 v[21:22], v16, v[18:19]
	v_sub_u32_e32 v5, 30, v5
	v_cmp_eq_u32_e32 vcc, 0, v2
	v_cndmask_b32_e32 v2, v2, v5, vcc
	v_lshlrev_b32_e32 v5, 24, v18
	v_and_b32_e32 v16, 3, v21
	v_and_b32_e32 v5, 0x80000000, v5
	v_cndmask_b32_e32 v1, v1, v16, vcc
	v_lshl_add_u32 v2, v2, 23, v5
	v_lshl_or_b32 v1, v1, 21, v2
	v_add_u32_e32 v2, 0x38000000, v1
                                        ; implicit-def: $vgpr1
.LBB6_15862:                            ;   in Loop: Header=BB6_13186 Depth=3
	s_andn2_saveexec_b64 s[34:35], s[34:35]
; %bb.15863:                            ;   in Loop: Header=BB6_13186 Depth=3
	v_mov_b32_e32 v2, -1
	v_cmp_gt_i16_sdwa vcc, sext(v18), v2 src0_sel:BYTE_0 src1_sel:DWORD
	v_mov_b32_e32 v2, 0xff800000
	v_mov_b32_e32 v5, 0x7f800000
	v_cndmask_b32_e32 v2, v2, v5, vcc
	v_cmp_eq_u32_e32 vcc, 0, v1
	v_mov_b32_e32 v1, 0x7f800001
	v_cndmask_b32_e32 v2, v1, v2, vcc
; %bb.15864:                            ;   in Loop: Header=BB6_13186 Depth=3
	s_or_b64 exec, exec, s[34:35]
.LBB6_15865:                            ;   in Loop: Header=BB6_13186 Depth=3
	s_or_b64 exec, exec, s[30:31]
.LBB6_15866:                            ;   in Loop: Header=BB6_13186 Depth=3
	s_or_b64 exec, exec, s[28:29]
	v_add_f32_e32 v3, v3, v2
	v_and_b32_e32 v21, 0x7f800000, v3
	v_mov_b32_e32 v22, v33
	v_cmp_ne_u64_e32 vcc, s[76:77], v[21:22]
	v_and_b32_e32 v1, 0x7fffff, v3
	v_mov_b32_e32 v2, v33
                                        ; implicit-def: $vgpr5
                                        ; kill: killed $vgpr5
	s_and_saveexec_b64 s[28:29], vcc
	s_xor_b64 s[30:31], exec, s[28:29]
	s_cbranch_execz .LBB6_15880
; %bb.15867:                            ;   in Loop: Header=BB6_13186 Depth=3
	v_and_b32_e32 v21, 0x7fffffff, v3
	v_mov_b32_e32 v22, v33
	v_cmp_gt_u64_e32 vcc, s[78:79], v[21:22]
	v_and_b32_sdwa v21, v3, s97 dst_sel:DWORD dst_unused:UNUSED_PAD src0_sel:BYTE_3 src1_sel:DWORD
                                        ; implicit-def: $vgpr5
                                        ; kill: killed $vgpr5
	s_and_saveexec_b64 s[28:29], vcc
	s_xor_b64 s[34:35], exec, s[28:29]
	s_cbranch_execz .LBB6_15877
; %bb.15868:                            ;   in Loop: Header=BB6_13186 Depth=3
	v_mov_b32_e32 v5, 0
	v_cmp_ne_u32_e32 vcc, 0, v3
	buffer_store_dword v5, off, s[0:3], s33 offset:332 ; 4-byte Folded Spill
	s_and_saveexec_b64 s[36:37], vcc
	s_cbranch_execz .LBB6_15876
; %bb.15869:                            ;   in Loop: Header=BB6_13186 Depth=3
	v_bfe_u32 v5, v3, 23, 8
	v_cmp_gt_u32_e64 s[28:29], s47, v5
	v_sub_u32_e32 v3, 0x71, v5
	v_cmp_eq_u32_e32 vcc, 0, v5
	v_cndmask_b32_e64 v3, 0, v3, s[28:29]
	v_mov_b32_e32 v17, 0x70
	v_cndmask_b32_e32 v17, v3, v17, vcc
	v_add_u32_e32 v3, 21, v17
	v_or_b32_e32 v16, 0x800000, v1
	v_lshlrev_b64 v[22:23], v3, -1
	v_cndmask_b32_e32 v1, v16, v1, vcc
	v_add_u32_e32 v3, 20, v17
	v_bfi_b32 v22, v22, 0, v1
	v_lshlrev_b64 v[31:32], v3, 1
	v_lshrrev_b64 v[1:2], v17, v[1:2]
	v_bfi_b32 v23, v23, 0, 0
	v_cmp_eq_u64_e64 s[28:29], v[22:23], v[31:32]
	v_mov_b32_e32 v3, v2
	v_mov_b32_e32 v2, v1
	s_and_saveexec_b64 s[38:39], s[28:29]
; %bb.15870:                            ;   in Loop: Header=BB6_13186 Depth=3
	v_bfe_u32 v2, v1, 21, 1
	v_add_co_u32_e64 v2, s[28:29], v1, v2
	v_add_co_u32_e64 v2, s[28:29], -1, v2
; %bb.15871:                            ;   in Loop: Header=BB6_13186 Depth=3
	s_or_b64 exec, exec, s[38:39]
	v_add_u32_e32 v3, 0xffffff81, v5
	v_mov_b32_e32 v5, 0xffffff82
	v_cndmask_b32_e32 v3, v3, v5, vcc
	v_lshrrev_b32_e32 v5, 23, v1
	v_add3_u32 v17, v17, v3, v5
	v_add_u32_e32 v5, 14, v17
	v_and_b32_e32 v2, 0x1fffff, v2
	v_add_u32_e32 v1, v2, v1
	v_mov_b32_e32 v2, v33
	v_cmp_ne_u32_e32 vcc, 0, v5
                                        ; implicit-def: $vgpr3
	s_and_saveexec_b64 s[28:29], vcc
	s_xor_b64 s[28:29], exec, s[28:29]
; %bb.15872:                            ;   in Loop: Header=BB6_13186 Depth=3
	v_cmp_lt_u64_e32 vcc, s[88:89], v[1:2]
	v_add_u32_e32 v3, 15, v17
	v_cndmask_b32_e32 v3, v5, v3, vcc
	v_cndmask_b32_e64 v5, 0, 1, vcc
	v_lshrrev_b64 v[1:2], v5, v[1:2]
; %bb.15873:                            ;   in Loop: Header=BB6_13186 Depth=3
	s_andn2_saveexec_b64 s[28:29], s[28:29]
; %bb.15874:                            ;   in Loop: Header=BB6_13186 Depth=3
	v_bfe_u32 v3, v1, 23, 1
; %bb.15875:                            ;   in Loop: Header=BB6_13186 Depth=3
	s_or_b64 exec, exec, s[28:29]
	v_lshrrev_b64 v[1:2], 21, v[1:2]
	v_cmp_gt_i32_e32 vcc, 32, v3
	v_cndmask_b32_e32 v2, 0, v2, vcc
	v_cndmask_b32_e32 v1, 3, v1, vcc
	v_cmp_eq_u64_e64 s[28:29], 0, v[1:2]
	v_min_i32_e32 v2, 31, v3
	v_lshlrev_b32_e32 v2, 2, v2
	v_cmp_eq_u32_e32 vcc, 0, v3
	v_and_b32_e32 v2, 0xfc, v2
	v_and_or_b32 v1, v1, 3, v2
	s_and_b64 s[28:29], vcc, s[28:29]
	v_cndmask_b32_e64 v1, v1, 0, s[28:29]
	v_or_b32_e32 v1, v1, v21
	buffer_store_dword v1, off, s[0:3], s33 offset:332 ; 4-byte Folded Spill
.LBB6_15876:                            ;   in Loop: Header=BB6_13186 Depth=3
	s_or_b64 exec, exec, s[36:37]
                                        ; implicit-def: $vgpr21
.LBB6_15877:                            ;   in Loop: Header=BB6_13186 Depth=3
	s_andn2_saveexec_b64 s[28:29], s[34:35]
	s_cbranch_execz .LBB6_15879
; %bb.15878:                            ;   in Loop: Header=BB6_13186 Depth=3
	v_or_b32_e32 v1, 0x7b, v21
	buffer_store_dword v1, off, s[0:3], s33 offset:332 ; 4-byte Folded Spill
.LBB6_15879:                            ;   in Loop: Header=BB6_13186 Depth=3
	s_or_b64 exec, exec, s[28:29]
                                        ; implicit-def: $vgpr3
                                        ; implicit-def: $vgpr1_vgpr2
.LBB6_15880:                            ;   in Loop: Header=BB6_13186 Depth=3
	s_andn2_saveexec_b64 s[28:29], s[30:31]
	s_cbranch_execz .LBB6_15886
; %bb.15881:                            ;   in Loop: Header=BB6_13186 Depth=3
	v_cmp_ne_u64_e32 vcc, 0, v[1:2]
                                        ; implicit-def: $vgpr1
                                        ; kill: killed $vgpr1
	s_and_saveexec_b64 s[62:63], vcc
	s_xor_b64 vcc, exec, s[62:63]
	s_cbranch_execz .LBB6_15883
; %bb.15882:                            ;   in Loop: Header=BB6_13186 Depth=3
	v_or_b32_sdwa v1, v3, s44 dst_sel:DWORD dst_unused:UNUSED_PAD src0_sel:BYTE_3 src1_sel:DWORD
	buffer_store_dword v1, off, s[0:3], s33 offset:332 ; 4-byte Folded Spill
                                        ; implicit-def: $vgpr3
.LBB6_15883:                            ;   in Loop: Header=BB6_13186 Depth=3
	s_andn2_saveexec_b64 s[30:31], vcc
	s_cbranch_execz .LBB6_15885
; %bb.15884:                            ;   in Loop: Header=BB6_13186 Depth=3
	v_cmp_lt_i32_e32 vcc, -1, v3
	v_bfrev_b32_e32 v1, 0.5
	v_mov_b32_e32 v2, 0x7c
	v_cndmask_b32_e32 v1, v1, v2, vcc
	buffer_store_dword v1, off, s[0:3], s33 offset:332 ; 4-byte Folded Spill
.LBB6_15885:                            ;   in Loop: Header=BB6_13186 Depth=3
	s_or_b64 exec, exec, s[30:31]
.LBB6_15886:                            ;   in Loop: Header=BB6_13186 Depth=3
	s_or_b64 exec, exec, s[28:29]
	v_lshrrev_b16_e32 v1, 8, v20
	v_cmp_ne_u16_e32 vcc, 0, v1
	v_mov_b32_e32 v3, 0
	v_mov_b32_e32 v5, 0
	s_and_saveexec_b64 s[28:29], vcc
	s_cbranch_execz .LBB6_15894
; %bb.15887:                            ;   in Loop: Header=BB6_13186 Depth=3
	v_cmp_ne_u16_e32 vcc, s97, v1
	v_bfrev_b32_e32 v5, 1
	s_and_saveexec_b64 s[30:31], vcc
	s_cbranch_execz .LBB6_15893
; %bb.15888:                            ;   in Loop: Header=BB6_13186 Depth=3
	v_and_b32_e32 v2, 0x7c, v1
	v_and_b32_e32 v21, 3, v1
	v_cmp_ne_u32_e32 vcc, s86, v2
                                        ; implicit-def: $vgpr5
	s_and_saveexec_b64 s[62:63], vcc
	s_xor_b64 s[34:35], exec, s[62:63]
	s_cbranch_execz .LBB6_15890
; %bb.15889:                            ;   in Loop: Header=BB6_13186 Depth=3
	v_ffbh_u32_e32 v16, v21
	v_min_u32_e32 v16, 32, v16
	v_mov_b32_e32 v2, v33
	v_subrev_u32_e32 v17, 29, v16
	v_bfe_u32 v5, v1, 2, 5
	v_lshlrev_b64 v[1:2], v17, v[1:2]
	v_sub_u32_e32 v2, 30, v16
	v_cmp_eq_u32_e32 vcc, 0, v5
	v_cndmask_b32_e32 v2, v5, v2, vcc
	v_lshlrev_b32_e32 v5, 16, v20
	v_and_b32_e32 v1, 3, v1
	v_and_b32_e32 v5, 0x80000000, v5
	v_cndmask_b32_e32 v1, v21, v1, vcc
	v_lshl_add_u32 v2, v2, 23, v5
	v_lshl_or_b32 v1, v1, 21, v2
	v_add_u32_e32 v5, 0x38000000, v1
                                        ; implicit-def: $vgpr21
                                        ; implicit-def: $vgpr20
.LBB6_15890:                            ;   in Loop: Header=BB6_13186 Depth=3
	s_andn2_saveexec_b64 s[34:35], s[34:35]
; %bb.15891:                            ;   in Loop: Header=BB6_13186 Depth=3
	v_cmp_lt_i16_e32 vcc, -1, v20
	v_mov_b32_e32 v1, 0xff800000
	v_mov_b32_e32 v2, 0x7f800000
	v_cndmask_b32_e32 v1, v1, v2, vcc
	v_cmp_eq_u32_e32 vcc, 0, v21
	v_mov_b32_e32 v2, 0x7f800001
	v_cndmask_b32_e32 v5, v2, v1, vcc
; %bb.15892:                            ;   in Loop: Header=BB6_13186 Depth=3
	s_or_b64 exec, exec, s[34:35]
.LBB6_15893:                            ;   in Loop: Header=BB6_13186 Depth=3
	s_or_b64 exec, exec, s[30:31]
.LBB6_15894:                            ;   in Loop: Header=BB6_13186 Depth=3
	s_or_b64 exec, exec, s[28:29]
	v_lshrrev_b16_e32 v1, 8, v18
	v_cmp_ne_u16_e32 vcc, 0, v1
	s_and_saveexec_b64 s[28:29], vcc
	s_cbranch_execz .LBB6_15902
; %bb.15895:                            ;   in Loop: Header=BB6_13186 Depth=3
	v_cmp_ne_u16_e32 vcc, s97, v1
	v_bfrev_b32_e32 v3, 1
	s_and_saveexec_b64 s[30:31], vcc
	s_cbranch_execz .LBB6_15901
; %bb.15896:                            ;   in Loop: Header=BB6_13186 Depth=3
	v_and_b32_e32 v2, 0x7c, v1
	v_and_b32_e32 v20, 3, v1
	v_cmp_ne_u32_e32 vcc, s86, v2
                                        ; implicit-def: $vgpr3
	s_and_saveexec_b64 s[62:63], vcc
	s_xor_b64 s[34:35], exec, s[62:63]
	s_cbranch_execz .LBB6_15898
; %bb.15897:                            ;   in Loop: Header=BB6_13186 Depth=3
	v_ffbh_u32_e32 v16, v20
	v_min_u32_e32 v16, 32, v16
	v_mov_b32_e32 v2, v33
	v_subrev_u32_e32 v17, 29, v16
	v_bfe_u32 v3, v1, 2, 5
	v_lshlrev_b64 v[1:2], v17, v[1:2]
	v_sub_u32_e32 v2, 30, v16
	v_cmp_eq_u32_e32 vcc, 0, v3
	v_cndmask_b32_e32 v2, v3, v2, vcc
	v_lshlrev_b32_e32 v3, 16, v18
	v_and_b32_e32 v1, 3, v1
	v_and_b32_e32 v3, 0x80000000, v3
	v_cndmask_b32_e32 v1, v20, v1, vcc
	v_lshl_add_u32 v2, v2, 23, v3
	v_lshl_or_b32 v1, v1, 21, v2
	v_add_u32_e32 v3, 0x38000000, v1
                                        ; implicit-def: $vgpr20
.LBB6_15898:                            ;   in Loop: Header=BB6_13186 Depth=3
	s_andn2_saveexec_b64 s[34:35], s[34:35]
; %bb.15899:                            ;   in Loop: Header=BB6_13186 Depth=3
	v_cmp_lt_i16_e32 vcc, -1, v18
	v_mov_b32_e32 v1, 0xff800000
	v_mov_b32_e32 v2, 0x7f800000
	v_cndmask_b32_e32 v1, v1, v2, vcc
	v_cmp_eq_u32_e32 vcc, 0, v20
	v_mov_b32_e32 v2, 0x7f800001
	v_cndmask_b32_e32 v3, v2, v1, vcc
; %bb.15900:                            ;   in Loop: Header=BB6_13186 Depth=3
	s_or_b64 exec, exec, s[34:35]
.LBB6_15901:                            ;   in Loop: Header=BB6_13186 Depth=3
	s_or_b64 exec, exec, s[30:31]
.LBB6_15902:                            ;   in Loop: Header=BB6_13186 Depth=3
	s_or_b64 exec, exec, s[28:29]
	v_add_f32_e32 v3, v5, v3
	v_and_b32_e32 v20, 0x7f800000, v3
	v_mov_b32_e32 v21, v33
	v_cmp_ne_u64_e32 vcc, s[76:77], v[20:21]
	v_and_b32_e32 v1, 0x7fffff, v3
	v_mov_b32_e32 v2, v33
                                        ; implicit-def: $vgpr36
	s_and_saveexec_b64 s[28:29], vcc
	s_xor_b64 s[30:31], exec, s[28:29]
	s_cbranch_execz .LBB6_15916
; %bb.15903:                            ;   in Loop: Header=BB6_13186 Depth=3
	v_and_b32_e32 v20, 0x7fffffff, v3
	v_mov_b32_e32 v21, v33
	v_cmp_gt_u64_e32 vcc, s[78:79], v[20:21]
	v_and_b32_sdwa v20, v3, s97 dst_sel:DWORD dst_unused:UNUSED_PAD src0_sel:BYTE_3 src1_sel:DWORD
                                        ; implicit-def: $vgpr36
	s_and_saveexec_b64 s[28:29], vcc
	s_xor_b64 s[34:35], exec, s[28:29]
	s_cbranch_execz .LBB6_15913
; %bb.15904:                            ;   in Loop: Header=BB6_13186 Depth=3
	v_mov_b32_e32 v36, 0
	v_cmp_ne_u32_e32 vcc, 0, v3
	s_and_saveexec_b64 s[36:37], vcc
	s_cbranch_execz .LBB6_15912
; %bb.15905:                            ;   in Loop: Header=BB6_13186 Depth=3
	v_bfe_u32 v5, v3, 23, 8
	v_cmp_gt_u32_e64 s[28:29], s47, v5
	v_sub_u32_e32 v3, 0x71, v5
	v_cmp_eq_u32_e32 vcc, 0, v5
	v_cndmask_b32_e64 v3, 0, v3, s[28:29]
	v_mov_b32_e32 v17, 0x70
	v_cndmask_b32_e32 v21, v3, v17, vcc
	v_add_u32_e32 v3, 21, v21
	v_or_b32_e32 v16, 0x800000, v1
	v_lshlrev_b64 v[22:23], v3, -1
	v_cndmask_b32_e32 v1, v16, v1, vcc
	v_add_u32_e32 v3, 20, v21
	v_bfi_b32 v22, v22, 0, v1
	v_lshlrev_b64 v[31:32], v3, 1
	v_lshrrev_b64 v[1:2], v21, v[1:2]
	v_bfi_b32 v23, v23, 0, 0
	v_cmp_eq_u64_e64 s[28:29], v[22:23], v[31:32]
	v_mov_b32_e32 v3, v2
	v_mov_b32_e32 v2, v1
	s_and_saveexec_b64 s[38:39], s[28:29]
; %bb.15906:                            ;   in Loop: Header=BB6_13186 Depth=3
	v_bfe_u32 v2, v1, 21, 1
	v_add_co_u32_e64 v2, s[28:29], v1, v2
	v_add_co_u32_e64 v2, s[28:29], -1, v2
; %bb.15907:                            ;   in Loop: Header=BB6_13186 Depth=3
	s_or_b64 exec, exec, s[38:39]
	v_add_u32_e32 v3, 0xffffff81, v5
	v_mov_b32_e32 v5, 0xffffff82
	v_cndmask_b32_e32 v3, v3, v5, vcc
	v_lshrrev_b32_e32 v5, 23, v1
	v_add3_u32 v21, v21, v3, v5
	v_add_u32_e32 v5, 14, v21
	v_and_b32_e32 v2, 0x1fffff, v2
	v_add_u32_e32 v1, v2, v1
	v_mov_b32_e32 v2, v33
	v_cmp_ne_u32_e32 vcc, 0, v5
                                        ; implicit-def: $vgpr3
	s_and_saveexec_b64 s[28:29], vcc
	s_xor_b64 s[28:29], exec, s[28:29]
; %bb.15908:                            ;   in Loop: Header=BB6_13186 Depth=3
	v_cmp_lt_u64_e32 vcc, s[88:89], v[1:2]
	v_add_u32_e32 v3, 15, v21
	v_cndmask_b32_e32 v3, v5, v3, vcc
	v_cndmask_b32_e64 v5, 0, 1, vcc
	v_lshrrev_b64 v[1:2], v5, v[1:2]
; %bb.15909:                            ;   in Loop: Header=BB6_13186 Depth=3
	s_andn2_saveexec_b64 s[28:29], s[28:29]
; %bb.15910:                            ;   in Loop: Header=BB6_13186 Depth=3
	v_bfe_u32 v3, v1, 23, 1
; %bb.15911:                            ;   in Loop: Header=BB6_13186 Depth=3
	s_or_b64 exec, exec, s[28:29]
	v_lshrrev_b64 v[1:2], 21, v[1:2]
	v_cmp_gt_i32_e32 vcc, 32, v3
	v_cndmask_b32_e32 v2, 0, v2, vcc
	v_cndmask_b32_e32 v1, 3, v1, vcc
	v_cmp_eq_u64_e64 s[28:29], 0, v[1:2]
	v_min_i32_e32 v2, 31, v3
	v_lshlrev_b32_e32 v2, 2, v2
	v_cmp_eq_u32_e32 vcc, 0, v3
	v_and_b32_e32 v2, 0xfc, v2
	v_and_or_b32 v1, v1, 3, v2
	s_and_b64 s[28:29], vcc, s[28:29]
	v_cndmask_b32_e64 v1, v1, 0, s[28:29]
	v_or_b32_e32 v36, v1, v20
.LBB6_15912:                            ;   in Loop: Header=BB6_13186 Depth=3
	s_or_b64 exec, exec, s[36:37]
                                        ; implicit-def: $vgpr20
.LBB6_15913:                            ;   in Loop: Header=BB6_13186 Depth=3
	s_andn2_saveexec_b64 s[28:29], s[34:35]
; %bb.15914:                            ;   in Loop: Header=BB6_13186 Depth=3
	v_or_b32_e32 v36, 0x7b, v20
; %bb.15915:                            ;   in Loop: Header=BB6_13186 Depth=3
	s_or_b64 exec, exec, s[28:29]
                                        ; implicit-def: $vgpr3
                                        ; implicit-def: $vgpr1_vgpr2
.LBB6_15916:                            ;   in Loop: Header=BB6_13186 Depth=3
	s_andn2_saveexec_b64 s[28:29], s[30:31]
	s_cbranch_execz .LBB6_15922
; %bb.15917:                            ;   in Loop: Header=BB6_13186 Depth=3
	v_cmp_ne_u64_e32 vcc, 0, v[1:2]
                                        ; implicit-def: $vgpr36
	s_and_saveexec_b64 s[62:63], vcc
	s_xor_b64 vcc, exec, s[62:63]
; %bb.15918:                            ;   in Loop: Header=BB6_13186 Depth=3
	v_or_b32_sdwa v36, v3, s44 dst_sel:DWORD dst_unused:UNUSED_PAD src0_sel:BYTE_3 src1_sel:DWORD
                                        ; implicit-def: $vgpr3
; %bb.15919:                            ;   in Loop: Header=BB6_13186 Depth=3
	s_andn2_saveexec_b64 s[30:31], vcc
; %bb.15920:                            ;   in Loop: Header=BB6_13186 Depth=3
	v_cmp_lt_i32_e32 vcc, -1, v3
	v_bfrev_b32_e32 v1, 0.5
	v_mov_b32_e32 v2, 0x7c
	v_cndmask_b32_e32 v36, v1, v2, vcc
; %bb.15921:                            ;   in Loop: Header=BB6_13186 Depth=3
	s_or_b64 exec, exec, s[30:31]
.LBB6_15922:                            ;   in Loop: Header=BB6_13186 Depth=3
	s_or_b64 exec, exec, s[28:29]
	v_and_b32_sdwa v5, v0, s96 dst_sel:DWORD dst_unused:UNUSED_PAD src0_sel:WORD_1 src1_sel:DWORD
	v_lshrrev_b32_e32 v1, 16, v0
	v_cmp_ne_u16_e32 vcc, 0, v5
	v_mov_b32_e32 v2, 0
	v_mov_b32_e32 v3, 0
	s_and_saveexec_b64 s[28:29], vcc
	s_cbranch_execz .LBB6_15930
; %bb.15923:                            ;   in Loop: Header=BB6_13186 Depth=3
	v_cmp_ne_u16_e32 vcc, s97, v5
	v_bfrev_b32_e32 v3, 1
	s_and_saveexec_b64 s[30:31], vcc
	s_cbranch_execz .LBB6_15929
; %bb.15924:                            ;   in Loop: Header=BB6_13186 Depth=3
	v_and_b32_e32 v3, 0x7c0000, v0
	v_bfe_u32 v5, v0, 16, 2
	v_cmp_ne_u32_e32 vcc, s45, v3
                                        ; implicit-def: $vgpr3
	s_and_saveexec_b64 s[62:63], vcc
	s_xor_b64 s[34:35], exec, s[62:63]
	s_cbranch_execz .LBB6_15926
; %bb.15925:                            ;   in Loop: Header=BB6_13186 Depth=3
	v_ffbh_u32_e32 v16, v5
	v_min_u32_e32 v16, 32, v16
	v_subrev_u32_e32 v17, 29, v16
	v_lshlrev_b64 v[20:21], v17, v[1:2]
	v_bfe_u32 v3, v0, 18, 5
	v_sub_u32_e32 v1, 30, v16
	v_and_b32_e32 v16, 3, v20
	v_cmp_eq_u32_e32 vcc, 0, v3
	v_cndmask_b32_e32 v1, v3, v1, vcc
	v_cndmask_b32_e32 v3, v5, v16, vcc
	v_lshlrev_b32_e32 v5, 8, v0
	v_and_b32_e32 v5, 0x80000000, v5
	v_lshl_add_u32 v1, v1, 23, v5
	v_lshl_or_b32 v1, v3, 21, v1
	v_add_u32_e32 v3, 0x38000000, v1
                                        ; implicit-def: $vgpr5
                                        ; implicit-def: $vgpr1
.LBB6_15926:                            ;   in Loop: Header=BB6_13186 Depth=3
	s_andn2_saveexec_b64 s[34:35], s[34:35]
; %bb.15927:                            ;   in Loop: Header=BB6_13186 Depth=3
	v_mov_b32_e32 v3, -1
	v_cmp_gt_i16_sdwa vcc, sext(v1), v3 src0_sel:BYTE_0 src1_sel:DWORD
	v_mov_b32_e32 v1, 0xff800000
	v_mov_b32_e32 v3, 0x7f800000
	v_cndmask_b32_e32 v1, v1, v3, vcc
	v_cmp_eq_u32_e32 vcc, 0, v5
	v_mov_b32_e32 v3, 0x7f800001
	v_cndmask_b32_e32 v3, v3, v1, vcc
; %bb.15928:                            ;   in Loop: Header=BB6_13186 Depth=3
	s_or_b64 exec, exec, s[34:35]
.LBB6_15929:                            ;   in Loop: Header=BB6_13186 Depth=3
	s_or_b64 exec, exec, s[30:31]
.LBB6_15930:                            ;   in Loop: Header=BB6_13186 Depth=3
	s_or_b64 exec, exec, s[28:29]
	v_lshrrev_b32_e32 v1, 16, v18
	v_cmp_ne_u16_sdwa s[62:63], v1, v33 src0_sel:BYTE_0 src1_sel:DWORD
	s_and_saveexec_b64 s[28:29], s[62:63]
	s_cbranch_execz .LBB6_15938
; %bb.15931:                            ;   in Loop: Header=BB6_13186 Depth=3
	v_cmp_ne_u16_sdwa s[62:63], v1, s97 src0_sel:BYTE_0 src1_sel:DWORD
	v_bfrev_b32_e32 v2, 1
	s_and_saveexec_b64 s[30:31], s[62:63]
	s_cbranch_execz .LBB6_15937
; %bb.15932:                            ;   in Loop: Header=BB6_13186 Depth=3
	v_and_b32_e32 v2, 0x7c0000, v18
	v_bfe_u32 v5, v18, 16, 2
	v_cmp_ne_u32_e32 vcc, s45, v2
                                        ; implicit-def: $vgpr2
	s_and_saveexec_b64 s[62:63], vcc
	s_xor_b64 s[34:35], exec, s[62:63]
	s_cbranch_execz .LBB6_15934
; %bb.15933:                            ;   in Loop: Header=BB6_13186 Depth=3
	v_ffbh_u32_e32 v2, v5
	v_min_u32_e32 v17, 32, v2
	v_subrev_u32_e32 v2, 29, v17
	v_lshlrev_b64 v[1:2], v2, v[1:2]
	v_bfe_u32 v16, v18, 18, 5
	v_and_b32_e32 v1, 3, v1
	v_cmp_eq_u32_e32 vcc, 0, v16
	v_sub_u32_e32 v2, 30, v17
	v_cndmask_b32_e32 v1, v5, v1, vcc
	v_lshlrev_b32_e32 v5, 8, v18
	v_cndmask_b32_e32 v2, v16, v2, vcc
	v_and_b32_e32 v5, 0x80000000, v5
	v_lshl_add_u32 v2, v2, 23, v5
	v_lshl_or_b32 v1, v1, 21, v2
	v_add_u32_e32 v2, 0x38000000, v1
                                        ; implicit-def: $vgpr5
                                        ; implicit-def: $vgpr1
.LBB6_15934:                            ;   in Loop: Header=BB6_13186 Depth=3
	s_andn2_saveexec_b64 s[34:35], s[34:35]
; %bb.15935:                            ;   in Loop: Header=BB6_13186 Depth=3
	v_mov_b32_e32 v2, -1
	v_cmp_gt_i16_sdwa vcc, sext(v1), v2 src0_sel:BYTE_0 src1_sel:DWORD
	v_mov_b32_e32 v1, 0xff800000
	v_mov_b32_e32 v2, 0x7f800000
	v_cndmask_b32_e32 v1, v1, v2, vcc
	v_cmp_eq_u32_e32 vcc, 0, v5
	v_mov_b32_e32 v2, 0x7f800001
	v_cndmask_b32_e32 v2, v2, v1, vcc
; %bb.15936:                            ;   in Loop: Header=BB6_13186 Depth=3
	s_or_b64 exec, exec, s[34:35]
.LBB6_15937:                            ;   in Loop: Header=BB6_13186 Depth=3
	s_or_b64 exec, exec, s[30:31]
.LBB6_15938:                            ;   in Loop: Header=BB6_13186 Depth=3
	s_or_b64 exec, exec, s[28:29]
	v_add_f32_e32 v3, v3, v2
	v_and_b32_e32 v20, 0x7f800000, v3
	v_mov_b32_e32 v21, v33
	v_cmp_ne_u64_e32 vcc, s[76:77], v[20:21]
	v_and_b32_e32 v1, 0x7fffff, v3
	v_mov_b32_e32 v2, v33
                                        ; implicit-def: $vgpr51
	s_and_saveexec_b64 s[28:29], vcc
	s_xor_b64 s[30:31], exec, s[28:29]
	s_cbranch_execz .LBB6_15952
; %bb.15939:                            ;   in Loop: Header=BB6_13186 Depth=3
	v_and_b32_e32 v20, 0x7fffffff, v3
	v_mov_b32_e32 v21, v33
	v_cmp_gt_u64_e32 vcc, s[78:79], v[20:21]
	v_and_b32_sdwa v20, v3, s97 dst_sel:DWORD dst_unused:UNUSED_PAD src0_sel:BYTE_3 src1_sel:DWORD
                                        ; implicit-def: $vgpr51
	s_and_saveexec_b64 s[28:29], vcc
	s_xor_b64 s[34:35], exec, s[28:29]
	s_cbranch_execz .LBB6_15949
; %bb.15940:                            ;   in Loop: Header=BB6_13186 Depth=3
	v_mov_b32_e32 v51, 0
	v_cmp_ne_u32_e32 vcc, 0, v3
	s_and_saveexec_b64 s[36:37], vcc
	s_cbranch_execz .LBB6_15948
; %bb.15941:                            ;   in Loop: Header=BB6_13186 Depth=3
	v_bfe_u32 v5, v3, 23, 8
	v_cmp_gt_u32_e64 s[28:29], s47, v5
	v_sub_u32_e32 v3, 0x71, v5
	v_cmp_eq_u32_e32 vcc, 0, v5
	v_cndmask_b32_e64 v3, 0, v3, s[28:29]
	v_mov_b32_e32 v17, 0x70
	v_cndmask_b32_e32 v21, v3, v17, vcc
	v_add_u32_e32 v3, 21, v21
	v_or_b32_e32 v16, 0x800000, v1
	v_lshlrev_b64 v[22:23], v3, -1
	v_cndmask_b32_e32 v1, v16, v1, vcc
	v_add_u32_e32 v3, 20, v21
	v_bfi_b32 v22, v22, 0, v1
	v_lshlrev_b64 v[31:32], v3, 1
	v_lshrrev_b64 v[1:2], v21, v[1:2]
	v_bfi_b32 v23, v23, 0, 0
	v_cmp_eq_u64_e64 s[28:29], v[22:23], v[31:32]
	v_mov_b32_e32 v3, v2
	v_mov_b32_e32 v2, v1
	s_and_saveexec_b64 s[38:39], s[28:29]
; %bb.15942:                            ;   in Loop: Header=BB6_13186 Depth=3
	v_bfe_u32 v2, v1, 21, 1
	v_add_co_u32_e64 v2, s[28:29], v1, v2
	v_add_co_u32_e64 v2, s[28:29], -1, v2
; %bb.15943:                            ;   in Loop: Header=BB6_13186 Depth=3
	s_or_b64 exec, exec, s[38:39]
	v_add_u32_e32 v3, 0xffffff81, v5
	v_mov_b32_e32 v5, 0xffffff82
	v_cndmask_b32_e32 v3, v3, v5, vcc
	v_lshrrev_b32_e32 v5, 23, v1
	v_add3_u32 v21, v21, v3, v5
	v_add_u32_e32 v5, 14, v21
	v_and_b32_e32 v2, 0x1fffff, v2
	v_add_u32_e32 v1, v2, v1
	v_mov_b32_e32 v2, v33
	v_cmp_ne_u32_e32 vcc, 0, v5
                                        ; implicit-def: $vgpr3
	s_and_saveexec_b64 s[28:29], vcc
	s_xor_b64 s[28:29], exec, s[28:29]
; %bb.15944:                            ;   in Loop: Header=BB6_13186 Depth=3
	v_cmp_lt_u64_e32 vcc, s[88:89], v[1:2]
	v_add_u32_e32 v3, 15, v21
	v_cndmask_b32_e32 v3, v5, v3, vcc
	v_cndmask_b32_e64 v5, 0, 1, vcc
	v_lshrrev_b64 v[1:2], v5, v[1:2]
; %bb.15945:                            ;   in Loop: Header=BB6_13186 Depth=3
	s_andn2_saveexec_b64 s[28:29], s[28:29]
; %bb.15946:                            ;   in Loop: Header=BB6_13186 Depth=3
	v_bfe_u32 v3, v1, 23, 1
; %bb.15947:                            ;   in Loop: Header=BB6_13186 Depth=3
	s_or_b64 exec, exec, s[28:29]
	v_lshrrev_b64 v[1:2], 21, v[1:2]
	v_cmp_gt_i32_e32 vcc, 32, v3
	v_cndmask_b32_e32 v2, 0, v2, vcc
	v_cndmask_b32_e32 v1, 3, v1, vcc
	v_cmp_eq_u64_e64 s[28:29], 0, v[1:2]
	v_min_i32_e32 v2, 31, v3
	v_lshlrev_b32_e32 v2, 2, v2
	v_cmp_eq_u32_e32 vcc, 0, v3
	v_and_b32_e32 v2, 0xfc, v2
	v_and_or_b32 v1, v1, 3, v2
	s_and_b64 s[28:29], vcc, s[28:29]
	v_cndmask_b32_e64 v1, v1, 0, s[28:29]
	v_or_b32_e32 v51, v1, v20
.LBB6_15948:                            ;   in Loop: Header=BB6_13186 Depth=3
	s_or_b64 exec, exec, s[36:37]
                                        ; implicit-def: $vgpr20
.LBB6_15949:                            ;   in Loop: Header=BB6_13186 Depth=3
	s_andn2_saveexec_b64 s[28:29], s[34:35]
; %bb.15950:                            ;   in Loop: Header=BB6_13186 Depth=3
	v_or_b32_e32 v51, 0x7b, v20
; %bb.15951:                            ;   in Loop: Header=BB6_13186 Depth=3
	s_or_b64 exec, exec, s[28:29]
                                        ; implicit-def: $vgpr3
                                        ; implicit-def: $vgpr1_vgpr2
.LBB6_15952:                            ;   in Loop: Header=BB6_13186 Depth=3
	s_andn2_saveexec_b64 s[28:29], s[30:31]
	s_cbranch_execz .LBB6_15958
; %bb.15953:                            ;   in Loop: Header=BB6_13186 Depth=3
	v_cmp_ne_u64_e32 vcc, 0, v[1:2]
                                        ; implicit-def: $vgpr51
	s_and_saveexec_b64 s[62:63], vcc
	s_xor_b64 vcc, exec, s[62:63]
; %bb.15954:                            ;   in Loop: Header=BB6_13186 Depth=3
	v_or_b32_sdwa v51, v3, s44 dst_sel:DWORD dst_unused:UNUSED_PAD src0_sel:BYTE_3 src1_sel:DWORD
                                        ; implicit-def: $vgpr3
; %bb.15955:                            ;   in Loop: Header=BB6_13186 Depth=3
	s_andn2_saveexec_b64 s[30:31], vcc
; %bb.15956:                            ;   in Loop: Header=BB6_13186 Depth=3
	v_cmp_lt_i32_e32 vcc, -1, v3
	v_bfrev_b32_e32 v1, 0.5
	v_mov_b32_e32 v2, 0x7c
	v_cndmask_b32_e32 v51, v1, v2, vcc
; %bb.15957:                            ;   in Loop: Header=BB6_13186 Depth=3
	s_or_b64 exec, exec, s[30:31]
.LBB6_15958:                            ;   in Loop: Header=BB6_13186 Depth=3
	s_or_b64 exec, exec, s[28:29]
	v_cmp_lt_u32_e32 vcc, s57, v0
	v_mov_b32_e32 v2, 0
	v_mov_b32_e32 v3, 0
	s_and_saveexec_b64 s[28:29], vcc
	s_cbranch_execz .LBB6_15966
; %bb.15959:                            ;   in Loop: Header=BB6_13186 Depth=3
	v_lshrrev_b32_e32 v1, 24, v0
	v_cmp_ne_u32_e32 vcc, s97, v1
	v_bfrev_b32_e32 v3, 1
	s_and_saveexec_b64 s[30:31], vcc
	s_cbranch_execz .LBB6_15965
; %bb.15960:                            ;   in Loop: Header=BB6_13186 Depth=3
	v_and_b32_e32 v3, 0x7c000000, v0
	v_bfe_u32 v5, v0, 24, 2
	v_cmp_ne_u32_e32 vcc, s68, v3
                                        ; implicit-def: $vgpr3
	s_and_saveexec_b64 s[62:63], vcc
	s_xor_b64 s[34:35], exec, s[62:63]
	s_cbranch_execz .LBB6_15962
; %bb.15961:                            ;   in Loop: Header=BB6_13186 Depth=3
	v_ffbh_u32_e32 v16, v5
	v_min_u32_e32 v16, 32, v16
	v_subrev_u32_e32 v17, 29, v16
	v_bfe_u32 v3, v0, 26, 5
	v_lshlrev_b64 v[20:21], v17, v[1:2]
	v_sub_u32_e32 v1, 30, v16
	v_cmp_eq_u32_e32 vcc, 0, v3
	v_and_b32_e32 v16, 3, v20
	v_cndmask_b32_e32 v1, v3, v1, vcc
	v_and_b32_e32 v0, 0x80000000, v0
	v_cndmask_b32_e32 v3, v5, v16, vcc
	v_lshl_add_u32 v0, v1, 23, v0
	v_lshl_or_b32 v0, v3, 21, v0
	v_add_u32_e32 v3, 0x38000000, v0
                                        ; implicit-def: $vgpr5
                                        ; implicit-def: $vgpr0_vgpr1
.LBB6_15962:                            ;   in Loop: Header=BB6_13186 Depth=3
	s_andn2_saveexec_b64 s[34:35], s[34:35]
; %bb.15963:                            ;   in Loop: Header=BB6_13186 Depth=3
	v_cmp_lt_i32_e32 vcc, -1, v0
	v_mov_b32_e32 v0, 0xff800000
	v_mov_b32_e32 v1, 0x7f800000
	v_cndmask_b32_e32 v0, v0, v1, vcc
	v_cmp_eq_u32_e32 vcc, 0, v5
	v_mov_b32_e32 v1, 0x7f800001
	v_cndmask_b32_e32 v3, v1, v0, vcc
; %bb.15964:                            ;   in Loop: Header=BB6_13186 Depth=3
	s_or_b64 exec, exec, s[34:35]
.LBB6_15965:                            ;   in Loop: Header=BB6_13186 Depth=3
	s_or_b64 exec, exec, s[30:31]
.LBB6_15966:                            ;   in Loop: Header=BB6_13186 Depth=3
	s_or_b64 exec, exec, s[28:29]
	v_cmp_lt_u32_e32 vcc, s57, v18
	s_and_saveexec_b64 s[28:29], vcc
	s_cbranch_execz .LBB6_15974
; %bb.15967:                            ;   in Loop: Header=BB6_13186 Depth=3
	v_lshrrev_b32_e32 v0, 24, v18
	v_cmp_ne_u32_e32 vcc, s97, v0
	v_bfrev_b32_e32 v2, 1
	s_and_saveexec_b64 s[30:31], vcc
	s_cbranch_execz .LBB6_15973
; %bb.15968:                            ;   in Loop: Header=BB6_13186 Depth=3
	v_and_b32_e32 v2, 0x7c000000, v18
	v_bfe_u32 v1, v18, 24, 2
	v_cmp_ne_u32_e32 vcc, s68, v2
                                        ; implicit-def: $vgpr2
	s_and_saveexec_b64 s[62:63], vcc
	s_xor_b64 s[34:35], exec, s[62:63]
	s_cbranch_execz .LBB6_15970
; %bb.15969:                            ;   in Loop: Header=BB6_13186 Depth=3
	v_ffbh_u32_e32 v5, v1
	v_min_u32_e32 v5, 32, v5
	v_subrev_u32_e32 v16, 29, v5
	v_bfe_u32 v2, v18, 26, 5
	v_lshlrev_b64 v[20:21], v16, v[0:1]
	v_sub_u32_e32 v0, 30, v5
	v_cmp_eq_u32_e32 vcc, 0, v2
	v_and_b32_e32 v5, 3, v20
	v_cndmask_b32_e32 v0, v2, v0, vcc
	v_and_b32_e32 v2, 0x80000000, v18
	v_cndmask_b32_e32 v1, v1, v5, vcc
	v_lshl_add_u32 v0, v0, 23, v2
	v_lshl_or_b32 v0, v1, 21, v0
	v_add_u32_e32 v2, 0x38000000, v0
                                        ; implicit-def: $vgpr1
.LBB6_15970:                            ;   in Loop: Header=BB6_13186 Depth=3
	s_andn2_saveexec_b64 s[34:35], s[34:35]
; %bb.15971:                            ;   in Loop: Header=BB6_13186 Depth=3
	v_cmp_lt_i32_e32 vcc, -1, v18
	v_mov_b32_e32 v0, 0xff800000
	v_mov_b32_e32 v2, 0x7f800000
	v_cndmask_b32_e32 v0, v0, v2, vcc
	v_cmp_eq_u32_e32 vcc, 0, v1
	v_mov_b32_e32 v1, 0x7f800001
	v_cndmask_b32_e32 v2, v1, v0, vcc
; %bb.15972:                            ;   in Loop: Header=BB6_13186 Depth=3
	s_or_b64 exec, exec, s[34:35]
.LBB6_15973:                            ;   in Loop: Header=BB6_13186 Depth=3
	s_or_b64 exec, exec, s[30:31]
.LBB6_15974:                            ;   in Loop: Header=BB6_13186 Depth=3
	s_or_b64 exec, exec, s[28:29]
	v_add_f32_e32 v2, v3, v2
	v_and_b32_e32 v20, 0x7f800000, v2
	v_mov_b32_e32 v21, v33
	v_cmp_ne_u64_e32 vcc, s[76:77], v[20:21]
	v_and_b32_e32 v0, 0x7fffff, v2
	v_mov_b32_e32 v1, v33
                                        ; implicit-def: $vgpr52
	s_and_saveexec_b64 s[28:29], vcc
	s_xor_b64 s[30:31], exec, s[28:29]
	s_cbranch_execz .LBB6_15988
; %bb.15975:                            ;   in Loop: Header=BB6_13186 Depth=3
	v_and_b32_e32 v20, 0x7fffffff, v2
	v_mov_b32_e32 v21, v33
	v_cmp_gt_u64_e32 vcc, s[78:79], v[20:21]
	v_and_b32_sdwa v3, v2, s97 dst_sel:DWORD dst_unused:UNUSED_PAD src0_sel:BYTE_3 src1_sel:DWORD
                                        ; implicit-def: $vgpr52
	s_and_saveexec_b64 s[28:29], vcc
	s_xor_b64 s[34:35], exec, s[28:29]
	s_cbranch_execz .LBB6_15985
; %bb.15976:                            ;   in Loop: Header=BB6_13186 Depth=3
	v_mov_b32_e32 v52, 0
	v_cmp_ne_u32_e32 vcc, 0, v2
	s_and_saveexec_b64 s[36:37], vcc
	s_cbranch_execz .LBB6_15984
; %bb.15977:                            ;   in Loop: Header=BB6_13186 Depth=3
	v_bfe_u32 v5, v2, 23, 8
	v_cmp_gt_u32_e64 s[28:29], s47, v5
	v_sub_u32_e32 v2, 0x71, v5
	v_cmp_eq_u32_e32 vcc, 0, v5
	v_cndmask_b32_e64 v2, 0, v2, s[28:29]
	v_mov_b32_e32 v17, 0x70
	v_cndmask_b32_e32 v20, v2, v17, vcc
	v_add_u32_e32 v2, 21, v20
	v_or_b32_e32 v16, 0x800000, v0
	v_lshlrev_b64 v[21:22], v2, -1
	v_cndmask_b32_e32 v0, v16, v0, vcc
	v_add_u32_e32 v2, 20, v20
	v_bfi_b32 v21, v21, 0, v0
	v_lshlrev_b64 v[31:32], v2, 1
	v_lshrrev_b64 v[0:1], v20, v[0:1]
	v_bfi_b32 v22, v22, 0, 0
	v_cmp_eq_u64_e64 s[28:29], v[21:22], v[31:32]
	v_mov_b32_e32 v2, v1
	v_mov_b32_e32 v1, v0
	s_and_saveexec_b64 s[38:39], s[28:29]
; %bb.15978:                            ;   in Loop: Header=BB6_13186 Depth=3
	v_bfe_u32 v1, v0, 21, 1
	v_add_co_u32_e64 v1, s[28:29], v0, v1
	v_add_co_u32_e64 v1, s[28:29], -1, v1
; %bb.15979:                            ;   in Loop: Header=BB6_13186 Depth=3
	s_or_b64 exec, exec, s[38:39]
	v_add_u32_e32 v2, 0xffffff81, v5
	v_mov_b32_e32 v5, 0xffffff82
	v_cndmask_b32_e32 v2, v2, v5, vcc
	v_lshrrev_b32_e32 v5, 23, v0
	v_add3_u32 v20, v20, v2, v5
	v_add_u32_e32 v5, 14, v20
	v_and_b32_e32 v1, 0x1fffff, v1
	v_add_u32_e32 v0, v1, v0
	v_mov_b32_e32 v1, v33
	v_cmp_ne_u32_e32 vcc, 0, v5
                                        ; implicit-def: $vgpr2
	s_and_saveexec_b64 s[28:29], vcc
	s_xor_b64 s[28:29], exec, s[28:29]
; %bb.15980:                            ;   in Loop: Header=BB6_13186 Depth=3
	v_cmp_lt_u64_e32 vcc, s[88:89], v[0:1]
	v_add_u32_e32 v2, 15, v20
	v_cndmask_b32_e32 v2, v5, v2, vcc
	v_cndmask_b32_e64 v5, 0, 1, vcc
	v_lshrrev_b64 v[0:1], v5, v[0:1]
; %bb.15981:                            ;   in Loop: Header=BB6_13186 Depth=3
	s_andn2_saveexec_b64 s[28:29], s[28:29]
; %bb.15982:                            ;   in Loop: Header=BB6_13186 Depth=3
	v_bfe_u32 v2, v0, 23, 1
; %bb.15983:                            ;   in Loop: Header=BB6_13186 Depth=3
	s_or_b64 exec, exec, s[28:29]
	v_lshrrev_b64 v[0:1], 21, v[0:1]
	v_cmp_gt_i32_e32 vcc, 32, v2
	v_cndmask_b32_e32 v1, 0, v1, vcc
	v_cndmask_b32_e32 v0, 3, v0, vcc
	v_cmp_eq_u64_e64 s[28:29], 0, v[0:1]
	v_min_i32_e32 v1, 31, v2
	v_lshlrev_b32_e32 v1, 2, v1
	v_cmp_eq_u32_e32 vcc, 0, v2
	v_and_b32_e32 v1, 0xfc, v1
	v_and_or_b32 v0, v0, 3, v1
	s_and_b64 s[28:29], vcc, s[28:29]
	v_cndmask_b32_e64 v0, v0, 0, s[28:29]
	v_or_b32_e32 v52, v0, v3
.LBB6_15984:                            ;   in Loop: Header=BB6_13186 Depth=3
	s_or_b64 exec, exec, s[36:37]
                                        ; implicit-def: $vgpr3
.LBB6_15985:                            ;   in Loop: Header=BB6_13186 Depth=3
	s_andn2_saveexec_b64 s[28:29], s[34:35]
; %bb.15986:                            ;   in Loop: Header=BB6_13186 Depth=3
	v_or_b32_e32 v52, 0x7b, v3
; %bb.15987:                            ;   in Loop: Header=BB6_13186 Depth=3
	s_or_b64 exec, exec, s[28:29]
                                        ; implicit-def: $vgpr2
                                        ; implicit-def: $vgpr0_vgpr1
.LBB6_15988:                            ;   in Loop: Header=BB6_13186 Depth=3
	s_andn2_saveexec_b64 s[28:29], s[30:31]
	s_cbranch_execz .LBB6_15994
; %bb.15989:                            ;   in Loop: Header=BB6_13186 Depth=3
	v_cmp_ne_u64_e32 vcc, 0, v[0:1]
                                        ; implicit-def: $vgpr52
	s_and_saveexec_b64 s[62:63], vcc
	s_xor_b64 vcc, exec, s[62:63]
; %bb.15990:                            ;   in Loop: Header=BB6_13186 Depth=3
	v_or_b32_sdwa v52, v2, s44 dst_sel:DWORD dst_unused:UNUSED_PAD src0_sel:BYTE_3 src1_sel:DWORD
                                        ; implicit-def: $vgpr2
; %bb.15991:                            ;   in Loop: Header=BB6_13186 Depth=3
	s_andn2_saveexec_b64 s[30:31], vcc
; %bb.15992:                            ;   in Loop: Header=BB6_13186 Depth=3
	v_cmp_lt_i32_e32 vcc, -1, v2
	v_bfrev_b32_e32 v0, 0.5
	v_mov_b32_e32 v1, 0x7c
	v_cndmask_b32_e32 v52, v0, v1, vcc
; %bb.15993:                            ;   in Loop: Header=BB6_13186 Depth=3
	s_or_b64 exec, exec, s[30:31]
.LBB6_15994:                            ;   in Loop: Header=BB6_13186 Depth=3
	s_or_b64 exec, exec, s[28:29]
	buffer_load_dword v0, off, s[0:3], s33 offset:344 ; 4-byte Folded Reload
	buffer_load_dword v1, off, s[0:3], s33 offset:328 ; 4-byte Folded Reload
	;; [unrolled: 1-line block ×3, first 2 shown]
	v_cmp_ne_u32_e32 vcc, 0, v25
	v_mov_b32_e32 v3, 0
	s_waitcnt vmcnt(2)
	v_lshlrev_b32_e32 v0, 24, v0
	s_waitcnt vmcnt(1)
	v_lshlrev_b32_e32 v1, 16, v1
	s_waitcnt vmcnt(0)
	v_lshl_or_b32 v20, v2, 8, v25
	v_or3_b32 v0, v1, v0, v20
	v_mov_b32_e32 v1, v33
	v_mov_b32_e32 v2, 0
	s_and_saveexec_b64 s[30:31], vcc
	s_cbranch_execz .LBB6_16002
; %bb.15995:                            ;   in Loop: Header=BB6_13186 Depth=3
	v_cmp_ne_u32_e32 vcc, s97, v25
	v_bfrev_b32_e32 v3, 1
	s_and_saveexec_b64 s[34:35], vcc
	s_cbranch_execz .LBB6_16001
; %bb.15996:                            ;   in Loop: Header=BB6_13186 Depth=3
	v_and_b32_e32 v3, 0x7c, v25
	v_and_b32_e32 v5, 3, v25
	v_cmp_ne_u32_e32 vcc, s86, v3
                                        ; implicit-def: $vgpr3
	s_and_saveexec_b64 s[28:29], vcc
	s_xor_b64 s[28:29], exec, s[28:29]
	s_cbranch_execz .LBB6_15998
; %bb.15997:                            ;   in Loop: Header=BB6_13186 Depth=3
	v_ffbh_u32_e32 v16, v5
	v_min_u32_e32 v16, 32, v16
	v_subrev_u32_e32 v17, 29, v16
	v_lshlrev_b64 v[21:22], v17, v[0:1]
	v_bfe_u32 v3, v25, 2, 5
	v_sub_u32_e32 v1, 30, v16
	v_and_b32_e32 v16, 3, v21
	v_cmp_eq_u32_e32 vcc, 0, v3
	v_cndmask_b32_e32 v1, v3, v1, vcc
	v_cndmask_b32_e32 v3, v5, v16, vcc
	v_lshlrev_b32_e32 v5, 24, v25
	v_and_b32_e32 v5, 0x80000000, v5
	v_lshl_add_u32 v1, v1, 23, v5
	v_lshl_or_b32 v1, v3, 21, v1
	v_add_u32_e32 v3, 0x38000000, v1
                                        ; implicit-def: $vgpr5
                                        ; implicit-def: $vgpr25
.LBB6_15998:                            ;   in Loop: Header=BB6_13186 Depth=3
	s_andn2_saveexec_b64 s[36:37], s[28:29]
; %bb.15999:                            ;   in Loop: Header=BB6_13186 Depth=3
	v_and_b32_e32 v1, 0x80, v25
	v_cmp_eq_u32_e64 s[28:29], 0, v1
	v_mov_b32_e32 v1, 0xff800000
	v_mov_b32_e32 v3, 0x7f800000
	v_cmp_eq_u32_e32 vcc, 0, v5
	v_cndmask_b32_e64 v1, v1, v3, s[28:29]
	v_mov_b32_e32 v3, 0x7f800001
	v_cndmask_b32_e32 v3, v3, v1, vcc
; %bb.16000:                            ;   in Loop: Header=BB6_13186 Depth=3
	s_or_b64 exec, exec, s[36:37]
.LBB6_16001:                            ;   in Loop: Header=BB6_13186 Depth=3
	s_or_b64 exec, exec, s[34:35]
.LBB6_16002:                            ;   in Loop: Header=BB6_13186 Depth=3
	s_or_b64 exec, exec, s[30:31]
	v_cmp_ne_u16_sdwa s[62:63], v19, v33 src0_sel:BYTE_0 src1_sel:DWORD
	s_and_saveexec_b64 s[28:29], s[62:63]
	s_cbranch_execz .LBB6_16010
; %bb.16003:                            ;   in Loop: Header=BB6_13186 Depth=3
	v_cmp_ne_u16_sdwa s[62:63], v19, s97 src0_sel:BYTE_0 src1_sel:DWORD
	v_bfrev_b32_e32 v2, 1
	s_and_saveexec_b64 s[30:31], s[62:63]
	s_cbranch_execz .LBB6_16009
; %bb.16004:                            ;   in Loop: Header=BB6_13186 Depth=3
	v_and_b32_e32 v2, 0x7c, v19
	v_and_b32_e32 v1, 3, v19
	v_cmp_ne_u32_e32 vcc, s86, v2
                                        ; implicit-def: $vgpr2
	s_and_saveexec_b64 s[62:63], vcc
	s_xor_b64 s[34:35], exec, s[62:63]
	s_cbranch_execz .LBB6_16006
; %bb.16005:                            ;   in Loop: Header=BB6_13186 Depth=3
	v_ffbh_u32_e32 v5, v1
	v_min_u32_e32 v5, 32, v5
	v_mov_b32_e32 v21, v19
	v_mov_b32_e32 v22, v33
	v_bfe_u32 v2, v19, 2, 5
	v_subrev_u32_e32 v16, 29, v5
	v_lshlrev_b64 v[21:22], v16, v[21:22]
	v_sub_u32_e32 v5, 30, v5
	v_cmp_eq_u32_e32 vcc, 0, v2
	v_cndmask_b32_e32 v2, v2, v5, vcc
	v_lshlrev_b32_e32 v5, 24, v19
	v_and_b32_e32 v16, 3, v21
	v_and_b32_e32 v5, 0x80000000, v5
	v_cndmask_b32_e32 v1, v1, v16, vcc
	v_lshl_add_u32 v2, v2, 23, v5
	v_lshl_or_b32 v1, v1, 21, v2
	v_add_u32_e32 v2, 0x38000000, v1
                                        ; implicit-def: $vgpr1
.LBB6_16006:                            ;   in Loop: Header=BB6_13186 Depth=3
	s_andn2_saveexec_b64 s[34:35], s[34:35]
; %bb.16007:                            ;   in Loop: Header=BB6_13186 Depth=3
	v_mov_b32_e32 v2, -1
	v_cmp_gt_i16_sdwa vcc, sext(v19), v2 src0_sel:BYTE_0 src1_sel:DWORD
	v_mov_b32_e32 v2, 0xff800000
	v_mov_b32_e32 v5, 0x7f800000
	v_cndmask_b32_e32 v2, v2, v5, vcc
	v_cmp_eq_u32_e32 vcc, 0, v1
	v_mov_b32_e32 v1, 0x7f800001
	v_cndmask_b32_e32 v2, v1, v2, vcc
; %bb.16008:                            ;   in Loop: Header=BB6_13186 Depth=3
	s_or_b64 exec, exec, s[34:35]
.LBB6_16009:                            ;   in Loop: Header=BB6_13186 Depth=3
	s_or_b64 exec, exec, s[30:31]
.LBB6_16010:                            ;   in Loop: Header=BB6_13186 Depth=3
	s_or_b64 exec, exec, s[28:29]
	v_add_f32_e32 v3, v3, v2
	v_and_b32_e32 v21, 0x7f800000, v3
	v_mov_b32_e32 v22, v33
	v_cmp_ne_u64_e32 vcc, s[76:77], v[21:22]
	v_and_b32_e32 v1, 0x7fffff, v3
	v_mov_b32_e32 v2, v33
                                        ; implicit-def: $vgpr25
	s_and_saveexec_b64 s[28:29], vcc
	s_xor_b64 s[30:31], exec, s[28:29]
	s_cbranch_execz .LBB6_16024
; %bb.16011:                            ;   in Loop: Header=BB6_13186 Depth=3
	v_and_b32_e32 v21, 0x7fffffff, v3
	v_mov_b32_e32 v22, v33
	v_cmp_gt_u64_e32 vcc, s[78:79], v[21:22]
	v_and_b32_sdwa v21, v3, s97 dst_sel:DWORD dst_unused:UNUSED_PAD src0_sel:BYTE_3 src1_sel:DWORD
                                        ; implicit-def: $vgpr25
	s_and_saveexec_b64 s[28:29], vcc
	s_xor_b64 s[34:35], exec, s[28:29]
	s_cbranch_execz .LBB6_16021
; %bb.16012:                            ;   in Loop: Header=BB6_13186 Depth=3
	v_mov_b32_e32 v25, 0
	v_cmp_ne_u32_e32 vcc, 0, v3
	s_and_saveexec_b64 s[36:37], vcc
	s_cbranch_execz .LBB6_16020
; %bb.16013:                            ;   in Loop: Header=BB6_13186 Depth=3
	v_bfe_u32 v5, v3, 23, 8
	v_cmp_gt_u32_e64 s[28:29], s47, v5
	v_sub_u32_e32 v3, 0x71, v5
	v_cmp_eq_u32_e32 vcc, 0, v5
	v_cndmask_b32_e64 v3, 0, v3, s[28:29]
	v_mov_b32_e32 v17, 0x70
	v_cndmask_b32_e32 v22, v3, v17, vcc
	v_add_u32_e32 v3, 21, v22
	v_or_b32_e32 v16, 0x800000, v1
	v_lshlrev_b64 v[31:32], v3, -1
	v_cndmask_b32_e32 v1, v16, v1, vcc
	v_add_u32_e32 v3, 20, v22
	v_bfi_b32 v31, v31, 0, v1
	v_lshlrev_b64 v[38:39], v3, 1
	v_lshrrev_b64 v[1:2], v22, v[1:2]
	v_bfi_b32 v32, v32, 0, 0
	v_cmp_eq_u64_e64 s[28:29], v[31:32], v[38:39]
	v_mov_b32_e32 v3, v2
	v_mov_b32_e32 v2, v1
	s_and_saveexec_b64 s[38:39], s[28:29]
; %bb.16014:                            ;   in Loop: Header=BB6_13186 Depth=3
	v_bfe_u32 v2, v1, 21, 1
	v_add_co_u32_e64 v2, s[28:29], v1, v2
	v_add_co_u32_e64 v2, s[28:29], -1, v2
; %bb.16015:                            ;   in Loop: Header=BB6_13186 Depth=3
	s_or_b64 exec, exec, s[38:39]
	v_add_u32_e32 v3, 0xffffff81, v5
	v_mov_b32_e32 v5, 0xffffff82
	v_cndmask_b32_e32 v3, v3, v5, vcc
	v_lshrrev_b32_e32 v5, 23, v1
	v_add3_u32 v22, v22, v3, v5
	v_add_u32_e32 v5, 14, v22
	v_and_b32_e32 v2, 0x1fffff, v2
	v_add_u32_e32 v1, v2, v1
	v_mov_b32_e32 v2, v33
	v_cmp_ne_u32_e32 vcc, 0, v5
                                        ; implicit-def: $vgpr3
	s_and_saveexec_b64 s[28:29], vcc
	s_xor_b64 s[28:29], exec, s[28:29]
; %bb.16016:                            ;   in Loop: Header=BB6_13186 Depth=3
	v_cmp_lt_u64_e32 vcc, s[88:89], v[1:2]
	v_add_u32_e32 v3, 15, v22
	v_cndmask_b32_e32 v3, v5, v3, vcc
	v_cndmask_b32_e64 v5, 0, 1, vcc
	v_lshrrev_b64 v[1:2], v5, v[1:2]
; %bb.16017:                            ;   in Loop: Header=BB6_13186 Depth=3
	s_andn2_saveexec_b64 s[28:29], s[28:29]
; %bb.16018:                            ;   in Loop: Header=BB6_13186 Depth=3
	v_bfe_u32 v3, v1, 23, 1
; %bb.16019:                            ;   in Loop: Header=BB6_13186 Depth=3
	s_or_b64 exec, exec, s[28:29]
	v_lshrrev_b64 v[1:2], 21, v[1:2]
	v_cmp_gt_i32_e32 vcc, 32, v3
	v_cndmask_b32_e32 v2, 0, v2, vcc
	v_cndmask_b32_e32 v1, 3, v1, vcc
	v_cmp_eq_u64_e64 s[28:29], 0, v[1:2]
	v_min_i32_e32 v2, 31, v3
	v_lshlrev_b32_e32 v2, 2, v2
	v_cmp_eq_u32_e32 vcc, 0, v3
	v_and_b32_e32 v2, 0xfc, v2
	v_and_or_b32 v1, v1, 3, v2
	s_and_b64 s[28:29], vcc, s[28:29]
	v_cndmask_b32_e64 v1, v1, 0, s[28:29]
	v_or_b32_e32 v25, v1, v21
.LBB6_16020:                            ;   in Loop: Header=BB6_13186 Depth=3
	s_or_b64 exec, exec, s[36:37]
                                        ; implicit-def: $vgpr21
.LBB6_16021:                            ;   in Loop: Header=BB6_13186 Depth=3
	s_andn2_saveexec_b64 s[28:29], s[34:35]
; %bb.16022:                            ;   in Loop: Header=BB6_13186 Depth=3
	v_or_b32_e32 v25, 0x7b, v21
; %bb.16023:                            ;   in Loop: Header=BB6_13186 Depth=3
	s_or_b64 exec, exec, s[28:29]
                                        ; implicit-def: $vgpr3
                                        ; implicit-def: $vgpr1_vgpr2
.LBB6_16024:                            ;   in Loop: Header=BB6_13186 Depth=3
	s_andn2_saveexec_b64 s[28:29], s[30:31]
	s_cbranch_execz .LBB6_16030
; %bb.16025:                            ;   in Loop: Header=BB6_13186 Depth=3
	v_cmp_ne_u64_e32 vcc, 0, v[1:2]
                                        ; implicit-def: $vgpr25
	s_and_saveexec_b64 s[62:63], vcc
	s_xor_b64 vcc, exec, s[62:63]
; %bb.16026:                            ;   in Loop: Header=BB6_13186 Depth=3
	v_or_b32_sdwa v25, v3, s44 dst_sel:DWORD dst_unused:UNUSED_PAD src0_sel:BYTE_3 src1_sel:DWORD
                                        ; implicit-def: $vgpr3
; %bb.16027:                            ;   in Loop: Header=BB6_13186 Depth=3
	s_andn2_saveexec_b64 s[30:31], vcc
; %bb.16028:                            ;   in Loop: Header=BB6_13186 Depth=3
	v_cmp_lt_i32_e32 vcc, -1, v3
	v_bfrev_b32_e32 v1, 0.5
	v_mov_b32_e32 v2, 0x7c
	v_cndmask_b32_e32 v25, v1, v2, vcc
; %bb.16029:                            ;   in Loop: Header=BB6_13186 Depth=3
	s_or_b64 exec, exec, s[30:31]
.LBB6_16030:                            ;   in Loop: Header=BB6_13186 Depth=3
	s_or_b64 exec, exec, s[28:29]
	v_lshrrev_b16_e32 v1, 8, v20
	v_cmp_ne_u16_e32 vcc, 0, v1
	v_mov_b32_e32 v3, 0
	v_mov_b32_e32 v5, 0
	s_and_saveexec_b64 s[28:29], vcc
	s_cbranch_execz .LBB6_16038
; %bb.16031:                            ;   in Loop: Header=BB6_13186 Depth=3
	v_cmp_ne_u16_e32 vcc, s97, v1
	v_bfrev_b32_e32 v5, 1
	s_and_saveexec_b64 s[30:31], vcc
	s_cbranch_execz .LBB6_16037
; %bb.16032:                            ;   in Loop: Header=BB6_13186 Depth=3
	v_and_b32_e32 v2, 0x7c, v1
	v_and_b32_e32 v21, 3, v1
	v_cmp_ne_u32_e32 vcc, s86, v2
                                        ; implicit-def: $vgpr5
	s_and_saveexec_b64 s[62:63], vcc
	s_xor_b64 s[34:35], exec, s[62:63]
	s_cbranch_execz .LBB6_16034
; %bb.16033:                            ;   in Loop: Header=BB6_13186 Depth=3
	v_ffbh_u32_e32 v16, v21
	v_min_u32_e32 v16, 32, v16
	v_mov_b32_e32 v2, v33
	v_subrev_u32_e32 v17, 29, v16
	v_bfe_u32 v5, v1, 2, 5
	v_lshlrev_b64 v[1:2], v17, v[1:2]
	v_sub_u32_e32 v2, 30, v16
	v_cmp_eq_u32_e32 vcc, 0, v5
	v_cndmask_b32_e32 v2, v5, v2, vcc
	v_lshlrev_b32_e32 v5, 16, v20
	v_and_b32_e32 v1, 3, v1
	v_and_b32_e32 v5, 0x80000000, v5
	v_cndmask_b32_e32 v1, v21, v1, vcc
	v_lshl_add_u32 v2, v2, 23, v5
	v_lshl_or_b32 v1, v1, 21, v2
	v_add_u32_e32 v5, 0x38000000, v1
                                        ; implicit-def: $vgpr21
                                        ; implicit-def: $vgpr20
.LBB6_16034:                            ;   in Loop: Header=BB6_13186 Depth=3
	s_andn2_saveexec_b64 s[34:35], s[34:35]
; %bb.16035:                            ;   in Loop: Header=BB6_13186 Depth=3
	v_cmp_lt_i16_e32 vcc, -1, v20
	v_mov_b32_e32 v1, 0xff800000
	v_mov_b32_e32 v2, 0x7f800000
	v_cndmask_b32_e32 v1, v1, v2, vcc
	v_cmp_eq_u32_e32 vcc, 0, v21
	v_mov_b32_e32 v2, 0x7f800001
	v_cndmask_b32_e32 v5, v2, v1, vcc
; %bb.16036:                            ;   in Loop: Header=BB6_13186 Depth=3
	s_or_b64 exec, exec, s[34:35]
.LBB6_16037:                            ;   in Loop: Header=BB6_13186 Depth=3
	s_or_b64 exec, exec, s[30:31]
.LBB6_16038:                            ;   in Loop: Header=BB6_13186 Depth=3
	s_or_b64 exec, exec, s[28:29]
	v_lshrrev_b16_e32 v1, 8, v19
	v_cmp_ne_u16_e32 vcc, 0, v1
	s_and_saveexec_b64 s[28:29], vcc
	s_cbranch_execz .LBB6_16046
; %bb.16039:                            ;   in Loop: Header=BB6_13186 Depth=3
	v_cmp_ne_u16_e32 vcc, s97, v1
	v_bfrev_b32_e32 v3, 1
	s_and_saveexec_b64 s[30:31], vcc
	s_cbranch_execz .LBB6_16045
; %bb.16040:                            ;   in Loop: Header=BB6_13186 Depth=3
	v_and_b32_e32 v2, 0x7c, v1
	v_and_b32_e32 v20, 3, v1
	v_cmp_ne_u32_e32 vcc, s86, v2
                                        ; implicit-def: $vgpr3
	s_and_saveexec_b64 s[62:63], vcc
	s_xor_b64 s[34:35], exec, s[62:63]
	s_cbranch_execz .LBB6_16042
; %bb.16041:                            ;   in Loop: Header=BB6_13186 Depth=3
	v_ffbh_u32_e32 v16, v20
	v_min_u32_e32 v16, 32, v16
	v_mov_b32_e32 v2, v33
	v_subrev_u32_e32 v17, 29, v16
	v_bfe_u32 v3, v1, 2, 5
	v_lshlrev_b64 v[1:2], v17, v[1:2]
	v_sub_u32_e32 v2, 30, v16
	v_cmp_eq_u32_e32 vcc, 0, v3
	v_cndmask_b32_e32 v2, v3, v2, vcc
	v_lshlrev_b32_e32 v3, 16, v19
	v_and_b32_e32 v1, 3, v1
	v_and_b32_e32 v3, 0x80000000, v3
	v_cndmask_b32_e32 v1, v20, v1, vcc
	v_lshl_add_u32 v2, v2, 23, v3
	v_lshl_or_b32 v1, v1, 21, v2
	v_add_u32_e32 v3, 0x38000000, v1
                                        ; implicit-def: $vgpr20
.LBB6_16042:                            ;   in Loop: Header=BB6_13186 Depth=3
	s_andn2_saveexec_b64 s[34:35], s[34:35]
; %bb.16043:                            ;   in Loop: Header=BB6_13186 Depth=3
	v_cmp_lt_i16_e32 vcc, -1, v19
	v_mov_b32_e32 v1, 0xff800000
	v_mov_b32_e32 v2, 0x7f800000
	v_cndmask_b32_e32 v1, v1, v2, vcc
	v_cmp_eq_u32_e32 vcc, 0, v20
	v_mov_b32_e32 v2, 0x7f800001
	v_cndmask_b32_e32 v3, v2, v1, vcc
; %bb.16044:                            ;   in Loop: Header=BB6_13186 Depth=3
	s_or_b64 exec, exec, s[34:35]
.LBB6_16045:                            ;   in Loop: Header=BB6_13186 Depth=3
	s_or_b64 exec, exec, s[30:31]
.LBB6_16046:                            ;   in Loop: Header=BB6_13186 Depth=3
	s_or_b64 exec, exec, s[28:29]
	v_add_f32_e32 v3, v5, v3
	v_and_b32_e32 v20, 0x7f800000, v3
	v_mov_b32_e32 v21, v33
	v_cmp_ne_u64_e32 vcc, s[76:77], v[20:21]
	v_and_b32_e32 v1, 0x7fffff, v3
	v_mov_b32_e32 v2, v33
                                        ; implicit-def: $vgpr53
	s_and_saveexec_b64 s[28:29], vcc
	s_xor_b64 s[30:31], exec, s[28:29]
	s_cbranch_execz .LBB6_16060
; %bb.16047:                            ;   in Loop: Header=BB6_13186 Depth=3
	v_and_b32_e32 v20, 0x7fffffff, v3
	v_mov_b32_e32 v21, v33
	v_cmp_gt_u64_e32 vcc, s[78:79], v[20:21]
	v_and_b32_sdwa v20, v3, s97 dst_sel:DWORD dst_unused:UNUSED_PAD src0_sel:BYTE_3 src1_sel:DWORD
                                        ; implicit-def: $vgpr53
	s_and_saveexec_b64 s[28:29], vcc
	s_xor_b64 s[34:35], exec, s[28:29]
	s_cbranch_execz .LBB6_16057
; %bb.16048:                            ;   in Loop: Header=BB6_13186 Depth=3
	v_mov_b32_e32 v53, 0
	v_cmp_ne_u32_e32 vcc, 0, v3
	s_and_saveexec_b64 s[36:37], vcc
	s_cbranch_execz .LBB6_16056
; %bb.16049:                            ;   in Loop: Header=BB6_13186 Depth=3
	v_bfe_u32 v5, v3, 23, 8
	v_cmp_gt_u32_e64 s[28:29], s47, v5
	v_sub_u32_e32 v3, 0x71, v5
	v_cmp_eq_u32_e32 vcc, 0, v5
	v_cndmask_b32_e64 v3, 0, v3, s[28:29]
	v_mov_b32_e32 v17, 0x70
	v_cndmask_b32_e32 v21, v3, v17, vcc
	v_add_u32_e32 v3, 21, v21
	v_or_b32_e32 v16, 0x800000, v1
	v_lshlrev_b64 v[22:23], v3, -1
	v_cndmask_b32_e32 v1, v16, v1, vcc
	v_add_u32_e32 v3, 20, v21
	v_bfi_b32 v22, v22, 0, v1
	v_lshlrev_b64 v[31:32], v3, 1
	v_lshrrev_b64 v[1:2], v21, v[1:2]
	v_bfi_b32 v23, v23, 0, 0
	v_cmp_eq_u64_e64 s[28:29], v[22:23], v[31:32]
	v_mov_b32_e32 v3, v2
	v_mov_b32_e32 v2, v1
	s_and_saveexec_b64 s[38:39], s[28:29]
; %bb.16050:                            ;   in Loop: Header=BB6_13186 Depth=3
	v_bfe_u32 v2, v1, 21, 1
	v_add_co_u32_e64 v2, s[28:29], v1, v2
	v_add_co_u32_e64 v2, s[28:29], -1, v2
; %bb.16051:                            ;   in Loop: Header=BB6_13186 Depth=3
	s_or_b64 exec, exec, s[38:39]
	v_add_u32_e32 v3, 0xffffff81, v5
	v_mov_b32_e32 v5, 0xffffff82
	v_cndmask_b32_e32 v3, v3, v5, vcc
	v_lshrrev_b32_e32 v5, 23, v1
	v_add3_u32 v21, v21, v3, v5
	v_add_u32_e32 v5, 14, v21
	v_and_b32_e32 v2, 0x1fffff, v2
	v_add_u32_e32 v1, v2, v1
	v_mov_b32_e32 v2, v33
	v_cmp_ne_u32_e32 vcc, 0, v5
                                        ; implicit-def: $vgpr3
	s_and_saveexec_b64 s[28:29], vcc
	s_xor_b64 s[28:29], exec, s[28:29]
; %bb.16052:                            ;   in Loop: Header=BB6_13186 Depth=3
	v_cmp_lt_u64_e32 vcc, s[88:89], v[1:2]
	v_add_u32_e32 v3, 15, v21
	v_cndmask_b32_e32 v3, v5, v3, vcc
	v_cndmask_b32_e64 v5, 0, 1, vcc
	v_lshrrev_b64 v[1:2], v5, v[1:2]
; %bb.16053:                            ;   in Loop: Header=BB6_13186 Depth=3
	s_andn2_saveexec_b64 s[28:29], s[28:29]
; %bb.16054:                            ;   in Loop: Header=BB6_13186 Depth=3
	v_bfe_u32 v3, v1, 23, 1
; %bb.16055:                            ;   in Loop: Header=BB6_13186 Depth=3
	s_or_b64 exec, exec, s[28:29]
	v_lshrrev_b64 v[1:2], 21, v[1:2]
	v_cmp_gt_i32_e32 vcc, 32, v3
	v_cndmask_b32_e32 v2, 0, v2, vcc
	v_cndmask_b32_e32 v1, 3, v1, vcc
	v_cmp_eq_u64_e64 s[28:29], 0, v[1:2]
	v_min_i32_e32 v2, 31, v3
	v_lshlrev_b32_e32 v2, 2, v2
	v_cmp_eq_u32_e32 vcc, 0, v3
	v_and_b32_e32 v2, 0xfc, v2
	v_and_or_b32 v1, v1, 3, v2
	s_and_b64 s[28:29], vcc, s[28:29]
	v_cndmask_b32_e64 v1, v1, 0, s[28:29]
	v_or_b32_e32 v53, v1, v20
.LBB6_16056:                            ;   in Loop: Header=BB6_13186 Depth=3
	s_or_b64 exec, exec, s[36:37]
                                        ; implicit-def: $vgpr20
.LBB6_16057:                            ;   in Loop: Header=BB6_13186 Depth=3
	s_andn2_saveexec_b64 s[28:29], s[34:35]
; %bb.16058:                            ;   in Loop: Header=BB6_13186 Depth=3
	v_or_b32_e32 v53, 0x7b, v20
; %bb.16059:                            ;   in Loop: Header=BB6_13186 Depth=3
	s_or_b64 exec, exec, s[28:29]
                                        ; implicit-def: $vgpr3
                                        ; implicit-def: $vgpr1_vgpr2
.LBB6_16060:                            ;   in Loop: Header=BB6_13186 Depth=3
	s_andn2_saveexec_b64 s[28:29], s[30:31]
	s_cbranch_execz .LBB6_16066
; %bb.16061:                            ;   in Loop: Header=BB6_13186 Depth=3
	v_cmp_ne_u64_e32 vcc, 0, v[1:2]
                                        ; implicit-def: $vgpr53
	s_and_saveexec_b64 s[62:63], vcc
	s_xor_b64 vcc, exec, s[62:63]
; %bb.16062:                            ;   in Loop: Header=BB6_13186 Depth=3
	v_or_b32_sdwa v53, v3, s44 dst_sel:DWORD dst_unused:UNUSED_PAD src0_sel:BYTE_3 src1_sel:DWORD
                                        ; implicit-def: $vgpr3
; %bb.16063:                            ;   in Loop: Header=BB6_13186 Depth=3
	s_andn2_saveexec_b64 s[30:31], vcc
; %bb.16064:                            ;   in Loop: Header=BB6_13186 Depth=3
	v_cmp_lt_i32_e32 vcc, -1, v3
	v_bfrev_b32_e32 v1, 0.5
	v_mov_b32_e32 v2, 0x7c
	v_cndmask_b32_e32 v53, v1, v2, vcc
; %bb.16065:                            ;   in Loop: Header=BB6_13186 Depth=3
	s_or_b64 exec, exec, s[30:31]
.LBB6_16066:                            ;   in Loop: Header=BB6_13186 Depth=3
	s_or_b64 exec, exec, s[28:29]
	v_and_b32_sdwa v5, v0, s96 dst_sel:DWORD dst_unused:UNUSED_PAD src0_sel:WORD_1 src1_sel:DWORD
	v_lshrrev_b32_e32 v1, 16, v0
	v_cmp_ne_u16_e32 vcc, 0, v5
	v_mov_b32_e32 v2, 0
	v_mov_b32_e32 v3, 0
	s_and_saveexec_b64 s[28:29], vcc
	s_cbranch_execz .LBB6_16074
; %bb.16067:                            ;   in Loop: Header=BB6_13186 Depth=3
	v_cmp_ne_u16_e32 vcc, s97, v5
	v_bfrev_b32_e32 v3, 1
	s_and_saveexec_b64 s[30:31], vcc
	s_cbranch_execz .LBB6_16073
; %bb.16068:                            ;   in Loop: Header=BB6_13186 Depth=3
	v_and_b32_e32 v3, 0x7c0000, v0
	v_bfe_u32 v5, v0, 16, 2
	v_cmp_ne_u32_e32 vcc, s45, v3
                                        ; implicit-def: $vgpr3
	s_and_saveexec_b64 s[62:63], vcc
	s_xor_b64 s[34:35], exec, s[62:63]
	s_cbranch_execz .LBB6_16070
; %bb.16069:                            ;   in Loop: Header=BB6_13186 Depth=3
	v_ffbh_u32_e32 v16, v5
	v_min_u32_e32 v16, 32, v16
	v_subrev_u32_e32 v17, 29, v16
	v_lshlrev_b64 v[20:21], v17, v[1:2]
	v_bfe_u32 v3, v0, 18, 5
	v_sub_u32_e32 v1, 30, v16
	v_and_b32_e32 v16, 3, v20
	v_cmp_eq_u32_e32 vcc, 0, v3
	v_cndmask_b32_e32 v1, v3, v1, vcc
	v_cndmask_b32_e32 v3, v5, v16, vcc
	v_lshlrev_b32_e32 v5, 8, v0
	v_and_b32_e32 v5, 0x80000000, v5
	v_lshl_add_u32 v1, v1, 23, v5
	v_lshl_or_b32 v1, v3, 21, v1
	v_add_u32_e32 v3, 0x38000000, v1
                                        ; implicit-def: $vgpr5
                                        ; implicit-def: $vgpr1
.LBB6_16070:                            ;   in Loop: Header=BB6_13186 Depth=3
	s_andn2_saveexec_b64 s[34:35], s[34:35]
; %bb.16071:                            ;   in Loop: Header=BB6_13186 Depth=3
	v_mov_b32_e32 v3, -1
	v_cmp_gt_i16_sdwa vcc, sext(v1), v3 src0_sel:BYTE_0 src1_sel:DWORD
	v_mov_b32_e32 v1, 0xff800000
	v_mov_b32_e32 v3, 0x7f800000
	v_cndmask_b32_e32 v1, v1, v3, vcc
	v_cmp_eq_u32_e32 vcc, 0, v5
	v_mov_b32_e32 v3, 0x7f800001
	v_cndmask_b32_e32 v3, v3, v1, vcc
; %bb.16072:                            ;   in Loop: Header=BB6_13186 Depth=3
	s_or_b64 exec, exec, s[34:35]
.LBB6_16073:                            ;   in Loop: Header=BB6_13186 Depth=3
	s_or_b64 exec, exec, s[30:31]
.LBB6_16074:                            ;   in Loop: Header=BB6_13186 Depth=3
	s_or_b64 exec, exec, s[28:29]
	v_lshrrev_b32_e32 v1, 16, v19
	v_cmp_ne_u16_sdwa s[62:63], v1, v33 src0_sel:BYTE_0 src1_sel:DWORD
	s_and_saveexec_b64 s[28:29], s[62:63]
	s_cbranch_execz .LBB6_16082
; %bb.16075:                            ;   in Loop: Header=BB6_13186 Depth=3
	v_cmp_ne_u16_sdwa s[62:63], v1, s97 src0_sel:BYTE_0 src1_sel:DWORD
	v_bfrev_b32_e32 v2, 1
	s_and_saveexec_b64 s[30:31], s[62:63]
	s_cbranch_execz .LBB6_16081
; %bb.16076:                            ;   in Loop: Header=BB6_13186 Depth=3
	v_and_b32_e32 v2, 0x7c0000, v19
	v_bfe_u32 v5, v19, 16, 2
	v_cmp_ne_u32_e32 vcc, s45, v2
                                        ; implicit-def: $vgpr2
	s_and_saveexec_b64 s[62:63], vcc
	s_xor_b64 s[34:35], exec, s[62:63]
	s_cbranch_execz .LBB6_16078
; %bb.16077:                            ;   in Loop: Header=BB6_13186 Depth=3
	v_ffbh_u32_e32 v2, v5
	v_min_u32_e32 v17, 32, v2
	v_subrev_u32_e32 v2, 29, v17
	v_lshlrev_b64 v[1:2], v2, v[1:2]
	v_bfe_u32 v16, v19, 18, 5
	v_and_b32_e32 v1, 3, v1
	v_cmp_eq_u32_e32 vcc, 0, v16
	v_sub_u32_e32 v2, 30, v17
	v_cndmask_b32_e32 v1, v5, v1, vcc
	v_lshlrev_b32_e32 v5, 8, v19
	v_cndmask_b32_e32 v2, v16, v2, vcc
	v_and_b32_e32 v5, 0x80000000, v5
	v_lshl_add_u32 v2, v2, 23, v5
	v_lshl_or_b32 v1, v1, 21, v2
	v_add_u32_e32 v2, 0x38000000, v1
                                        ; implicit-def: $vgpr5
                                        ; implicit-def: $vgpr1
.LBB6_16078:                            ;   in Loop: Header=BB6_13186 Depth=3
	s_andn2_saveexec_b64 s[34:35], s[34:35]
; %bb.16079:                            ;   in Loop: Header=BB6_13186 Depth=3
	v_mov_b32_e32 v2, -1
	v_cmp_gt_i16_sdwa vcc, sext(v1), v2 src0_sel:BYTE_0 src1_sel:DWORD
	v_mov_b32_e32 v1, 0xff800000
	v_mov_b32_e32 v2, 0x7f800000
	v_cndmask_b32_e32 v1, v1, v2, vcc
	v_cmp_eq_u32_e32 vcc, 0, v5
	v_mov_b32_e32 v2, 0x7f800001
	v_cndmask_b32_e32 v2, v2, v1, vcc
; %bb.16080:                            ;   in Loop: Header=BB6_13186 Depth=3
	s_or_b64 exec, exec, s[34:35]
.LBB6_16081:                            ;   in Loop: Header=BB6_13186 Depth=3
	s_or_b64 exec, exec, s[30:31]
.LBB6_16082:                            ;   in Loop: Header=BB6_13186 Depth=3
	s_or_b64 exec, exec, s[28:29]
	v_add_f32_e32 v3, v3, v2
	v_and_b32_e32 v20, 0x7f800000, v3
	v_mov_b32_e32 v21, v33
	v_cmp_ne_u64_e32 vcc, s[76:77], v[20:21]
	v_and_b32_e32 v1, 0x7fffff, v3
	v_mov_b32_e32 v2, v33
                                        ; implicit-def: $vgpr40
	s_and_saveexec_b64 s[28:29], vcc
	s_xor_b64 s[30:31], exec, s[28:29]
	s_cbranch_execz .LBB6_16096
; %bb.16083:                            ;   in Loop: Header=BB6_13186 Depth=3
	v_and_b32_e32 v20, 0x7fffffff, v3
	v_mov_b32_e32 v21, v33
	v_cmp_gt_u64_e32 vcc, s[78:79], v[20:21]
	v_and_b32_sdwa v20, v3, s97 dst_sel:DWORD dst_unused:UNUSED_PAD src0_sel:BYTE_3 src1_sel:DWORD
                                        ; implicit-def: $vgpr40
	s_and_saveexec_b64 s[28:29], vcc
	s_xor_b64 s[34:35], exec, s[28:29]
	s_cbranch_execz .LBB6_16093
; %bb.16084:                            ;   in Loop: Header=BB6_13186 Depth=3
	v_mov_b32_e32 v40, 0
	v_cmp_ne_u32_e32 vcc, 0, v3
	s_and_saveexec_b64 s[36:37], vcc
	s_cbranch_execz .LBB6_16092
; %bb.16085:                            ;   in Loop: Header=BB6_13186 Depth=3
	v_bfe_u32 v5, v3, 23, 8
	v_cmp_gt_u32_e64 s[28:29], s47, v5
	v_sub_u32_e32 v3, 0x71, v5
	v_cmp_eq_u32_e32 vcc, 0, v5
	v_cndmask_b32_e64 v3, 0, v3, s[28:29]
	v_mov_b32_e32 v17, 0x70
	v_cndmask_b32_e32 v21, v3, v17, vcc
	v_add_u32_e32 v3, 21, v21
	v_or_b32_e32 v16, 0x800000, v1
	v_lshlrev_b64 v[22:23], v3, -1
	v_cndmask_b32_e32 v1, v16, v1, vcc
	v_add_u32_e32 v3, 20, v21
	v_bfi_b32 v22, v22, 0, v1
	v_lshlrev_b64 v[31:32], v3, 1
	v_lshrrev_b64 v[1:2], v21, v[1:2]
	v_bfi_b32 v23, v23, 0, 0
	v_cmp_eq_u64_e64 s[28:29], v[22:23], v[31:32]
	v_mov_b32_e32 v3, v2
	v_mov_b32_e32 v2, v1
	s_and_saveexec_b64 s[38:39], s[28:29]
; %bb.16086:                            ;   in Loop: Header=BB6_13186 Depth=3
	v_bfe_u32 v2, v1, 21, 1
	v_add_co_u32_e64 v2, s[28:29], v1, v2
	v_add_co_u32_e64 v2, s[28:29], -1, v2
; %bb.16087:                            ;   in Loop: Header=BB6_13186 Depth=3
	s_or_b64 exec, exec, s[38:39]
	v_add_u32_e32 v3, 0xffffff81, v5
	v_mov_b32_e32 v5, 0xffffff82
	v_cndmask_b32_e32 v3, v3, v5, vcc
	v_lshrrev_b32_e32 v5, 23, v1
	v_add3_u32 v21, v21, v3, v5
	v_add_u32_e32 v5, 14, v21
	v_and_b32_e32 v2, 0x1fffff, v2
	v_add_u32_e32 v1, v2, v1
	v_mov_b32_e32 v2, v33
	v_cmp_ne_u32_e32 vcc, 0, v5
                                        ; implicit-def: $vgpr3
	s_and_saveexec_b64 s[28:29], vcc
	s_xor_b64 s[28:29], exec, s[28:29]
; %bb.16088:                            ;   in Loop: Header=BB6_13186 Depth=3
	v_cmp_lt_u64_e32 vcc, s[88:89], v[1:2]
	v_add_u32_e32 v3, 15, v21
	v_cndmask_b32_e32 v3, v5, v3, vcc
	v_cndmask_b32_e64 v5, 0, 1, vcc
	v_lshrrev_b64 v[1:2], v5, v[1:2]
; %bb.16089:                            ;   in Loop: Header=BB6_13186 Depth=3
	s_andn2_saveexec_b64 s[28:29], s[28:29]
; %bb.16090:                            ;   in Loop: Header=BB6_13186 Depth=3
	v_bfe_u32 v3, v1, 23, 1
; %bb.16091:                            ;   in Loop: Header=BB6_13186 Depth=3
	s_or_b64 exec, exec, s[28:29]
	v_lshrrev_b64 v[1:2], 21, v[1:2]
	v_cmp_gt_i32_e32 vcc, 32, v3
	v_cndmask_b32_e32 v2, 0, v2, vcc
	v_cndmask_b32_e32 v1, 3, v1, vcc
	v_cmp_eq_u64_e64 s[28:29], 0, v[1:2]
	v_min_i32_e32 v2, 31, v3
	v_lshlrev_b32_e32 v2, 2, v2
	v_cmp_eq_u32_e32 vcc, 0, v3
	v_and_b32_e32 v2, 0xfc, v2
	v_and_or_b32 v1, v1, 3, v2
	s_and_b64 s[28:29], vcc, s[28:29]
	v_cndmask_b32_e64 v1, v1, 0, s[28:29]
	v_or_b32_e32 v40, v1, v20
.LBB6_16092:                            ;   in Loop: Header=BB6_13186 Depth=3
	s_or_b64 exec, exec, s[36:37]
                                        ; implicit-def: $vgpr20
.LBB6_16093:                            ;   in Loop: Header=BB6_13186 Depth=3
	s_andn2_saveexec_b64 s[28:29], s[34:35]
; %bb.16094:                            ;   in Loop: Header=BB6_13186 Depth=3
	v_or_b32_e32 v40, 0x7b, v20
; %bb.16095:                            ;   in Loop: Header=BB6_13186 Depth=3
	s_or_b64 exec, exec, s[28:29]
                                        ; implicit-def: $vgpr3
                                        ; implicit-def: $vgpr1_vgpr2
.LBB6_16096:                            ;   in Loop: Header=BB6_13186 Depth=3
	s_andn2_saveexec_b64 s[28:29], s[30:31]
	s_cbranch_execz .LBB6_16102
; %bb.16097:                            ;   in Loop: Header=BB6_13186 Depth=3
	v_cmp_ne_u64_e32 vcc, 0, v[1:2]
                                        ; implicit-def: $vgpr40
	s_and_saveexec_b64 s[62:63], vcc
	s_xor_b64 vcc, exec, s[62:63]
; %bb.16098:                            ;   in Loop: Header=BB6_13186 Depth=3
	v_or_b32_sdwa v40, v3, s44 dst_sel:DWORD dst_unused:UNUSED_PAD src0_sel:BYTE_3 src1_sel:DWORD
                                        ; implicit-def: $vgpr3
; %bb.16099:                            ;   in Loop: Header=BB6_13186 Depth=3
	s_andn2_saveexec_b64 s[30:31], vcc
; %bb.16100:                            ;   in Loop: Header=BB6_13186 Depth=3
	v_cmp_lt_i32_e32 vcc, -1, v3
	v_bfrev_b32_e32 v1, 0.5
	v_mov_b32_e32 v2, 0x7c
	v_cndmask_b32_e32 v40, v1, v2, vcc
; %bb.16101:                            ;   in Loop: Header=BB6_13186 Depth=3
	s_or_b64 exec, exec, s[30:31]
.LBB6_16102:                            ;   in Loop: Header=BB6_13186 Depth=3
	s_or_b64 exec, exec, s[28:29]
	v_cmp_lt_u32_e32 vcc, s57, v0
	v_mov_b32_e32 v2, 0
	v_mov_b32_e32 v3, 0
	s_and_saveexec_b64 s[28:29], vcc
	s_cbranch_execz .LBB6_16110
; %bb.16103:                            ;   in Loop: Header=BB6_13186 Depth=3
	v_lshrrev_b32_e32 v1, 24, v0
	v_cmp_ne_u32_e32 vcc, s97, v1
	v_bfrev_b32_e32 v3, 1
	s_and_saveexec_b64 s[30:31], vcc
	s_cbranch_execz .LBB6_16109
; %bb.16104:                            ;   in Loop: Header=BB6_13186 Depth=3
	v_and_b32_e32 v3, 0x7c000000, v0
	v_bfe_u32 v5, v0, 24, 2
	v_cmp_ne_u32_e32 vcc, s68, v3
                                        ; implicit-def: $vgpr3
	s_and_saveexec_b64 s[62:63], vcc
	s_xor_b64 s[34:35], exec, s[62:63]
	s_cbranch_execz .LBB6_16106
; %bb.16105:                            ;   in Loop: Header=BB6_13186 Depth=3
	v_ffbh_u32_e32 v16, v5
	v_min_u32_e32 v16, 32, v16
	v_subrev_u32_e32 v17, 29, v16
	v_bfe_u32 v3, v0, 26, 5
	v_lshlrev_b64 v[20:21], v17, v[1:2]
	v_sub_u32_e32 v1, 30, v16
	v_cmp_eq_u32_e32 vcc, 0, v3
	v_and_b32_e32 v16, 3, v20
	v_cndmask_b32_e32 v1, v3, v1, vcc
	v_and_b32_e32 v0, 0x80000000, v0
	v_cndmask_b32_e32 v3, v5, v16, vcc
	v_lshl_add_u32 v0, v1, 23, v0
	v_lshl_or_b32 v0, v3, 21, v0
	v_add_u32_e32 v3, 0x38000000, v0
                                        ; implicit-def: $vgpr5
                                        ; implicit-def: $vgpr0_vgpr1
.LBB6_16106:                            ;   in Loop: Header=BB6_13186 Depth=3
	s_andn2_saveexec_b64 s[34:35], s[34:35]
; %bb.16107:                            ;   in Loop: Header=BB6_13186 Depth=3
	v_cmp_lt_i32_e32 vcc, -1, v0
	v_mov_b32_e32 v0, 0xff800000
	v_mov_b32_e32 v1, 0x7f800000
	v_cndmask_b32_e32 v0, v0, v1, vcc
	v_cmp_eq_u32_e32 vcc, 0, v5
	v_mov_b32_e32 v1, 0x7f800001
	v_cndmask_b32_e32 v3, v1, v0, vcc
; %bb.16108:                            ;   in Loop: Header=BB6_13186 Depth=3
	s_or_b64 exec, exec, s[34:35]
.LBB6_16109:                            ;   in Loop: Header=BB6_13186 Depth=3
	s_or_b64 exec, exec, s[30:31]
.LBB6_16110:                            ;   in Loop: Header=BB6_13186 Depth=3
	s_or_b64 exec, exec, s[28:29]
	v_cmp_lt_u64_e32 vcc, s[56:57], v[18:19]
	s_and_saveexec_b64 s[28:29], vcc
	s_cbranch_execz .LBB6_16118
; %bb.16111:                            ;   in Loop: Header=BB6_13186 Depth=3
	v_lshrrev_b32_e32 v0, 24, v19
	v_cmp_ne_u32_e32 vcc, s97, v0
	v_bfrev_b32_e32 v2, 1
	s_and_saveexec_b64 s[30:31], vcc
	s_cbranch_execz .LBB6_16117
; %bb.16112:                            ;   in Loop: Header=BB6_13186 Depth=3
	v_and_b32_e32 v2, 0x7c000000, v19
	v_bfe_u32 v1, v19, 24, 2
	v_cmp_ne_u32_e32 vcc, s68, v2
                                        ; implicit-def: $vgpr2
	s_and_saveexec_b64 s[62:63], vcc
	s_xor_b64 s[34:35], exec, s[62:63]
	s_cbranch_execz .LBB6_16114
; %bb.16113:                            ;   in Loop: Header=BB6_13186 Depth=3
	v_ffbh_u32_e32 v5, v1
	v_min_u32_e32 v5, 32, v5
	v_subrev_u32_e32 v16, 29, v5
	v_bfe_u32 v2, v19, 26, 5
	v_lshlrev_b64 v[20:21], v16, v[0:1]
	v_sub_u32_e32 v0, 30, v5
	v_cmp_eq_u32_e32 vcc, 0, v2
	v_and_b32_e32 v5, 3, v20
	v_cndmask_b32_e32 v0, v2, v0, vcc
	v_and_b32_e32 v2, 0x80000000, v19
	v_cndmask_b32_e32 v1, v1, v5, vcc
	v_lshl_add_u32 v0, v0, 23, v2
	v_lshl_or_b32 v0, v1, 21, v0
	v_add_u32_e32 v2, 0x38000000, v0
                                        ; implicit-def: $vgpr1
                                        ; implicit-def: $vgpr18_vgpr19
.LBB6_16114:                            ;   in Loop: Header=BB6_13186 Depth=3
	s_andn2_saveexec_b64 s[34:35], s[34:35]
; %bb.16115:                            ;   in Loop: Header=BB6_13186 Depth=3
	v_cmp_lt_i64_e32 vcc, -1, v[18:19]
	v_mov_b32_e32 v0, 0xff800000
	v_mov_b32_e32 v2, 0x7f800000
	v_cndmask_b32_e32 v0, v0, v2, vcc
	v_cmp_eq_u32_e32 vcc, 0, v1
	v_mov_b32_e32 v1, 0x7f800001
	v_cndmask_b32_e32 v2, v1, v0, vcc
; %bb.16116:                            ;   in Loop: Header=BB6_13186 Depth=3
	s_or_b64 exec, exec, s[34:35]
.LBB6_16117:                            ;   in Loop: Header=BB6_13186 Depth=3
	s_or_b64 exec, exec, s[30:31]
.LBB6_16118:                            ;   in Loop: Header=BB6_13186 Depth=3
	s_or_b64 exec, exec, s[28:29]
	v_add_f32_e32 v2, v3, v2
	v_and_b32_e32 v18, 0x7f800000, v2
	v_mov_b32_e32 v19, v33
	v_cmp_ne_u64_e32 vcc, s[76:77], v[18:19]
	v_and_b32_e32 v0, 0x7fffff, v2
	v_mov_b32_e32 v1, v33
                                        ; implicit-def: $vgpr18
	s_and_saveexec_b64 s[28:29], vcc
	s_xor_b64 s[30:31], exec, s[28:29]
	s_cbranch_execz .LBB6_16132
; %bb.16119:                            ;   in Loop: Header=BB6_13186 Depth=3
	v_and_b32_e32 v18, 0x7fffffff, v2
	v_mov_b32_e32 v19, v33
	v_cmp_gt_u64_e32 vcc, s[78:79], v[18:19]
	v_and_b32_sdwa v3, v2, s97 dst_sel:DWORD dst_unused:UNUSED_PAD src0_sel:BYTE_3 src1_sel:DWORD
                                        ; implicit-def: $vgpr18
	s_and_saveexec_b64 s[28:29], vcc
	s_xor_b64 s[34:35], exec, s[28:29]
	s_cbranch_execz .LBB6_16129
; %bb.16120:                            ;   in Loop: Header=BB6_13186 Depth=3
	v_mov_b32_e32 v18, 0
	v_cmp_ne_u32_e32 vcc, 0, v2
	s_and_saveexec_b64 s[36:37], vcc
	s_cbranch_execz .LBB6_16128
; %bb.16121:                            ;   in Loop: Header=BB6_13186 Depth=3
	v_bfe_u32 v5, v2, 23, 8
	v_cmp_gt_u32_e64 s[28:29], s47, v5
	v_sub_u32_e32 v2, 0x71, v5
	v_cmp_eq_u32_e32 vcc, 0, v5
	v_cndmask_b32_e64 v2, 0, v2, s[28:29]
	v_mov_b32_e32 v17, 0x70
	v_cndmask_b32_e32 v18, v2, v17, vcc
	v_add_u32_e32 v2, 21, v18
	v_or_b32_e32 v16, 0x800000, v0
	v_lshlrev_b64 v[19:20], v2, -1
	v_cndmask_b32_e32 v0, v16, v0, vcc
	v_add_u32_e32 v2, 20, v18
	v_bfi_b32 v19, v19, 0, v0
	v_lshlrev_b64 v[21:22], v2, 1
	v_lshrrev_b64 v[0:1], v18, v[0:1]
	v_bfi_b32 v20, v20, 0, 0
	v_cmp_eq_u64_e64 s[28:29], v[19:20], v[21:22]
	v_mov_b32_e32 v2, v1
	v_mov_b32_e32 v1, v0
	s_and_saveexec_b64 s[38:39], s[28:29]
; %bb.16122:                            ;   in Loop: Header=BB6_13186 Depth=3
	v_bfe_u32 v1, v0, 21, 1
	v_add_co_u32_e64 v1, s[28:29], v0, v1
	v_add_co_u32_e64 v1, s[28:29], -1, v1
; %bb.16123:                            ;   in Loop: Header=BB6_13186 Depth=3
	s_or_b64 exec, exec, s[38:39]
	v_add_u32_e32 v2, 0xffffff81, v5
	v_mov_b32_e32 v5, 0xffffff82
	v_cndmask_b32_e32 v2, v2, v5, vcc
	v_lshrrev_b32_e32 v5, 23, v0
	v_add3_u32 v18, v18, v2, v5
	v_add_u32_e32 v5, 14, v18
	v_and_b32_e32 v1, 0x1fffff, v1
	v_add_u32_e32 v0, v1, v0
	v_mov_b32_e32 v1, v33
	v_cmp_ne_u32_e32 vcc, 0, v5
                                        ; implicit-def: $vgpr2
	s_and_saveexec_b64 s[28:29], vcc
	s_xor_b64 s[28:29], exec, s[28:29]
; %bb.16124:                            ;   in Loop: Header=BB6_13186 Depth=3
	v_cmp_lt_u64_e32 vcc, s[88:89], v[0:1]
	v_add_u32_e32 v2, 15, v18
	v_cndmask_b32_e32 v2, v5, v2, vcc
	v_cndmask_b32_e64 v5, 0, 1, vcc
	v_lshrrev_b64 v[0:1], v5, v[0:1]
; %bb.16125:                            ;   in Loop: Header=BB6_13186 Depth=3
	s_andn2_saveexec_b64 s[28:29], s[28:29]
; %bb.16126:                            ;   in Loop: Header=BB6_13186 Depth=3
	v_bfe_u32 v2, v0, 23, 1
; %bb.16127:                            ;   in Loop: Header=BB6_13186 Depth=3
	s_or_b64 exec, exec, s[28:29]
	v_lshrrev_b64 v[0:1], 21, v[0:1]
	v_cmp_gt_i32_e32 vcc, 32, v2
	v_cndmask_b32_e32 v1, 0, v1, vcc
	v_cndmask_b32_e32 v0, 3, v0, vcc
	v_cmp_eq_u64_e64 s[28:29], 0, v[0:1]
	v_min_i32_e32 v1, 31, v2
	v_lshlrev_b32_e32 v1, 2, v1
	v_cmp_eq_u32_e32 vcc, 0, v2
	v_and_b32_e32 v1, 0xfc, v1
	v_and_or_b32 v0, v0, 3, v1
	s_and_b64 s[28:29], vcc, s[28:29]
	v_cndmask_b32_e64 v0, v0, 0, s[28:29]
	v_or_b32_e32 v18, v0, v3
.LBB6_16128:                            ;   in Loop: Header=BB6_13186 Depth=3
	s_or_b64 exec, exec, s[36:37]
                                        ; implicit-def: $vgpr3
.LBB6_16129:                            ;   in Loop: Header=BB6_13186 Depth=3
	s_andn2_saveexec_b64 s[28:29], s[34:35]
; %bb.16130:                            ;   in Loop: Header=BB6_13186 Depth=3
	v_or_b32_e32 v18, 0x7b, v3
; %bb.16131:                            ;   in Loop: Header=BB6_13186 Depth=3
	s_or_b64 exec, exec, s[28:29]
                                        ; implicit-def: $vgpr2
                                        ; implicit-def: $vgpr0_vgpr1
.LBB6_16132:                            ;   in Loop: Header=BB6_13186 Depth=3
	s_andn2_saveexec_b64 s[28:29], s[30:31]
	s_cbranch_execz .LBB6_16138
; %bb.16133:                            ;   in Loop: Header=BB6_13186 Depth=3
	v_cmp_ne_u64_e32 vcc, 0, v[0:1]
                                        ; implicit-def: $vgpr18
	s_and_saveexec_b64 s[62:63], vcc
	s_xor_b64 vcc, exec, s[62:63]
; %bb.16134:                            ;   in Loop: Header=BB6_13186 Depth=3
	v_or_b32_sdwa v18, v2, s44 dst_sel:DWORD dst_unused:UNUSED_PAD src0_sel:BYTE_3 src1_sel:DWORD
                                        ; implicit-def: $vgpr2
; %bb.16135:                            ;   in Loop: Header=BB6_13186 Depth=3
	s_andn2_saveexec_b64 s[30:31], vcc
; %bb.16136:                            ;   in Loop: Header=BB6_13186 Depth=3
	v_cmp_lt_i32_e32 vcc, -1, v2
	v_bfrev_b32_e32 v0, 0.5
	v_mov_b32_e32 v1, 0x7c
	v_cndmask_b32_e32 v18, v0, v1, vcc
; %bb.16137:                            ;   in Loop: Header=BB6_13186 Depth=3
	s_or_b64 exec, exec, s[30:31]
.LBB6_16138:                            ;   in Loop: Header=BB6_13186 Depth=3
	s_or_b64 exec, exec, s[28:29]
	buffer_load_dword v0, off, s[0:3], s33 offset:308 ; 4-byte Folded Reload
	buffer_load_dword v1, off, s[0:3], s33 offset:324 ; 4-byte Folded Reload
	v_cmp_ne_u32_e32 vcc, 0, v6
	v_mov_b32_e32 v2, 0
	v_mov_b32_e32 v3, 0
	s_waitcnt vmcnt(1)
	v_lshl_or_b32 v19, v0, 8, v6
	buffer_load_dword v0, off, s[0:3], s33 offset:316 ; 4-byte Folded Reload
	s_waitcnt vmcnt(1)
	v_lshlrev_b32_e32 v1, 24, v1
	s_waitcnt vmcnt(0)
	v_lshlrev_b32_e32 v0, 16, v0
	v_or3_b32 v0, v0, v1, v19
	v_mov_b32_e32 v1, v33
	s_and_saveexec_b64 s[30:31], vcc
	s_cbranch_execz .LBB6_16146
; %bb.16139:                            ;   in Loop: Header=BB6_13186 Depth=3
	v_cmp_ne_u32_e32 vcc, s97, v6
	v_bfrev_b32_e32 v3, 1
	s_and_saveexec_b64 s[34:35], vcc
	s_cbranch_execz .LBB6_16145
; %bb.16140:                            ;   in Loop: Header=BB6_13186 Depth=3
	v_and_b32_e32 v3, 0x7c, v6
	v_and_b32_e32 v5, 3, v6
	v_cmp_ne_u32_e32 vcc, s86, v3
                                        ; implicit-def: $vgpr3
	s_and_saveexec_b64 s[28:29], vcc
	s_xor_b64 s[28:29], exec, s[28:29]
	s_cbranch_execz .LBB6_16142
; %bb.16141:                            ;   in Loop: Header=BB6_13186 Depth=3
	v_ffbh_u32_e32 v16, v5
	v_min_u32_e32 v16, 32, v16
	v_subrev_u32_e32 v17, 29, v16
	v_lshlrev_b64 v[20:21], v17, v[0:1]
	v_bfe_u32 v3, v6, 2, 5
	v_sub_u32_e32 v1, 30, v16
	v_and_b32_e32 v16, 3, v20
	v_cmp_eq_u32_e32 vcc, 0, v3
	v_cndmask_b32_e32 v1, v3, v1, vcc
	v_cndmask_b32_e32 v3, v5, v16, vcc
	v_lshlrev_b32_e32 v5, 24, v6
	v_and_b32_e32 v5, 0x80000000, v5
	v_lshl_add_u32 v1, v1, 23, v5
	v_lshl_or_b32 v1, v3, 21, v1
	v_add_u32_e32 v3, 0x38000000, v1
                                        ; implicit-def: $vgpr5
                                        ; implicit-def: $vgpr6
.LBB6_16142:                            ;   in Loop: Header=BB6_13186 Depth=3
	s_andn2_saveexec_b64 s[36:37], s[28:29]
; %bb.16143:                            ;   in Loop: Header=BB6_13186 Depth=3
	v_and_b32_e32 v1, 0x80, v6
	v_cmp_eq_u32_e64 s[28:29], 0, v1
	v_mov_b32_e32 v1, 0xff800000
	v_mov_b32_e32 v3, 0x7f800000
	v_cmp_eq_u32_e32 vcc, 0, v5
	v_cndmask_b32_e64 v1, v1, v3, s[28:29]
	v_mov_b32_e32 v3, 0x7f800001
	v_cndmask_b32_e32 v3, v3, v1, vcc
; %bb.16144:                            ;   in Loop: Header=BB6_13186 Depth=3
	s_or_b64 exec, exec, s[36:37]
.LBB6_16145:                            ;   in Loop: Header=BB6_13186 Depth=3
	s_or_b64 exec, exec, s[34:35]
.LBB6_16146:                            ;   in Loop: Header=BB6_13186 Depth=3
	s_or_b64 exec, exec, s[30:31]
	v_cmp_ne_u16_sdwa s[62:63], v12, v33 src0_sel:BYTE_0 src1_sel:DWORD
	s_and_saveexec_b64 s[28:29], s[62:63]
	s_cbranch_execz .LBB6_16154
; %bb.16147:                            ;   in Loop: Header=BB6_13186 Depth=3
	v_cmp_ne_u16_sdwa s[62:63], sext(v12), s46 src0_sel:BYTE_0 src1_sel:DWORD
	v_bfrev_b32_e32 v2, 1
	s_and_saveexec_b64 s[30:31], s[62:63]
	s_cbranch_execz .LBB6_16153
; %bb.16148:                            ;   in Loop: Header=BB6_13186 Depth=3
	v_and_b32_e32 v2, 0x7c, v12
	v_and_b32_e32 v1, 3, v12
	v_cmp_ne_u32_e32 vcc, s86, v2
                                        ; implicit-def: $vgpr2
	s_and_saveexec_b64 s[62:63], vcc
	s_xor_b64 s[34:35], exec, s[62:63]
	s_cbranch_execz .LBB6_16150
; %bb.16149:                            ;   in Loop: Header=BB6_13186 Depth=3
	v_ffbh_u32_e32 v5, v1
	v_min_u32_e32 v16, 32, v5
	v_subrev_u32_e32 v5, 29, v16
	v_lshlrev_b64 v[5:6], v5, v[12:13]
	v_bfe_u32 v2, v12, 2, 5
	v_and_b32_e32 v5, 3, v5
	v_cmp_eq_u32_e32 vcc, 0, v2
	v_sub_u32_e32 v6, 30, v16
	v_cndmask_b32_e32 v1, v1, v5, vcc
	v_lshlrev_b32_e32 v5, 24, v12
	v_cndmask_b32_e32 v2, v2, v6, vcc
	v_and_b32_e32 v5, 0x80000000, v5
	v_lshl_add_u32 v2, v2, 23, v5
	v_lshl_or_b32 v1, v1, 21, v2
	v_add_u32_e32 v2, 0x38000000, v1
                                        ; implicit-def: $vgpr1
.LBB6_16150:                            ;   in Loop: Header=BB6_13186 Depth=3
	s_andn2_saveexec_b64 s[34:35], s[34:35]
; %bb.16151:                            ;   in Loop: Header=BB6_13186 Depth=3
	v_mov_b32_e32 v2, -1
	v_cmp_gt_i16_sdwa vcc, sext(v12), v2 src0_sel:BYTE_0 src1_sel:DWORD
	v_mov_b32_e32 v2, 0xff800000
	v_mov_b32_e32 v5, 0x7f800000
	v_cndmask_b32_e32 v2, v2, v5, vcc
	v_cmp_eq_u32_e32 vcc, 0, v1
	v_mov_b32_e32 v1, 0x7f800001
	v_cndmask_b32_e32 v2, v1, v2, vcc
; %bb.16152:                            ;   in Loop: Header=BB6_13186 Depth=3
	s_or_b64 exec, exec, s[34:35]
.LBB6_16153:                            ;   in Loop: Header=BB6_13186 Depth=3
	s_or_b64 exec, exec, s[30:31]
.LBB6_16154:                            ;   in Loop: Header=BB6_13186 Depth=3
	s_or_b64 exec, exec, s[28:29]
	v_add_f32_e32 v3, v3, v2
	v_and_b32_e32 v5, 0x7f800000, v3
	v_mov_b32_e32 v6, v33
	v_cmp_ne_u64_e32 vcc, s[76:77], v[5:6]
	v_and_b32_e32 v1, 0x7fffff, v3
	v_mov_b32_e32 v2, v33
                                        ; implicit-def: $vgpr6
	s_and_saveexec_b64 s[28:29], vcc
	s_xor_b64 s[30:31], exec, s[28:29]
	s_cbranch_execz .LBB6_16168
; %bb.16155:                            ;   in Loop: Header=BB6_13186 Depth=3
	v_and_b32_e32 v5, 0x7fffffff, v3
	v_mov_b32_e32 v6, v33
	v_cmp_gt_u64_e32 vcc, s[78:79], v[5:6]
	v_and_b32_sdwa v20, v3, s97 dst_sel:DWORD dst_unused:UNUSED_PAD src0_sel:BYTE_3 src1_sel:DWORD
                                        ; implicit-def: $vgpr6
	s_and_saveexec_b64 s[28:29], vcc
	s_xor_b64 s[34:35], exec, s[28:29]
	s_cbranch_execz .LBB6_16165
; %bb.16156:                            ;   in Loop: Header=BB6_13186 Depth=3
	v_mov_b32_e32 v6, 0
	v_cmp_ne_u32_e32 vcc, 0, v3
	s_and_saveexec_b64 s[36:37], vcc
	s_cbranch_execz .LBB6_16164
; %bb.16157:                            ;   in Loop: Header=BB6_13186 Depth=3
	v_bfe_u32 v5, v3, 23, 8
	v_cmp_gt_u32_e64 s[28:29], s47, v5
	v_sub_u32_e32 v3, 0x71, v5
	v_cmp_eq_u32_e32 vcc, 0, v5
	v_cndmask_b32_e64 v3, 0, v3, s[28:29]
	v_mov_b32_e32 v6, 0x70
	v_cndmask_b32_e32 v6, v3, v6, vcc
	v_add_u32_e32 v3, 21, v6
	v_or_b32_e32 v16, 0x800000, v1
	v_lshlrev_b64 v[21:22], v3, -1
	v_cndmask_b32_e32 v1, v16, v1, vcc
	v_add_u32_e32 v3, 20, v6
	v_bfi_b32 v21, v21, 0, v1
	v_lshlrev_b64 v[31:32], v3, 1
	v_lshrrev_b64 v[1:2], v6, v[1:2]
	v_bfi_b32 v22, v22, 0, 0
	v_cmp_eq_u64_e64 s[28:29], v[21:22], v[31:32]
	v_mov_b32_e32 v3, v2
	v_mov_b32_e32 v2, v1
	s_and_saveexec_b64 s[38:39], s[28:29]
; %bb.16158:                            ;   in Loop: Header=BB6_13186 Depth=3
	v_bfe_u32 v2, v1, 21, 1
	v_add_co_u32_e64 v2, s[28:29], v1, v2
	v_add_co_u32_e64 v2, s[28:29], -1, v2
; %bb.16159:                            ;   in Loop: Header=BB6_13186 Depth=3
	s_or_b64 exec, exec, s[38:39]
	v_add_u32_e32 v3, 0xffffff81, v5
	v_mov_b32_e32 v5, 0xffffff82
	v_cndmask_b32_e32 v3, v3, v5, vcc
	v_lshrrev_b32_e32 v5, 23, v1
	v_add3_u32 v6, v6, v3, v5
	v_add_u32_e32 v5, 14, v6
	v_and_b32_e32 v2, 0x1fffff, v2
	v_add_u32_e32 v1, v2, v1
	v_mov_b32_e32 v2, v33
	v_cmp_ne_u32_e32 vcc, 0, v5
                                        ; implicit-def: $vgpr3
	s_and_saveexec_b64 s[28:29], vcc
	s_xor_b64 s[28:29], exec, s[28:29]
; %bb.16160:                            ;   in Loop: Header=BB6_13186 Depth=3
	v_cmp_lt_u64_e32 vcc, s[88:89], v[1:2]
	v_add_u32_e32 v3, 15, v6
	v_cndmask_b32_e32 v3, v5, v3, vcc
	v_cndmask_b32_e64 v5, 0, 1, vcc
	v_lshrrev_b64 v[1:2], v5, v[1:2]
; %bb.16161:                            ;   in Loop: Header=BB6_13186 Depth=3
	s_andn2_saveexec_b64 s[28:29], s[28:29]
; %bb.16162:                            ;   in Loop: Header=BB6_13186 Depth=3
	v_bfe_u32 v3, v1, 23, 1
; %bb.16163:                            ;   in Loop: Header=BB6_13186 Depth=3
	s_or_b64 exec, exec, s[28:29]
	v_lshrrev_b64 v[1:2], 21, v[1:2]
	v_cmp_gt_i32_e32 vcc, 32, v3
	v_cndmask_b32_e32 v2, 0, v2, vcc
	v_cndmask_b32_e32 v1, 3, v1, vcc
	v_cmp_eq_u64_e64 s[28:29], 0, v[1:2]
	v_min_i32_e32 v2, 31, v3
	v_lshlrev_b32_e32 v2, 2, v2
	v_cmp_eq_u32_e32 vcc, 0, v3
	v_and_b32_e32 v2, 0xfc, v2
	v_and_or_b32 v1, v1, 3, v2
	s_and_b64 s[28:29], vcc, s[28:29]
	v_cndmask_b32_e64 v1, v1, 0, s[28:29]
	v_or_b32_e32 v6, v1, v20
.LBB6_16164:                            ;   in Loop: Header=BB6_13186 Depth=3
	s_or_b64 exec, exec, s[36:37]
                                        ; implicit-def: $vgpr20
.LBB6_16165:                            ;   in Loop: Header=BB6_13186 Depth=3
	s_andn2_saveexec_b64 s[28:29], s[34:35]
; %bb.16166:                            ;   in Loop: Header=BB6_13186 Depth=3
	v_or_b32_e32 v6, 0x7b, v20
; %bb.16167:                            ;   in Loop: Header=BB6_13186 Depth=3
	s_or_b64 exec, exec, s[28:29]
                                        ; implicit-def: $vgpr3
                                        ; implicit-def: $vgpr1_vgpr2
.LBB6_16168:                            ;   in Loop: Header=BB6_13186 Depth=3
	s_andn2_saveexec_b64 s[28:29], s[30:31]
	s_cbranch_execz .LBB6_16174
; %bb.16169:                            ;   in Loop: Header=BB6_13186 Depth=3
	v_cmp_ne_u64_e32 vcc, 0, v[1:2]
                                        ; implicit-def: $vgpr6
	s_and_saveexec_b64 s[62:63], vcc
	s_xor_b64 vcc, exec, s[62:63]
; %bb.16170:                            ;   in Loop: Header=BB6_13186 Depth=3
	v_or_b32_sdwa v6, v3, s44 dst_sel:DWORD dst_unused:UNUSED_PAD src0_sel:BYTE_3 src1_sel:DWORD
                                        ; implicit-def: $vgpr3
; %bb.16171:                            ;   in Loop: Header=BB6_13186 Depth=3
	s_andn2_saveexec_b64 s[30:31], vcc
; %bb.16172:                            ;   in Loop: Header=BB6_13186 Depth=3
	v_cmp_lt_i32_e32 vcc, -1, v3
	v_bfrev_b32_e32 v1, 0.5
	v_mov_b32_e32 v2, 0x7c
	v_cndmask_b32_e32 v6, v1, v2, vcc
; %bb.16173:                            ;   in Loop: Header=BB6_13186 Depth=3
	s_or_b64 exec, exec, s[30:31]
.LBB6_16174:                            ;   in Loop: Header=BB6_13186 Depth=3
	s_or_b64 exec, exec, s[28:29]
	v_lshrrev_b16_e32 v1, 8, v19
	v_cmp_ne_u16_e32 vcc, 0, v1
	v_mov_b32_e32 v3, 0
	v_mov_b32_e32 v5, 0
	s_and_saveexec_b64 s[28:29], vcc
	s_cbranch_execz .LBB6_16182
; %bb.16175:                            ;   in Loop: Header=BB6_13186 Depth=3
	v_cmp_ne_u16_e32 vcc, s97, v1
	v_bfrev_b32_e32 v5, 1
	s_and_saveexec_b64 s[30:31], vcc
	s_cbranch_execz .LBB6_16181
; %bb.16176:                            ;   in Loop: Header=BB6_13186 Depth=3
	v_and_b32_e32 v2, 0x7c, v1
	v_and_b32_e32 v20, 3, v1
	v_cmp_ne_u32_e32 vcc, s86, v2
                                        ; implicit-def: $vgpr5
	s_and_saveexec_b64 s[62:63], vcc
	s_xor_b64 s[34:35], exec, s[62:63]
	s_cbranch_execz .LBB6_16178
; %bb.16177:                            ;   in Loop: Header=BB6_13186 Depth=3
	v_ffbh_u32_e32 v16, v20
	v_min_u32_e32 v16, 32, v16
	v_mov_b32_e32 v2, v33
	v_subrev_u32_e32 v17, 29, v16
	v_bfe_u32 v5, v1, 2, 5
	v_lshlrev_b64 v[1:2], v17, v[1:2]
	v_sub_u32_e32 v2, 30, v16
	v_cmp_eq_u32_e32 vcc, 0, v5
	v_cndmask_b32_e32 v2, v5, v2, vcc
	v_lshlrev_b32_e32 v5, 16, v19
	v_and_b32_e32 v1, 3, v1
	v_and_b32_e32 v5, 0x80000000, v5
	v_cndmask_b32_e32 v1, v20, v1, vcc
	v_lshl_add_u32 v2, v2, 23, v5
	v_lshl_or_b32 v1, v1, 21, v2
	v_add_u32_e32 v5, 0x38000000, v1
                                        ; implicit-def: $vgpr20
                                        ; implicit-def: $vgpr19
.LBB6_16178:                            ;   in Loop: Header=BB6_13186 Depth=3
	s_andn2_saveexec_b64 s[34:35], s[34:35]
; %bb.16179:                            ;   in Loop: Header=BB6_13186 Depth=3
	v_cmp_lt_i16_e32 vcc, -1, v19
	v_mov_b32_e32 v1, 0xff800000
	v_mov_b32_e32 v2, 0x7f800000
	v_cndmask_b32_e32 v1, v1, v2, vcc
	v_cmp_eq_u32_e32 vcc, 0, v20
	v_mov_b32_e32 v2, 0x7f800001
	v_cndmask_b32_e32 v5, v2, v1, vcc
; %bb.16180:                            ;   in Loop: Header=BB6_13186 Depth=3
	s_or_b64 exec, exec, s[34:35]
.LBB6_16181:                            ;   in Loop: Header=BB6_13186 Depth=3
	s_or_b64 exec, exec, s[30:31]
.LBB6_16182:                            ;   in Loop: Header=BB6_13186 Depth=3
	s_or_b64 exec, exec, s[28:29]
	v_lshrrev_b16_e32 v1, 8, v12
	v_cmp_ne_u16_e32 vcc, 0, v1
	s_and_saveexec_b64 s[28:29], vcc
	s_cbranch_execz .LBB6_16190
; %bb.16183:                            ;   in Loop: Header=BB6_13186 Depth=3
	v_cmp_ne_u16_e32 vcc, s97, v1
	v_bfrev_b32_e32 v3, 1
	s_and_saveexec_b64 s[30:31], vcc
	s_cbranch_execz .LBB6_16189
; %bb.16184:                            ;   in Loop: Header=BB6_13186 Depth=3
	v_and_b32_e32 v2, 0x7c, v1
	v_and_b32_e32 v19, 3, v1
	v_cmp_ne_u32_e32 vcc, s86, v2
                                        ; implicit-def: $vgpr3
	s_and_saveexec_b64 s[62:63], vcc
	s_xor_b64 s[34:35], exec, s[62:63]
	s_cbranch_execz .LBB6_16186
; %bb.16185:                            ;   in Loop: Header=BB6_13186 Depth=3
	v_ffbh_u32_e32 v16, v19
	v_min_u32_e32 v16, 32, v16
	v_mov_b32_e32 v2, v33
	v_subrev_u32_e32 v17, 29, v16
	v_bfe_u32 v3, v1, 2, 5
	v_lshlrev_b64 v[1:2], v17, v[1:2]
	v_sub_u32_e32 v2, 30, v16
	v_cmp_eq_u32_e32 vcc, 0, v3
	v_cndmask_b32_e32 v2, v3, v2, vcc
	v_lshlrev_b32_e32 v3, 16, v12
	v_and_b32_e32 v1, 3, v1
	v_and_b32_e32 v3, 0x80000000, v3
	v_cndmask_b32_e32 v1, v19, v1, vcc
	v_lshl_add_u32 v2, v2, 23, v3
	v_lshl_or_b32 v1, v1, 21, v2
	v_add_u32_e32 v3, 0x38000000, v1
                                        ; implicit-def: $vgpr19
.LBB6_16186:                            ;   in Loop: Header=BB6_13186 Depth=3
	s_andn2_saveexec_b64 s[34:35], s[34:35]
; %bb.16187:                            ;   in Loop: Header=BB6_13186 Depth=3
	v_cmp_lt_i16_e32 vcc, -1, v12
	v_mov_b32_e32 v1, 0xff800000
	v_mov_b32_e32 v2, 0x7f800000
	v_cndmask_b32_e32 v1, v1, v2, vcc
	v_cmp_eq_u32_e32 vcc, 0, v19
	v_mov_b32_e32 v2, 0x7f800001
	v_cndmask_b32_e32 v3, v2, v1, vcc
; %bb.16188:                            ;   in Loop: Header=BB6_13186 Depth=3
	s_or_b64 exec, exec, s[34:35]
.LBB6_16189:                            ;   in Loop: Header=BB6_13186 Depth=3
	s_or_b64 exec, exec, s[30:31]
.LBB6_16190:                            ;   in Loop: Header=BB6_13186 Depth=3
	s_or_b64 exec, exec, s[28:29]
	v_add_f32_e32 v3, v5, v3
	v_and_b32_e32 v19, 0x7f800000, v3
	v_mov_b32_e32 v20, v33
	v_cmp_ne_u64_e32 vcc, s[76:77], v[19:20]
	v_and_b32_e32 v1, 0x7fffff, v3
	v_mov_b32_e32 v2, v33
                                        ; implicit-def: $vgpr19
	s_and_saveexec_b64 s[28:29], vcc
	s_xor_b64 s[30:31], exec, s[28:29]
	s_cbranch_execz .LBB6_16204
; %bb.16191:                            ;   in Loop: Header=BB6_13186 Depth=3
	v_and_b32_e32 v19, 0x7fffffff, v3
	v_mov_b32_e32 v20, v33
	v_cmp_gt_u64_e32 vcc, s[78:79], v[19:20]
	v_and_b32_sdwa v20, v3, s97 dst_sel:DWORD dst_unused:UNUSED_PAD src0_sel:BYTE_3 src1_sel:DWORD
                                        ; implicit-def: $vgpr19
	s_and_saveexec_b64 s[28:29], vcc
	s_xor_b64 s[34:35], exec, s[28:29]
	s_cbranch_execz .LBB6_16201
; %bb.16192:                            ;   in Loop: Header=BB6_13186 Depth=3
	v_mov_b32_e32 v19, 0
	v_cmp_ne_u32_e32 vcc, 0, v3
	s_and_saveexec_b64 s[36:37], vcc
	s_cbranch_execz .LBB6_16200
; %bb.16193:                            ;   in Loop: Header=BB6_13186 Depth=3
	v_bfe_u32 v5, v3, 23, 8
	v_cmp_gt_u32_e64 s[28:29], s47, v5
	v_sub_u32_e32 v3, 0x71, v5
	v_cmp_eq_u32_e32 vcc, 0, v5
	v_cndmask_b32_e64 v3, 0, v3, s[28:29]
	v_mov_b32_e32 v17, 0x70
	v_cndmask_b32_e32 v19, v3, v17, vcc
	v_add_u32_e32 v3, 21, v19
	v_or_b32_e32 v16, 0x800000, v1
	v_lshlrev_b64 v[21:22], v3, -1
	v_cndmask_b32_e32 v1, v16, v1, vcc
	v_add_u32_e32 v3, 20, v19
	v_bfi_b32 v21, v21, 0, v1
	v_lshlrev_b64 v[31:32], v3, 1
	v_lshrrev_b64 v[1:2], v19, v[1:2]
	v_bfi_b32 v22, v22, 0, 0
	v_cmp_eq_u64_e64 s[28:29], v[21:22], v[31:32]
	v_mov_b32_e32 v3, v2
	v_mov_b32_e32 v2, v1
	s_and_saveexec_b64 s[38:39], s[28:29]
; %bb.16194:                            ;   in Loop: Header=BB6_13186 Depth=3
	v_bfe_u32 v2, v1, 21, 1
	v_add_co_u32_e64 v2, s[28:29], v1, v2
	v_add_co_u32_e64 v2, s[28:29], -1, v2
; %bb.16195:                            ;   in Loop: Header=BB6_13186 Depth=3
	s_or_b64 exec, exec, s[38:39]
	v_add_u32_e32 v3, 0xffffff81, v5
	v_mov_b32_e32 v5, 0xffffff82
	v_cndmask_b32_e32 v3, v3, v5, vcc
	v_lshrrev_b32_e32 v5, 23, v1
	v_add3_u32 v19, v19, v3, v5
	v_add_u32_e32 v5, 14, v19
	v_and_b32_e32 v2, 0x1fffff, v2
	v_add_u32_e32 v1, v2, v1
	v_mov_b32_e32 v2, v33
	v_cmp_ne_u32_e32 vcc, 0, v5
                                        ; implicit-def: $vgpr3
	s_and_saveexec_b64 s[28:29], vcc
	s_xor_b64 s[28:29], exec, s[28:29]
; %bb.16196:                            ;   in Loop: Header=BB6_13186 Depth=3
	v_cmp_lt_u64_e32 vcc, s[88:89], v[1:2]
	v_add_u32_e32 v3, 15, v19
	v_cndmask_b32_e32 v3, v5, v3, vcc
	v_cndmask_b32_e64 v5, 0, 1, vcc
	v_lshrrev_b64 v[1:2], v5, v[1:2]
; %bb.16197:                            ;   in Loop: Header=BB6_13186 Depth=3
	s_andn2_saveexec_b64 s[28:29], s[28:29]
; %bb.16198:                            ;   in Loop: Header=BB6_13186 Depth=3
	v_bfe_u32 v3, v1, 23, 1
; %bb.16199:                            ;   in Loop: Header=BB6_13186 Depth=3
	s_or_b64 exec, exec, s[28:29]
	v_lshrrev_b64 v[1:2], 21, v[1:2]
	v_cmp_gt_i32_e32 vcc, 32, v3
	v_cndmask_b32_e32 v2, 0, v2, vcc
	v_cndmask_b32_e32 v1, 3, v1, vcc
	v_cmp_eq_u64_e64 s[28:29], 0, v[1:2]
	v_min_i32_e32 v2, 31, v3
	v_lshlrev_b32_e32 v2, 2, v2
	v_cmp_eq_u32_e32 vcc, 0, v3
	v_and_b32_e32 v2, 0xfc, v2
	v_and_or_b32 v1, v1, 3, v2
	s_and_b64 s[28:29], vcc, s[28:29]
	v_cndmask_b32_e64 v1, v1, 0, s[28:29]
	v_or_b32_e32 v19, v1, v20
.LBB6_16200:                            ;   in Loop: Header=BB6_13186 Depth=3
	s_or_b64 exec, exec, s[36:37]
                                        ; implicit-def: $vgpr20
.LBB6_16201:                            ;   in Loop: Header=BB6_13186 Depth=3
	s_andn2_saveexec_b64 s[28:29], s[34:35]
; %bb.16202:                            ;   in Loop: Header=BB6_13186 Depth=3
	v_or_b32_e32 v19, 0x7b, v20
; %bb.16203:                            ;   in Loop: Header=BB6_13186 Depth=3
	s_or_b64 exec, exec, s[28:29]
                                        ; implicit-def: $vgpr3
                                        ; implicit-def: $vgpr1_vgpr2
.LBB6_16204:                            ;   in Loop: Header=BB6_13186 Depth=3
	s_andn2_saveexec_b64 s[28:29], s[30:31]
	s_cbranch_execz .LBB6_16210
; %bb.16205:                            ;   in Loop: Header=BB6_13186 Depth=3
	v_cmp_ne_u64_e32 vcc, 0, v[1:2]
                                        ; implicit-def: $vgpr19
	s_and_saveexec_b64 s[62:63], vcc
	s_xor_b64 vcc, exec, s[62:63]
; %bb.16206:                            ;   in Loop: Header=BB6_13186 Depth=3
	v_or_b32_sdwa v19, v3, s44 dst_sel:DWORD dst_unused:UNUSED_PAD src0_sel:BYTE_3 src1_sel:DWORD
                                        ; implicit-def: $vgpr3
; %bb.16207:                            ;   in Loop: Header=BB6_13186 Depth=3
	s_andn2_saveexec_b64 s[30:31], vcc
; %bb.16208:                            ;   in Loop: Header=BB6_13186 Depth=3
	v_cmp_lt_i32_e32 vcc, -1, v3
	v_bfrev_b32_e32 v1, 0.5
	v_mov_b32_e32 v2, 0x7c
	v_cndmask_b32_e32 v19, v1, v2, vcc
; %bb.16209:                            ;   in Loop: Header=BB6_13186 Depth=3
	s_or_b64 exec, exec, s[30:31]
.LBB6_16210:                            ;   in Loop: Header=BB6_13186 Depth=3
	s_or_b64 exec, exec, s[28:29]
	v_and_b32_sdwa v5, v0, s96 dst_sel:DWORD dst_unused:UNUSED_PAD src0_sel:WORD_1 src1_sel:DWORD
	v_lshrrev_b32_e32 v1, 16, v0
	v_cmp_ne_u16_e32 vcc, 0, v5
	v_mov_b32_e32 v2, 0
	v_mov_b32_e32 v3, 0
	s_and_saveexec_b64 s[28:29], vcc
	s_cbranch_execz .LBB6_16218
; %bb.16211:                            ;   in Loop: Header=BB6_13186 Depth=3
	v_cmp_ne_u16_e32 vcc, s97, v5
	v_bfrev_b32_e32 v3, 1
	s_and_saveexec_b64 s[30:31], vcc
	s_cbranch_execz .LBB6_16217
; %bb.16212:                            ;   in Loop: Header=BB6_13186 Depth=3
	v_and_b32_e32 v3, 0x7c0000, v0
	v_bfe_u32 v5, v0, 16, 2
	v_cmp_ne_u32_e32 vcc, s45, v3
                                        ; implicit-def: $vgpr3
	s_and_saveexec_b64 s[62:63], vcc
	s_xor_b64 s[34:35], exec, s[62:63]
	s_cbranch_execz .LBB6_16214
; %bb.16213:                            ;   in Loop: Header=BB6_13186 Depth=3
	v_ffbh_u32_e32 v16, v5
	v_min_u32_e32 v16, 32, v16
	v_subrev_u32_e32 v17, 29, v16
	v_lshlrev_b64 v[20:21], v17, v[1:2]
	v_bfe_u32 v3, v0, 18, 5
	v_sub_u32_e32 v1, 30, v16
	v_and_b32_e32 v16, 3, v20
	v_cmp_eq_u32_e32 vcc, 0, v3
	v_cndmask_b32_e32 v1, v3, v1, vcc
	v_cndmask_b32_e32 v3, v5, v16, vcc
	v_lshlrev_b32_e32 v5, 8, v0
	v_and_b32_e32 v5, 0x80000000, v5
	v_lshl_add_u32 v1, v1, 23, v5
	v_lshl_or_b32 v1, v3, 21, v1
	v_add_u32_e32 v3, 0x38000000, v1
                                        ; implicit-def: $vgpr5
                                        ; implicit-def: $vgpr1
.LBB6_16214:                            ;   in Loop: Header=BB6_13186 Depth=3
	s_andn2_saveexec_b64 s[34:35], s[34:35]
; %bb.16215:                            ;   in Loop: Header=BB6_13186 Depth=3
	v_mov_b32_e32 v3, -1
	v_cmp_gt_i16_sdwa vcc, sext(v1), v3 src0_sel:BYTE_0 src1_sel:DWORD
	v_mov_b32_e32 v1, 0xff800000
	v_mov_b32_e32 v3, 0x7f800000
	v_cndmask_b32_e32 v1, v1, v3, vcc
	v_cmp_eq_u32_e32 vcc, 0, v5
	v_mov_b32_e32 v3, 0x7f800001
	v_cndmask_b32_e32 v3, v3, v1, vcc
; %bb.16216:                            ;   in Loop: Header=BB6_13186 Depth=3
	s_or_b64 exec, exec, s[34:35]
.LBB6_16217:                            ;   in Loop: Header=BB6_13186 Depth=3
	s_or_b64 exec, exec, s[30:31]
.LBB6_16218:                            ;   in Loop: Header=BB6_13186 Depth=3
	s_or_b64 exec, exec, s[28:29]
	v_lshrrev_b32_e32 v1, 16, v12
	v_cmp_ne_u16_sdwa s[62:63], v1, v33 src0_sel:BYTE_0 src1_sel:DWORD
	s_and_saveexec_b64 s[28:29], s[62:63]
	s_cbranch_execz .LBB6_16226
; %bb.16219:                            ;   in Loop: Header=BB6_13186 Depth=3
	v_cmp_ne_u16_sdwa s[62:63], v1, s97 src0_sel:BYTE_0 src1_sel:DWORD
	v_bfrev_b32_e32 v2, 1
	s_and_saveexec_b64 s[30:31], s[62:63]
	s_cbranch_execz .LBB6_16225
; %bb.16220:                            ;   in Loop: Header=BB6_13186 Depth=3
	v_and_b32_e32 v2, 0x7c0000, v12
	v_bfe_u32 v5, v12, 16, 2
	v_cmp_ne_u32_e32 vcc, s45, v2
                                        ; implicit-def: $vgpr2
	s_and_saveexec_b64 s[62:63], vcc
	s_xor_b64 s[34:35], exec, s[62:63]
	s_cbranch_execz .LBB6_16222
; %bb.16221:                            ;   in Loop: Header=BB6_13186 Depth=3
	v_ffbh_u32_e32 v2, v5
	v_min_u32_e32 v17, 32, v2
	v_subrev_u32_e32 v2, 29, v17
	v_lshlrev_b64 v[1:2], v2, v[1:2]
	v_bfe_u32 v16, v12, 18, 5
	v_and_b32_e32 v1, 3, v1
	v_cmp_eq_u32_e32 vcc, 0, v16
	v_sub_u32_e32 v2, 30, v17
	v_cndmask_b32_e32 v1, v5, v1, vcc
	v_lshlrev_b32_e32 v5, 8, v12
	v_cndmask_b32_e32 v2, v16, v2, vcc
	v_and_b32_e32 v5, 0x80000000, v5
	v_lshl_add_u32 v2, v2, 23, v5
	v_lshl_or_b32 v1, v1, 21, v2
	v_add_u32_e32 v2, 0x38000000, v1
                                        ; implicit-def: $vgpr5
                                        ; implicit-def: $vgpr1
.LBB6_16222:                            ;   in Loop: Header=BB6_13186 Depth=3
	s_andn2_saveexec_b64 s[34:35], s[34:35]
; %bb.16223:                            ;   in Loop: Header=BB6_13186 Depth=3
	v_mov_b32_e32 v2, -1
	v_cmp_gt_i16_sdwa vcc, sext(v1), v2 src0_sel:BYTE_0 src1_sel:DWORD
	v_mov_b32_e32 v1, 0xff800000
	v_mov_b32_e32 v2, 0x7f800000
	v_cndmask_b32_e32 v1, v1, v2, vcc
	v_cmp_eq_u32_e32 vcc, 0, v5
	v_mov_b32_e32 v2, 0x7f800001
	v_cndmask_b32_e32 v2, v2, v1, vcc
; %bb.16224:                            ;   in Loop: Header=BB6_13186 Depth=3
	s_or_b64 exec, exec, s[34:35]
.LBB6_16225:                            ;   in Loop: Header=BB6_13186 Depth=3
	s_or_b64 exec, exec, s[30:31]
.LBB6_16226:                            ;   in Loop: Header=BB6_13186 Depth=3
	s_or_b64 exec, exec, s[28:29]
	v_add_f32_e32 v3, v3, v2
	v_and_b32_e32 v20, 0x7f800000, v3
	v_mov_b32_e32 v21, v33
	v_cmp_ne_u64_e32 vcc, s[76:77], v[20:21]
	v_and_b32_e32 v1, 0x7fffff, v3
	v_mov_b32_e32 v2, v33
                                        ; implicit-def: $vgpr41
	s_and_saveexec_b64 s[28:29], vcc
	s_xor_b64 s[30:31], exec, s[28:29]
	s_cbranch_execz .LBB6_16240
; %bb.16227:                            ;   in Loop: Header=BB6_13186 Depth=3
	v_and_b32_e32 v20, 0x7fffffff, v3
	v_mov_b32_e32 v21, v33
	v_cmp_gt_u64_e32 vcc, s[78:79], v[20:21]
	v_and_b32_sdwa v20, v3, s97 dst_sel:DWORD dst_unused:UNUSED_PAD src0_sel:BYTE_3 src1_sel:DWORD
                                        ; implicit-def: $vgpr41
	s_and_saveexec_b64 s[28:29], vcc
	s_xor_b64 s[34:35], exec, s[28:29]
	s_cbranch_execz .LBB6_16237
; %bb.16228:                            ;   in Loop: Header=BB6_13186 Depth=3
	v_mov_b32_e32 v41, 0
	v_cmp_ne_u32_e32 vcc, 0, v3
	s_and_saveexec_b64 s[36:37], vcc
	s_cbranch_execz .LBB6_16236
; %bb.16229:                            ;   in Loop: Header=BB6_13186 Depth=3
	v_bfe_u32 v5, v3, 23, 8
	v_cmp_gt_u32_e64 s[28:29], s47, v5
	v_sub_u32_e32 v3, 0x71, v5
	v_cmp_eq_u32_e32 vcc, 0, v5
	v_cndmask_b32_e64 v3, 0, v3, s[28:29]
	v_mov_b32_e32 v17, 0x70
	v_cndmask_b32_e32 v21, v3, v17, vcc
	v_add_u32_e32 v3, 21, v21
	v_or_b32_e32 v16, 0x800000, v1
	v_lshlrev_b64 v[22:23], v3, -1
	v_cndmask_b32_e32 v1, v16, v1, vcc
	v_add_u32_e32 v3, 20, v21
	v_bfi_b32 v22, v22, 0, v1
	v_lshlrev_b64 v[31:32], v3, 1
	v_lshrrev_b64 v[1:2], v21, v[1:2]
	v_bfi_b32 v23, v23, 0, 0
	v_cmp_eq_u64_e64 s[28:29], v[22:23], v[31:32]
	v_mov_b32_e32 v3, v2
	v_mov_b32_e32 v2, v1
	s_and_saveexec_b64 s[38:39], s[28:29]
; %bb.16230:                            ;   in Loop: Header=BB6_13186 Depth=3
	v_bfe_u32 v2, v1, 21, 1
	v_add_co_u32_e64 v2, s[28:29], v1, v2
	v_add_co_u32_e64 v2, s[28:29], -1, v2
; %bb.16231:                            ;   in Loop: Header=BB6_13186 Depth=3
	s_or_b64 exec, exec, s[38:39]
	v_add_u32_e32 v3, 0xffffff81, v5
	v_mov_b32_e32 v5, 0xffffff82
	v_cndmask_b32_e32 v3, v3, v5, vcc
	v_lshrrev_b32_e32 v5, 23, v1
	v_add3_u32 v21, v21, v3, v5
	v_add_u32_e32 v5, 14, v21
	v_and_b32_e32 v2, 0x1fffff, v2
	v_add_u32_e32 v1, v2, v1
	v_mov_b32_e32 v2, v33
	v_cmp_ne_u32_e32 vcc, 0, v5
                                        ; implicit-def: $vgpr3
	s_and_saveexec_b64 s[28:29], vcc
	s_xor_b64 s[28:29], exec, s[28:29]
; %bb.16232:                            ;   in Loop: Header=BB6_13186 Depth=3
	v_cmp_lt_u64_e32 vcc, s[88:89], v[1:2]
	v_add_u32_e32 v3, 15, v21
	v_cndmask_b32_e32 v3, v5, v3, vcc
	v_cndmask_b32_e64 v5, 0, 1, vcc
	v_lshrrev_b64 v[1:2], v5, v[1:2]
; %bb.16233:                            ;   in Loop: Header=BB6_13186 Depth=3
	s_andn2_saveexec_b64 s[28:29], s[28:29]
; %bb.16234:                            ;   in Loop: Header=BB6_13186 Depth=3
	v_bfe_u32 v3, v1, 23, 1
; %bb.16235:                            ;   in Loop: Header=BB6_13186 Depth=3
	s_or_b64 exec, exec, s[28:29]
	v_lshrrev_b64 v[1:2], 21, v[1:2]
	v_cmp_gt_i32_e32 vcc, 32, v3
	v_cndmask_b32_e32 v2, 0, v2, vcc
	v_cndmask_b32_e32 v1, 3, v1, vcc
	v_cmp_eq_u64_e64 s[28:29], 0, v[1:2]
	v_min_i32_e32 v2, 31, v3
	v_lshlrev_b32_e32 v2, 2, v2
	v_cmp_eq_u32_e32 vcc, 0, v3
	v_and_b32_e32 v2, 0xfc, v2
	v_and_or_b32 v1, v1, 3, v2
	s_and_b64 s[28:29], vcc, s[28:29]
	v_cndmask_b32_e64 v1, v1, 0, s[28:29]
	v_or_b32_e32 v41, v1, v20
.LBB6_16236:                            ;   in Loop: Header=BB6_13186 Depth=3
	s_or_b64 exec, exec, s[36:37]
                                        ; implicit-def: $vgpr20
.LBB6_16237:                            ;   in Loop: Header=BB6_13186 Depth=3
	s_andn2_saveexec_b64 s[28:29], s[34:35]
; %bb.16238:                            ;   in Loop: Header=BB6_13186 Depth=3
	v_or_b32_e32 v41, 0x7b, v20
; %bb.16239:                            ;   in Loop: Header=BB6_13186 Depth=3
	s_or_b64 exec, exec, s[28:29]
                                        ; implicit-def: $vgpr3
                                        ; implicit-def: $vgpr1_vgpr2
.LBB6_16240:                            ;   in Loop: Header=BB6_13186 Depth=3
	s_andn2_saveexec_b64 s[28:29], s[30:31]
	s_cbranch_execz .LBB6_16246
; %bb.16241:                            ;   in Loop: Header=BB6_13186 Depth=3
	v_cmp_ne_u64_e32 vcc, 0, v[1:2]
                                        ; implicit-def: $vgpr41
	s_and_saveexec_b64 s[62:63], vcc
	s_xor_b64 vcc, exec, s[62:63]
; %bb.16242:                            ;   in Loop: Header=BB6_13186 Depth=3
	v_or_b32_sdwa v41, v3, s44 dst_sel:DWORD dst_unused:UNUSED_PAD src0_sel:BYTE_3 src1_sel:DWORD
                                        ; implicit-def: $vgpr3
; %bb.16243:                            ;   in Loop: Header=BB6_13186 Depth=3
	s_andn2_saveexec_b64 s[30:31], vcc
; %bb.16244:                            ;   in Loop: Header=BB6_13186 Depth=3
	v_cmp_lt_i32_e32 vcc, -1, v3
	v_bfrev_b32_e32 v1, 0.5
	v_mov_b32_e32 v2, 0x7c
	v_cndmask_b32_e32 v41, v1, v2, vcc
; %bb.16245:                            ;   in Loop: Header=BB6_13186 Depth=3
	s_or_b64 exec, exec, s[30:31]
.LBB6_16246:                            ;   in Loop: Header=BB6_13186 Depth=3
	s_or_b64 exec, exec, s[28:29]
	v_cmp_lt_u32_e32 vcc, s57, v0
	v_mov_b32_e32 v2, 0
	v_mov_b32_e32 v3, 0
	s_and_saveexec_b64 s[28:29], vcc
	s_cbranch_execz .LBB6_16254
; %bb.16247:                            ;   in Loop: Header=BB6_13186 Depth=3
	v_lshrrev_b32_e32 v1, 24, v0
	v_cmp_ne_u32_e32 vcc, s97, v1
	v_bfrev_b32_e32 v3, 1
	s_and_saveexec_b64 s[30:31], vcc
	s_cbranch_execz .LBB6_16253
; %bb.16248:                            ;   in Loop: Header=BB6_13186 Depth=3
	v_and_b32_e32 v3, 0x7c000000, v0
	v_bfe_u32 v5, v0, 24, 2
	v_cmp_ne_u32_e32 vcc, s68, v3
                                        ; implicit-def: $vgpr3
	s_and_saveexec_b64 s[62:63], vcc
	s_xor_b64 s[34:35], exec, s[62:63]
	s_cbranch_execz .LBB6_16250
; %bb.16249:                            ;   in Loop: Header=BB6_13186 Depth=3
	v_ffbh_u32_e32 v16, v5
	v_min_u32_e32 v16, 32, v16
	v_subrev_u32_e32 v17, 29, v16
	v_bfe_u32 v3, v0, 26, 5
	v_lshlrev_b64 v[20:21], v17, v[1:2]
	v_sub_u32_e32 v1, 30, v16
	v_cmp_eq_u32_e32 vcc, 0, v3
	v_and_b32_e32 v16, 3, v20
	v_cndmask_b32_e32 v1, v3, v1, vcc
	v_and_b32_e32 v0, 0x80000000, v0
	v_cndmask_b32_e32 v3, v5, v16, vcc
	v_lshl_add_u32 v0, v1, 23, v0
	v_lshl_or_b32 v0, v3, 21, v0
	v_add_u32_e32 v3, 0x38000000, v0
                                        ; implicit-def: $vgpr5
                                        ; implicit-def: $vgpr0_vgpr1
.LBB6_16250:                            ;   in Loop: Header=BB6_13186 Depth=3
	s_andn2_saveexec_b64 s[34:35], s[34:35]
; %bb.16251:                            ;   in Loop: Header=BB6_13186 Depth=3
	v_cmp_lt_i32_e32 vcc, -1, v0
	v_mov_b32_e32 v0, 0xff800000
	v_mov_b32_e32 v1, 0x7f800000
	v_cndmask_b32_e32 v0, v0, v1, vcc
	v_cmp_eq_u32_e32 vcc, 0, v5
	v_mov_b32_e32 v1, 0x7f800001
	v_cndmask_b32_e32 v3, v1, v0, vcc
; %bb.16252:                            ;   in Loop: Header=BB6_13186 Depth=3
	s_or_b64 exec, exec, s[34:35]
.LBB6_16253:                            ;   in Loop: Header=BB6_13186 Depth=3
	s_or_b64 exec, exec, s[30:31]
.LBB6_16254:                            ;   in Loop: Header=BB6_13186 Depth=3
	s_or_b64 exec, exec, s[28:29]
	v_cmp_lt_u32_e32 vcc, s57, v12
	s_and_saveexec_b64 s[28:29], vcc
	s_cbranch_execz .LBB6_16262
; %bb.16255:                            ;   in Loop: Header=BB6_13186 Depth=3
	v_lshrrev_b32_e32 v0, 24, v12
	v_cmp_ne_u32_e32 vcc, s97, v0
	v_bfrev_b32_e32 v2, 1
	s_and_saveexec_b64 s[30:31], vcc
	s_cbranch_execz .LBB6_16261
; %bb.16256:                            ;   in Loop: Header=BB6_13186 Depth=3
	v_and_b32_e32 v2, 0x7c000000, v12
	v_bfe_u32 v1, v12, 24, 2
	v_cmp_ne_u32_e32 vcc, s68, v2
                                        ; implicit-def: $vgpr2
	s_and_saveexec_b64 s[62:63], vcc
	s_xor_b64 s[34:35], exec, s[62:63]
	s_cbranch_execz .LBB6_16258
; %bb.16257:                            ;   in Loop: Header=BB6_13186 Depth=3
	v_ffbh_u32_e32 v5, v1
	v_min_u32_e32 v5, 32, v5
	v_subrev_u32_e32 v16, 29, v5
	v_bfe_u32 v2, v12, 26, 5
	v_lshlrev_b64 v[20:21], v16, v[0:1]
	v_sub_u32_e32 v0, 30, v5
	v_cmp_eq_u32_e32 vcc, 0, v2
	v_and_b32_e32 v5, 3, v20
	v_cndmask_b32_e32 v0, v2, v0, vcc
	v_and_b32_e32 v2, 0x80000000, v12
	v_cndmask_b32_e32 v1, v1, v5, vcc
	v_lshl_add_u32 v0, v0, 23, v2
	v_lshl_or_b32 v0, v1, 21, v0
	v_add_u32_e32 v2, 0x38000000, v0
                                        ; implicit-def: $vgpr1
.LBB6_16258:                            ;   in Loop: Header=BB6_13186 Depth=3
	s_andn2_saveexec_b64 s[34:35], s[34:35]
; %bb.16259:                            ;   in Loop: Header=BB6_13186 Depth=3
	v_cmp_lt_i32_e32 vcc, -1, v12
	v_mov_b32_e32 v0, 0xff800000
	v_mov_b32_e32 v2, 0x7f800000
	v_cndmask_b32_e32 v0, v0, v2, vcc
	v_cmp_eq_u32_e32 vcc, 0, v1
	v_mov_b32_e32 v1, 0x7f800001
	v_cndmask_b32_e32 v2, v1, v0, vcc
; %bb.16260:                            ;   in Loop: Header=BB6_13186 Depth=3
	s_or_b64 exec, exec, s[34:35]
.LBB6_16261:                            ;   in Loop: Header=BB6_13186 Depth=3
	s_or_b64 exec, exec, s[30:31]
.LBB6_16262:                            ;   in Loop: Header=BB6_13186 Depth=3
	s_or_b64 exec, exec, s[28:29]
	v_add_f32_e32 v2, v3, v2
	v_and_b32_e32 v20, 0x7f800000, v2
	v_mov_b32_e32 v21, v33
	v_cmp_ne_u64_e32 vcc, s[76:77], v[20:21]
	v_and_b32_e32 v0, 0x7fffff, v2
	v_mov_b32_e32 v1, v33
                                        ; implicit-def: $vgpr42
	s_and_saveexec_b64 s[28:29], vcc
	s_xor_b64 s[30:31], exec, s[28:29]
	s_cbranch_execz .LBB6_16276
; %bb.16263:                            ;   in Loop: Header=BB6_13186 Depth=3
	v_and_b32_e32 v20, 0x7fffffff, v2
	v_mov_b32_e32 v21, v33
	v_cmp_gt_u64_e32 vcc, s[78:79], v[20:21]
	v_and_b32_sdwa v3, v2, s97 dst_sel:DWORD dst_unused:UNUSED_PAD src0_sel:BYTE_3 src1_sel:DWORD
                                        ; implicit-def: $vgpr42
	s_and_saveexec_b64 s[28:29], vcc
	s_xor_b64 s[34:35], exec, s[28:29]
	s_cbranch_execz .LBB6_16273
; %bb.16264:                            ;   in Loop: Header=BB6_13186 Depth=3
	v_mov_b32_e32 v42, 0
	v_cmp_ne_u32_e32 vcc, 0, v2
	s_and_saveexec_b64 s[36:37], vcc
	s_cbranch_execz .LBB6_16272
; %bb.16265:                            ;   in Loop: Header=BB6_13186 Depth=3
	v_bfe_u32 v5, v2, 23, 8
	v_cmp_gt_u32_e64 s[28:29], s47, v5
	v_sub_u32_e32 v2, 0x71, v5
	v_cmp_eq_u32_e32 vcc, 0, v5
	v_cndmask_b32_e64 v2, 0, v2, s[28:29]
	v_mov_b32_e32 v17, 0x70
	v_cndmask_b32_e32 v20, v2, v17, vcc
	v_add_u32_e32 v2, 21, v20
	v_or_b32_e32 v16, 0x800000, v0
	v_lshlrev_b64 v[21:22], v2, -1
	v_cndmask_b32_e32 v0, v16, v0, vcc
	v_add_u32_e32 v2, 20, v20
	v_bfi_b32 v21, v21, 0, v0
	v_lshlrev_b64 v[31:32], v2, 1
	v_lshrrev_b64 v[0:1], v20, v[0:1]
	v_bfi_b32 v22, v22, 0, 0
	v_cmp_eq_u64_e64 s[28:29], v[21:22], v[31:32]
	v_mov_b32_e32 v2, v1
	v_mov_b32_e32 v1, v0
	s_and_saveexec_b64 s[38:39], s[28:29]
; %bb.16266:                            ;   in Loop: Header=BB6_13186 Depth=3
	v_bfe_u32 v1, v0, 21, 1
	v_add_co_u32_e64 v1, s[28:29], v0, v1
	v_add_co_u32_e64 v1, s[28:29], -1, v1
; %bb.16267:                            ;   in Loop: Header=BB6_13186 Depth=3
	s_or_b64 exec, exec, s[38:39]
	v_add_u32_e32 v2, 0xffffff81, v5
	v_mov_b32_e32 v5, 0xffffff82
	v_cndmask_b32_e32 v2, v2, v5, vcc
	v_lshrrev_b32_e32 v5, 23, v0
	v_add3_u32 v20, v20, v2, v5
	v_add_u32_e32 v5, 14, v20
	v_and_b32_e32 v1, 0x1fffff, v1
	v_add_u32_e32 v0, v1, v0
	v_mov_b32_e32 v1, v33
	v_cmp_ne_u32_e32 vcc, 0, v5
                                        ; implicit-def: $vgpr2
	s_and_saveexec_b64 s[28:29], vcc
	s_xor_b64 s[28:29], exec, s[28:29]
; %bb.16268:                            ;   in Loop: Header=BB6_13186 Depth=3
	v_cmp_lt_u64_e32 vcc, s[88:89], v[0:1]
	v_add_u32_e32 v2, 15, v20
	v_cndmask_b32_e32 v2, v5, v2, vcc
	v_cndmask_b32_e64 v5, 0, 1, vcc
	v_lshrrev_b64 v[0:1], v5, v[0:1]
; %bb.16269:                            ;   in Loop: Header=BB6_13186 Depth=3
	s_andn2_saveexec_b64 s[28:29], s[28:29]
; %bb.16270:                            ;   in Loop: Header=BB6_13186 Depth=3
	v_bfe_u32 v2, v0, 23, 1
; %bb.16271:                            ;   in Loop: Header=BB6_13186 Depth=3
	s_or_b64 exec, exec, s[28:29]
	v_lshrrev_b64 v[0:1], 21, v[0:1]
	v_cmp_gt_i32_e32 vcc, 32, v2
	v_cndmask_b32_e32 v1, 0, v1, vcc
	v_cndmask_b32_e32 v0, 3, v0, vcc
	v_cmp_eq_u64_e64 s[28:29], 0, v[0:1]
	v_min_i32_e32 v1, 31, v2
	v_lshlrev_b32_e32 v1, 2, v1
	v_cmp_eq_u32_e32 vcc, 0, v2
	v_and_b32_e32 v1, 0xfc, v1
	v_and_or_b32 v0, v0, 3, v1
	s_and_b64 s[28:29], vcc, s[28:29]
	v_cndmask_b32_e64 v0, v0, 0, s[28:29]
	v_or_b32_e32 v42, v0, v3
.LBB6_16272:                            ;   in Loop: Header=BB6_13186 Depth=3
	s_or_b64 exec, exec, s[36:37]
                                        ; implicit-def: $vgpr3
.LBB6_16273:                            ;   in Loop: Header=BB6_13186 Depth=3
	s_andn2_saveexec_b64 s[28:29], s[34:35]
; %bb.16274:                            ;   in Loop: Header=BB6_13186 Depth=3
	v_or_b32_e32 v42, 0x7b, v3
; %bb.16275:                            ;   in Loop: Header=BB6_13186 Depth=3
	s_or_b64 exec, exec, s[28:29]
                                        ; implicit-def: $vgpr2
                                        ; implicit-def: $vgpr0_vgpr1
.LBB6_16276:                            ;   in Loop: Header=BB6_13186 Depth=3
	s_andn2_saveexec_b64 s[28:29], s[30:31]
	s_cbranch_execz .LBB6_16282
; %bb.16277:                            ;   in Loop: Header=BB6_13186 Depth=3
	v_cmp_ne_u64_e32 vcc, 0, v[0:1]
                                        ; implicit-def: $vgpr42
	s_and_saveexec_b64 s[62:63], vcc
	s_xor_b64 vcc, exec, s[62:63]
; %bb.16278:                            ;   in Loop: Header=BB6_13186 Depth=3
	v_or_b32_sdwa v42, v2, s44 dst_sel:DWORD dst_unused:UNUSED_PAD src0_sel:BYTE_3 src1_sel:DWORD
                                        ; implicit-def: $vgpr2
; %bb.16279:                            ;   in Loop: Header=BB6_13186 Depth=3
	s_andn2_saveexec_b64 s[30:31], vcc
; %bb.16280:                            ;   in Loop: Header=BB6_13186 Depth=3
	v_cmp_lt_i32_e32 vcc, -1, v2
	v_bfrev_b32_e32 v0, 0.5
	v_mov_b32_e32 v1, 0x7c
	v_cndmask_b32_e32 v42, v0, v1, vcc
; %bb.16281:                            ;   in Loop: Header=BB6_13186 Depth=3
	s_or_b64 exec, exec, s[30:31]
.LBB6_16282:                            ;   in Loop: Header=BB6_13186 Depth=3
	s_or_b64 exec, exec, s[28:29]
	buffer_load_dword v0, off, s[0:3], s33 offset:288 ; 4-byte Folded Reload
	buffer_load_dword v1, off, s[0:3], s33 offset:312 ; 4-byte Folded Reload
	v_cmp_ne_u32_e32 vcc, 0, v44
	v_mov_b32_e32 v2, 0
	v_mov_b32_e32 v3, 0
	s_waitcnt vmcnt(1)
	v_lshl_or_b32 v20, v0, 8, v44
	buffer_load_dword v0, off, s[0:3], s33 offset:304 ; 4-byte Folded Reload
	s_waitcnt vmcnt(1)
	v_lshlrev_b32_e32 v1, 24, v1
	s_waitcnt vmcnt(0)
	v_lshlrev_b32_e32 v0, 16, v0
	v_or3_b32 v0, v0, v1, v20
	v_mov_b32_e32 v1, v33
	s_and_saveexec_b64 s[30:31], vcc
	s_cbranch_execz .LBB6_16290
; %bb.16283:                            ;   in Loop: Header=BB6_13186 Depth=3
	v_cmp_ne_u32_e32 vcc, s97, v44
	v_bfrev_b32_e32 v3, 1
	s_and_saveexec_b64 s[34:35], vcc
	s_cbranch_execz .LBB6_16289
; %bb.16284:                            ;   in Loop: Header=BB6_13186 Depth=3
	v_and_b32_e32 v3, 0x7c, v44
	v_and_b32_e32 v5, 3, v44
	v_cmp_ne_u32_e32 vcc, s86, v3
                                        ; implicit-def: $vgpr3
	s_and_saveexec_b64 s[28:29], vcc
	s_xor_b64 s[28:29], exec, s[28:29]
	s_cbranch_execz .LBB6_16286
; %bb.16285:                            ;   in Loop: Header=BB6_13186 Depth=3
	v_ffbh_u32_e32 v16, v5
	v_min_u32_e32 v16, 32, v16
	v_subrev_u32_e32 v17, 29, v16
	v_lshlrev_b64 v[21:22], v17, v[0:1]
	v_bfe_u32 v3, v44, 2, 5
	v_sub_u32_e32 v1, 30, v16
	v_and_b32_e32 v16, 3, v21
	v_cmp_eq_u32_e32 vcc, 0, v3
	v_cndmask_b32_e32 v1, v3, v1, vcc
	v_cndmask_b32_e32 v3, v5, v16, vcc
	v_lshlrev_b32_e32 v5, 24, v44
	v_and_b32_e32 v5, 0x80000000, v5
	v_lshl_add_u32 v1, v1, 23, v5
	v_lshl_or_b32 v1, v3, 21, v1
	v_add_u32_e32 v3, 0x38000000, v1
                                        ; implicit-def: $vgpr5
                                        ; implicit-def: $vgpr44
.LBB6_16286:                            ;   in Loop: Header=BB6_13186 Depth=3
	s_andn2_saveexec_b64 s[36:37], s[28:29]
; %bb.16287:                            ;   in Loop: Header=BB6_13186 Depth=3
	v_and_b32_e32 v1, 0x80, v44
	v_cmp_eq_u32_e64 s[28:29], 0, v1
	v_mov_b32_e32 v1, 0xff800000
	v_mov_b32_e32 v3, 0x7f800000
	v_cmp_eq_u32_e32 vcc, 0, v5
	v_cndmask_b32_e64 v1, v1, v3, s[28:29]
	v_mov_b32_e32 v3, 0x7f800001
	v_cndmask_b32_e32 v3, v3, v1, vcc
; %bb.16288:                            ;   in Loop: Header=BB6_13186 Depth=3
	s_or_b64 exec, exec, s[36:37]
.LBB6_16289:                            ;   in Loop: Header=BB6_13186 Depth=3
	s_or_b64 exec, exec, s[34:35]
.LBB6_16290:                            ;   in Loop: Header=BB6_13186 Depth=3
	s_or_b64 exec, exec, s[30:31]
	v_cmp_ne_u16_sdwa s[62:63], v13, v33 src0_sel:BYTE_0 src1_sel:DWORD
	s_and_saveexec_b64 s[28:29], s[62:63]
	s_cbranch_execz .LBB6_16298
; %bb.16291:                            ;   in Loop: Header=BB6_13186 Depth=3
	v_cmp_ne_u16_sdwa s[62:63], v13, s97 src0_sel:BYTE_0 src1_sel:DWORD
	v_bfrev_b32_e32 v2, 1
	s_and_saveexec_b64 s[30:31], s[62:63]
	s_cbranch_execz .LBB6_16297
; %bb.16292:                            ;   in Loop: Header=BB6_13186 Depth=3
	v_and_b32_e32 v2, 0x7c, v13
	v_and_b32_e32 v1, 3, v13
	v_cmp_ne_u32_e32 vcc, s86, v2
                                        ; implicit-def: $vgpr2
	s_and_saveexec_b64 s[62:63], vcc
	s_xor_b64 s[34:35], exec, s[62:63]
	s_cbranch_execz .LBB6_16294
; %bb.16293:                            ;   in Loop: Header=BB6_13186 Depth=3
	v_ffbh_u32_e32 v5, v1
	v_min_u32_e32 v5, 32, v5
	v_mov_b32_e32 v21, v13
	v_mov_b32_e32 v22, v33
	v_bfe_u32 v2, v13, 2, 5
	v_subrev_u32_e32 v16, 29, v5
	v_lshlrev_b64 v[21:22], v16, v[21:22]
	v_sub_u32_e32 v5, 30, v5
	v_cmp_eq_u32_e32 vcc, 0, v2
	v_cndmask_b32_e32 v2, v2, v5, vcc
	v_lshlrev_b32_e32 v5, 24, v13
	v_and_b32_e32 v16, 3, v21
	v_and_b32_e32 v5, 0x80000000, v5
	v_cndmask_b32_e32 v1, v1, v16, vcc
	v_lshl_add_u32 v2, v2, 23, v5
	v_lshl_or_b32 v1, v1, 21, v2
	v_add_u32_e32 v2, 0x38000000, v1
                                        ; implicit-def: $vgpr1
.LBB6_16294:                            ;   in Loop: Header=BB6_13186 Depth=3
	s_andn2_saveexec_b64 s[34:35], s[34:35]
; %bb.16295:                            ;   in Loop: Header=BB6_13186 Depth=3
	v_mov_b32_e32 v2, -1
	v_cmp_gt_i16_sdwa vcc, sext(v13), v2 src0_sel:BYTE_0 src1_sel:DWORD
	v_mov_b32_e32 v2, 0xff800000
	v_mov_b32_e32 v5, 0x7f800000
	v_cndmask_b32_e32 v2, v2, v5, vcc
	v_cmp_eq_u32_e32 vcc, 0, v1
	v_mov_b32_e32 v1, 0x7f800001
	v_cndmask_b32_e32 v2, v1, v2, vcc
; %bb.16296:                            ;   in Loop: Header=BB6_13186 Depth=3
	s_or_b64 exec, exec, s[34:35]
.LBB6_16297:                            ;   in Loop: Header=BB6_13186 Depth=3
	s_or_b64 exec, exec, s[30:31]
.LBB6_16298:                            ;   in Loop: Header=BB6_13186 Depth=3
	s_or_b64 exec, exec, s[28:29]
	v_add_f32_e32 v3, v3, v2
	v_and_b32_e32 v21, 0x7f800000, v3
	v_mov_b32_e32 v22, v33
	v_cmp_ne_u64_e32 vcc, s[76:77], v[21:22]
	v_and_b32_e32 v1, 0x7fffff, v3
	v_mov_b32_e32 v2, v33
                                        ; implicit-def: $vgpr43
	s_and_saveexec_b64 s[28:29], vcc
	s_xor_b64 s[30:31], exec, s[28:29]
	s_cbranch_execz .LBB6_16312
; %bb.16299:                            ;   in Loop: Header=BB6_13186 Depth=3
	v_and_b32_e32 v21, 0x7fffffff, v3
	v_mov_b32_e32 v22, v33
	v_cmp_gt_u64_e32 vcc, s[78:79], v[21:22]
	v_and_b32_sdwa v21, v3, s97 dst_sel:DWORD dst_unused:UNUSED_PAD src0_sel:BYTE_3 src1_sel:DWORD
                                        ; implicit-def: $vgpr43
	s_and_saveexec_b64 s[28:29], vcc
	s_xor_b64 s[34:35], exec, s[28:29]
	s_cbranch_execz .LBB6_16309
; %bb.16300:                            ;   in Loop: Header=BB6_13186 Depth=3
	v_mov_b32_e32 v43, 0
	v_cmp_ne_u32_e32 vcc, 0, v3
	s_and_saveexec_b64 s[36:37], vcc
	s_cbranch_execz .LBB6_16308
; %bb.16301:                            ;   in Loop: Header=BB6_13186 Depth=3
	v_bfe_u32 v5, v3, 23, 8
	v_cmp_gt_u32_e64 s[28:29], s47, v5
	v_sub_u32_e32 v3, 0x71, v5
	v_cmp_eq_u32_e32 vcc, 0, v5
	v_cndmask_b32_e64 v3, 0, v3, s[28:29]
	v_mov_b32_e32 v17, 0x70
	v_cndmask_b32_e32 v22, v3, v17, vcc
	v_add_u32_e32 v3, 21, v22
	v_or_b32_e32 v16, 0x800000, v1
	v_lshlrev_b64 v[31:32], v3, -1
	v_cndmask_b32_e32 v1, v16, v1, vcc
	v_add_u32_e32 v3, 20, v22
	v_bfi_b32 v31, v31, 0, v1
	v_lshlrev_b64 v[38:39], v3, 1
	v_lshrrev_b64 v[1:2], v22, v[1:2]
	v_bfi_b32 v32, v32, 0, 0
	v_cmp_eq_u64_e64 s[28:29], v[31:32], v[38:39]
	v_mov_b32_e32 v3, v2
	v_mov_b32_e32 v2, v1
	s_and_saveexec_b64 s[38:39], s[28:29]
; %bb.16302:                            ;   in Loop: Header=BB6_13186 Depth=3
	v_bfe_u32 v2, v1, 21, 1
	v_add_co_u32_e64 v2, s[28:29], v1, v2
	v_add_co_u32_e64 v2, s[28:29], -1, v2
; %bb.16303:                            ;   in Loop: Header=BB6_13186 Depth=3
	s_or_b64 exec, exec, s[38:39]
	v_add_u32_e32 v3, 0xffffff81, v5
	v_mov_b32_e32 v5, 0xffffff82
	v_cndmask_b32_e32 v3, v3, v5, vcc
	v_lshrrev_b32_e32 v5, 23, v1
	v_add3_u32 v22, v22, v3, v5
	v_add_u32_e32 v5, 14, v22
	v_and_b32_e32 v2, 0x1fffff, v2
	v_add_u32_e32 v1, v2, v1
	v_mov_b32_e32 v2, v33
	v_cmp_ne_u32_e32 vcc, 0, v5
                                        ; implicit-def: $vgpr3
	s_and_saveexec_b64 s[28:29], vcc
	s_xor_b64 s[28:29], exec, s[28:29]
; %bb.16304:                            ;   in Loop: Header=BB6_13186 Depth=3
	v_cmp_lt_u64_e32 vcc, s[88:89], v[1:2]
	v_add_u32_e32 v3, 15, v22
	v_cndmask_b32_e32 v3, v5, v3, vcc
	v_cndmask_b32_e64 v5, 0, 1, vcc
	v_lshrrev_b64 v[1:2], v5, v[1:2]
; %bb.16305:                            ;   in Loop: Header=BB6_13186 Depth=3
	s_andn2_saveexec_b64 s[28:29], s[28:29]
; %bb.16306:                            ;   in Loop: Header=BB6_13186 Depth=3
	v_bfe_u32 v3, v1, 23, 1
; %bb.16307:                            ;   in Loop: Header=BB6_13186 Depth=3
	s_or_b64 exec, exec, s[28:29]
	v_lshrrev_b64 v[1:2], 21, v[1:2]
	v_cmp_gt_i32_e32 vcc, 32, v3
	v_cndmask_b32_e32 v2, 0, v2, vcc
	v_cndmask_b32_e32 v1, 3, v1, vcc
	v_cmp_eq_u64_e64 s[28:29], 0, v[1:2]
	v_min_i32_e32 v2, 31, v3
	v_lshlrev_b32_e32 v2, 2, v2
	v_cmp_eq_u32_e32 vcc, 0, v3
	v_and_b32_e32 v2, 0xfc, v2
	v_and_or_b32 v1, v1, 3, v2
	s_and_b64 s[28:29], vcc, s[28:29]
	v_cndmask_b32_e64 v1, v1, 0, s[28:29]
	v_or_b32_e32 v43, v1, v21
.LBB6_16308:                            ;   in Loop: Header=BB6_13186 Depth=3
	s_or_b64 exec, exec, s[36:37]
                                        ; implicit-def: $vgpr21
.LBB6_16309:                            ;   in Loop: Header=BB6_13186 Depth=3
	s_andn2_saveexec_b64 s[28:29], s[34:35]
; %bb.16310:                            ;   in Loop: Header=BB6_13186 Depth=3
	v_or_b32_e32 v43, 0x7b, v21
; %bb.16311:                            ;   in Loop: Header=BB6_13186 Depth=3
	s_or_b64 exec, exec, s[28:29]
                                        ; implicit-def: $vgpr3
                                        ; implicit-def: $vgpr1_vgpr2
.LBB6_16312:                            ;   in Loop: Header=BB6_13186 Depth=3
	s_andn2_saveexec_b64 s[28:29], s[30:31]
	s_cbranch_execz .LBB6_16318
; %bb.16313:                            ;   in Loop: Header=BB6_13186 Depth=3
	v_cmp_ne_u64_e32 vcc, 0, v[1:2]
                                        ; implicit-def: $vgpr43
	s_and_saveexec_b64 s[62:63], vcc
	s_xor_b64 vcc, exec, s[62:63]
; %bb.16314:                            ;   in Loop: Header=BB6_13186 Depth=3
	v_or_b32_sdwa v43, v3, s44 dst_sel:DWORD dst_unused:UNUSED_PAD src0_sel:BYTE_3 src1_sel:DWORD
                                        ; implicit-def: $vgpr3
; %bb.16315:                            ;   in Loop: Header=BB6_13186 Depth=3
	s_andn2_saveexec_b64 s[30:31], vcc
; %bb.16316:                            ;   in Loop: Header=BB6_13186 Depth=3
	v_cmp_lt_i32_e32 vcc, -1, v3
	v_bfrev_b32_e32 v1, 0.5
	v_mov_b32_e32 v2, 0x7c
	v_cndmask_b32_e32 v43, v1, v2, vcc
; %bb.16317:                            ;   in Loop: Header=BB6_13186 Depth=3
	s_or_b64 exec, exec, s[30:31]
.LBB6_16318:                            ;   in Loop: Header=BB6_13186 Depth=3
	s_or_b64 exec, exec, s[28:29]
	v_lshrrev_b16_e32 v1, 8, v20
	v_cmp_ne_u16_e32 vcc, 0, v1
	v_mov_b32_e32 v3, 0
	v_mov_b32_e32 v5, 0
	s_and_saveexec_b64 s[28:29], vcc
	s_cbranch_execz .LBB6_16326
; %bb.16319:                            ;   in Loop: Header=BB6_13186 Depth=3
	v_cmp_ne_u16_e32 vcc, s97, v1
	v_bfrev_b32_e32 v5, 1
	s_and_saveexec_b64 s[30:31], vcc
	s_cbranch_execz .LBB6_16325
; %bb.16320:                            ;   in Loop: Header=BB6_13186 Depth=3
	v_and_b32_e32 v2, 0x7c, v1
	v_and_b32_e32 v21, 3, v1
	v_cmp_ne_u32_e32 vcc, s86, v2
                                        ; implicit-def: $vgpr5
	s_and_saveexec_b64 s[62:63], vcc
	s_xor_b64 s[34:35], exec, s[62:63]
	s_cbranch_execz .LBB6_16322
; %bb.16321:                            ;   in Loop: Header=BB6_13186 Depth=3
	v_ffbh_u32_e32 v16, v21
	v_min_u32_e32 v16, 32, v16
	v_mov_b32_e32 v2, v33
	v_subrev_u32_e32 v17, 29, v16
	v_bfe_u32 v5, v1, 2, 5
	v_lshlrev_b64 v[1:2], v17, v[1:2]
	v_sub_u32_e32 v2, 30, v16
	v_cmp_eq_u32_e32 vcc, 0, v5
	v_cndmask_b32_e32 v2, v5, v2, vcc
	v_lshlrev_b32_e32 v5, 16, v20
	v_and_b32_e32 v1, 3, v1
	v_and_b32_e32 v5, 0x80000000, v5
	v_cndmask_b32_e32 v1, v21, v1, vcc
	v_lshl_add_u32 v2, v2, 23, v5
	v_lshl_or_b32 v1, v1, 21, v2
	v_add_u32_e32 v5, 0x38000000, v1
                                        ; implicit-def: $vgpr21
                                        ; implicit-def: $vgpr20
.LBB6_16322:                            ;   in Loop: Header=BB6_13186 Depth=3
	s_andn2_saveexec_b64 s[34:35], s[34:35]
; %bb.16323:                            ;   in Loop: Header=BB6_13186 Depth=3
	v_cmp_lt_i16_e32 vcc, -1, v20
	v_mov_b32_e32 v1, 0xff800000
	v_mov_b32_e32 v2, 0x7f800000
	v_cndmask_b32_e32 v1, v1, v2, vcc
	v_cmp_eq_u32_e32 vcc, 0, v21
	v_mov_b32_e32 v2, 0x7f800001
	v_cndmask_b32_e32 v5, v2, v1, vcc
; %bb.16324:                            ;   in Loop: Header=BB6_13186 Depth=3
	s_or_b64 exec, exec, s[34:35]
.LBB6_16325:                            ;   in Loop: Header=BB6_13186 Depth=3
	s_or_b64 exec, exec, s[30:31]
.LBB6_16326:                            ;   in Loop: Header=BB6_13186 Depth=3
	s_or_b64 exec, exec, s[28:29]
	v_lshrrev_b16_e32 v1, 8, v13
	v_cmp_ne_u16_e32 vcc, 0, v1
	s_and_saveexec_b64 s[28:29], vcc
	s_cbranch_execz .LBB6_16334
; %bb.16327:                            ;   in Loop: Header=BB6_13186 Depth=3
	v_cmp_ne_u16_e32 vcc, s97, v1
	v_bfrev_b32_e32 v3, 1
	s_and_saveexec_b64 s[30:31], vcc
	s_cbranch_execz .LBB6_16333
; %bb.16328:                            ;   in Loop: Header=BB6_13186 Depth=3
	v_and_b32_e32 v2, 0x7c, v1
	v_and_b32_e32 v20, 3, v1
	v_cmp_ne_u32_e32 vcc, s86, v2
                                        ; implicit-def: $vgpr3
	s_and_saveexec_b64 s[62:63], vcc
	s_xor_b64 s[34:35], exec, s[62:63]
	s_cbranch_execz .LBB6_16330
; %bb.16329:                            ;   in Loop: Header=BB6_13186 Depth=3
	v_ffbh_u32_e32 v16, v20
	v_min_u32_e32 v16, 32, v16
	v_mov_b32_e32 v2, v33
	v_subrev_u32_e32 v17, 29, v16
	v_bfe_u32 v3, v1, 2, 5
	v_lshlrev_b64 v[1:2], v17, v[1:2]
	v_sub_u32_e32 v2, 30, v16
	v_cmp_eq_u32_e32 vcc, 0, v3
	v_cndmask_b32_e32 v2, v3, v2, vcc
	v_lshlrev_b32_e32 v3, 16, v13
	v_and_b32_e32 v1, 3, v1
	v_and_b32_e32 v3, 0x80000000, v3
	v_cndmask_b32_e32 v1, v20, v1, vcc
	v_lshl_add_u32 v2, v2, 23, v3
	v_lshl_or_b32 v1, v1, 21, v2
	v_add_u32_e32 v3, 0x38000000, v1
                                        ; implicit-def: $vgpr20
.LBB6_16330:                            ;   in Loop: Header=BB6_13186 Depth=3
	s_andn2_saveexec_b64 s[34:35], s[34:35]
; %bb.16331:                            ;   in Loop: Header=BB6_13186 Depth=3
	v_cmp_lt_i16_e32 vcc, -1, v13
	v_mov_b32_e32 v1, 0xff800000
	v_mov_b32_e32 v2, 0x7f800000
	v_cndmask_b32_e32 v1, v1, v2, vcc
	v_cmp_eq_u32_e32 vcc, 0, v20
	v_mov_b32_e32 v2, 0x7f800001
	v_cndmask_b32_e32 v3, v2, v1, vcc
; %bb.16332:                            ;   in Loop: Header=BB6_13186 Depth=3
	s_or_b64 exec, exec, s[34:35]
.LBB6_16333:                            ;   in Loop: Header=BB6_13186 Depth=3
	s_or_b64 exec, exec, s[30:31]
.LBB6_16334:                            ;   in Loop: Header=BB6_13186 Depth=3
	s_or_b64 exec, exec, s[28:29]
	v_add_f32_e32 v3, v5, v3
	v_and_b32_e32 v20, 0x7f800000, v3
	v_mov_b32_e32 v21, v33
	v_cmp_ne_u64_e32 vcc, s[76:77], v[20:21]
	v_and_b32_e32 v1, 0x7fffff, v3
	v_mov_b32_e32 v2, v33
                                        ; implicit-def: $vgpr44
	s_and_saveexec_b64 s[28:29], vcc
	s_xor_b64 s[30:31], exec, s[28:29]
	s_cbranch_execz .LBB6_16348
; %bb.16335:                            ;   in Loop: Header=BB6_13186 Depth=3
	v_and_b32_e32 v20, 0x7fffffff, v3
	v_mov_b32_e32 v21, v33
	v_cmp_gt_u64_e32 vcc, s[78:79], v[20:21]
	v_and_b32_sdwa v20, v3, s97 dst_sel:DWORD dst_unused:UNUSED_PAD src0_sel:BYTE_3 src1_sel:DWORD
                                        ; implicit-def: $vgpr44
	s_and_saveexec_b64 s[28:29], vcc
	s_xor_b64 s[34:35], exec, s[28:29]
	s_cbranch_execz .LBB6_16345
; %bb.16336:                            ;   in Loop: Header=BB6_13186 Depth=3
	v_mov_b32_e32 v44, 0
	v_cmp_ne_u32_e32 vcc, 0, v3
	s_and_saveexec_b64 s[36:37], vcc
	s_cbranch_execz .LBB6_16344
; %bb.16337:                            ;   in Loop: Header=BB6_13186 Depth=3
	v_bfe_u32 v5, v3, 23, 8
	v_cmp_gt_u32_e64 s[28:29], s47, v5
	v_sub_u32_e32 v3, 0x71, v5
	v_cmp_eq_u32_e32 vcc, 0, v5
	v_cndmask_b32_e64 v3, 0, v3, s[28:29]
	v_mov_b32_e32 v17, 0x70
	v_cndmask_b32_e32 v21, v3, v17, vcc
	v_add_u32_e32 v3, 21, v21
	v_or_b32_e32 v16, 0x800000, v1
	v_lshlrev_b64 v[22:23], v3, -1
	v_cndmask_b32_e32 v1, v16, v1, vcc
	v_add_u32_e32 v3, 20, v21
	v_bfi_b32 v22, v22, 0, v1
	v_lshlrev_b64 v[31:32], v3, 1
	v_lshrrev_b64 v[1:2], v21, v[1:2]
	v_bfi_b32 v23, v23, 0, 0
	v_cmp_eq_u64_e64 s[28:29], v[22:23], v[31:32]
	v_mov_b32_e32 v3, v2
	v_mov_b32_e32 v2, v1
	s_and_saveexec_b64 s[38:39], s[28:29]
; %bb.16338:                            ;   in Loop: Header=BB6_13186 Depth=3
	v_bfe_u32 v2, v1, 21, 1
	v_add_co_u32_e64 v2, s[28:29], v1, v2
	v_add_co_u32_e64 v2, s[28:29], -1, v2
; %bb.16339:                            ;   in Loop: Header=BB6_13186 Depth=3
	s_or_b64 exec, exec, s[38:39]
	v_add_u32_e32 v3, 0xffffff81, v5
	v_mov_b32_e32 v5, 0xffffff82
	v_cndmask_b32_e32 v3, v3, v5, vcc
	v_lshrrev_b32_e32 v5, 23, v1
	v_add3_u32 v21, v21, v3, v5
	v_add_u32_e32 v5, 14, v21
	v_and_b32_e32 v2, 0x1fffff, v2
	v_add_u32_e32 v1, v2, v1
	v_mov_b32_e32 v2, v33
	v_cmp_ne_u32_e32 vcc, 0, v5
                                        ; implicit-def: $vgpr3
	s_and_saveexec_b64 s[28:29], vcc
	s_xor_b64 s[28:29], exec, s[28:29]
; %bb.16340:                            ;   in Loop: Header=BB6_13186 Depth=3
	v_cmp_lt_u64_e32 vcc, s[88:89], v[1:2]
	v_add_u32_e32 v3, 15, v21
	v_cndmask_b32_e32 v3, v5, v3, vcc
	v_cndmask_b32_e64 v5, 0, 1, vcc
	v_lshrrev_b64 v[1:2], v5, v[1:2]
; %bb.16341:                            ;   in Loop: Header=BB6_13186 Depth=3
	s_andn2_saveexec_b64 s[28:29], s[28:29]
; %bb.16342:                            ;   in Loop: Header=BB6_13186 Depth=3
	v_bfe_u32 v3, v1, 23, 1
; %bb.16343:                            ;   in Loop: Header=BB6_13186 Depth=3
	s_or_b64 exec, exec, s[28:29]
	v_lshrrev_b64 v[1:2], 21, v[1:2]
	v_cmp_gt_i32_e32 vcc, 32, v3
	v_cndmask_b32_e32 v2, 0, v2, vcc
	v_cndmask_b32_e32 v1, 3, v1, vcc
	v_cmp_eq_u64_e64 s[28:29], 0, v[1:2]
	v_min_i32_e32 v2, 31, v3
	v_lshlrev_b32_e32 v2, 2, v2
	v_cmp_eq_u32_e32 vcc, 0, v3
	v_and_b32_e32 v2, 0xfc, v2
	v_and_or_b32 v1, v1, 3, v2
	s_and_b64 s[28:29], vcc, s[28:29]
	v_cndmask_b32_e64 v1, v1, 0, s[28:29]
	v_or_b32_e32 v44, v1, v20
.LBB6_16344:                            ;   in Loop: Header=BB6_13186 Depth=3
	s_or_b64 exec, exec, s[36:37]
                                        ; implicit-def: $vgpr20
.LBB6_16345:                            ;   in Loop: Header=BB6_13186 Depth=3
	s_andn2_saveexec_b64 s[28:29], s[34:35]
; %bb.16346:                            ;   in Loop: Header=BB6_13186 Depth=3
	v_or_b32_e32 v44, 0x7b, v20
; %bb.16347:                            ;   in Loop: Header=BB6_13186 Depth=3
	s_or_b64 exec, exec, s[28:29]
                                        ; implicit-def: $vgpr3
                                        ; implicit-def: $vgpr1_vgpr2
.LBB6_16348:                            ;   in Loop: Header=BB6_13186 Depth=3
	s_andn2_saveexec_b64 s[28:29], s[30:31]
	s_cbranch_execz .LBB6_16354
; %bb.16349:                            ;   in Loop: Header=BB6_13186 Depth=3
	v_cmp_ne_u64_e32 vcc, 0, v[1:2]
                                        ; implicit-def: $vgpr44
	s_and_saveexec_b64 s[62:63], vcc
	s_xor_b64 vcc, exec, s[62:63]
; %bb.16350:                            ;   in Loop: Header=BB6_13186 Depth=3
	v_or_b32_sdwa v44, v3, s44 dst_sel:DWORD dst_unused:UNUSED_PAD src0_sel:BYTE_3 src1_sel:DWORD
                                        ; implicit-def: $vgpr3
; %bb.16351:                            ;   in Loop: Header=BB6_13186 Depth=3
	s_andn2_saveexec_b64 s[30:31], vcc
; %bb.16352:                            ;   in Loop: Header=BB6_13186 Depth=3
	v_cmp_lt_i32_e32 vcc, -1, v3
	v_bfrev_b32_e32 v1, 0.5
	v_mov_b32_e32 v2, 0x7c
	v_cndmask_b32_e32 v44, v1, v2, vcc
; %bb.16353:                            ;   in Loop: Header=BB6_13186 Depth=3
	s_or_b64 exec, exec, s[30:31]
.LBB6_16354:                            ;   in Loop: Header=BB6_13186 Depth=3
	s_or_b64 exec, exec, s[28:29]
	v_and_b32_sdwa v5, v0, s96 dst_sel:DWORD dst_unused:UNUSED_PAD src0_sel:WORD_1 src1_sel:DWORD
	v_lshrrev_b32_e32 v1, 16, v0
	v_cmp_ne_u16_e32 vcc, 0, v5
	v_mov_b32_e32 v2, 0
	v_mov_b32_e32 v3, 0
	s_and_saveexec_b64 s[28:29], vcc
	s_cbranch_execz .LBB6_16362
; %bb.16355:                            ;   in Loop: Header=BB6_13186 Depth=3
	v_cmp_ne_u16_e32 vcc, s97, v5
	v_bfrev_b32_e32 v3, 1
	s_and_saveexec_b64 s[30:31], vcc
	s_cbranch_execz .LBB6_16361
; %bb.16356:                            ;   in Loop: Header=BB6_13186 Depth=3
	v_and_b32_e32 v3, 0x7c0000, v0
	v_bfe_u32 v5, v0, 16, 2
	v_cmp_ne_u32_e32 vcc, s45, v3
                                        ; implicit-def: $vgpr3
	s_and_saveexec_b64 s[62:63], vcc
	s_xor_b64 s[34:35], exec, s[62:63]
	s_cbranch_execz .LBB6_16358
; %bb.16357:                            ;   in Loop: Header=BB6_13186 Depth=3
	v_ffbh_u32_e32 v16, v5
	v_min_u32_e32 v16, 32, v16
	v_subrev_u32_e32 v17, 29, v16
	v_lshlrev_b64 v[20:21], v17, v[1:2]
	v_bfe_u32 v3, v0, 18, 5
	v_sub_u32_e32 v1, 30, v16
	v_and_b32_e32 v16, 3, v20
	v_cmp_eq_u32_e32 vcc, 0, v3
	v_cndmask_b32_e32 v1, v3, v1, vcc
	v_cndmask_b32_e32 v3, v5, v16, vcc
	v_lshlrev_b32_e32 v5, 8, v0
	v_and_b32_e32 v5, 0x80000000, v5
	v_lshl_add_u32 v1, v1, 23, v5
	v_lshl_or_b32 v1, v3, 21, v1
	v_add_u32_e32 v3, 0x38000000, v1
                                        ; implicit-def: $vgpr5
                                        ; implicit-def: $vgpr1
.LBB6_16358:                            ;   in Loop: Header=BB6_13186 Depth=3
	s_andn2_saveexec_b64 s[34:35], s[34:35]
; %bb.16359:                            ;   in Loop: Header=BB6_13186 Depth=3
	v_mov_b32_e32 v3, -1
	v_cmp_gt_i16_sdwa vcc, sext(v1), v3 src0_sel:BYTE_0 src1_sel:DWORD
	v_mov_b32_e32 v1, 0xff800000
	v_mov_b32_e32 v3, 0x7f800000
	v_cndmask_b32_e32 v1, v1, v3, vcc
	v_cmp_eq_u32_e32 vcc, 0, v5
	v_mov_b32_e32 v3, 0x7f800001
	v_cndmask_b32_e32 v3, v3, v1, vcc
; %bb.16360:                            ;   in Loop: Header=BB6_13186 Depth=3
	s_or_b64 exec, exec, s[34:35]
.LBB6_16361:                            ;   in Loop: Header=BB6_13186 Depth=3
	s_or_b64 exec, exec, s[30:31]
.LBB6_16362:                            ;   in Loop: Header=BB6_13186 Depth=3
	s_or_b64 exec, exec, s[28:29]
	v_lshrrev_b32_e32 v1, 16, v13
	v_cmp_ne_u16_sdwa s[62:63], v1, v33 src0_sel:BYTE_0 src1_sel:DWORD
	s_and_saveexec_b64 s[28:29], s[62:63]
	s_cbranch_execz .LBB6_16370
; %bb.16363:                            ;   in Loop: Header=BB6_13186 Depth=3
	v_cmp_ne_u16_sdwa s[62:63], v1, s97 src0_sel:BYTE_0 src1_sel:DWORD
	v_bfrev_b32_e32 v2, 1
	s_and_saveexec_b64 s[30:31], s[62:63]
	s_cbranch_execz .LBB6_16369
; %bb.16364:                            ;   in Loop: Header=BB6_13186 Depth=3
	v_and_b32_e32 v2, 0x7c0000, v13
	v_bfe_u32 v5, v13, 16, 2
	v_cmp_ne_u32_e32 vcc, s45, v2
                                        ; implicit-def: $vgpr2
	s_and_saveexec_b64 s[62:63], vcc
	s_xor_b64 s[34:35], exec, s[62:63]
	s_cbranch_execz .LBB6_16366
; %bb.16365:                            ;   in Loop: Header=BB6_13186 Depth=3
	v_ffbh_u32_e32 v2, v5
	v_min_u32_e32 v17, 32, v2
	v_subrev_u32_e32 v2, 29, v17
	v_lshlrev_b64 v[1:2], v2, v[1:2]
	v_bfe_u32 v16, v13, 18, 5
	v_and_b32_e32 v1, 3, v1
	v_cmp_eq_u32_e32 vcc, 0, v16
	v_sub_u32_e32 v2, 30, v17
	v_cndmask_b32_e32 v1, v5, v1, vcc
	v_lshlrev_b32_e32 v5, 8, v13
	v_cndmask_b32_e32 v2, v16, v2, vcc
	v_and_b32_e32 v5, 0x80000000, v5
	v_lshl_add_u32 v2, v2, 23, v5
	v_lshl_or_b32 v1, v1, 21, v2
	v_add_u32_e32 v2, 0x38000000, v1
                                        ; implicit-def: $vgpr5
                                        ; implicit-def: $vgpr1
.LBB6_16366:                            ;   in Loop: Header=BB6_13186 Depth=3
	s_andn2_saveexec_b64 s[34:35], s[34:35]
; %bb.16367:                            ;   in Loop: Header=BB6_13186 Depth=3
	v_mov_b32_e32 v2, -1
	v_cmp_gt_i16_sdwa vcc, sext(v1), v2 src0_sel:BYTE_0 src1_sel:DWORD
	v_mov_b32_e32 v1, 0xff800000
	v_mov_b32_e32 v2, 0x7f800000
	v_cndmask_b32_e32 v1, v1, v2, vcc
	v_cmp_eq_u32_e32 vcc, 0, v5
	v_mov_b32_e32 v2, 0x7f800001
	v_cndmask_b32_e32 v2, v2, v1, vcc
; %bb.16368:                            ;   in Loop: Header=BB6_13186 Depth=3
	s_or_b64 exec, exec, s[34:35]
.LBB6_16369:                            ;   in Loop: Header=BB6_13186 Depth=3
	s_or_b64 exec, exec, s[30:31]
.LBB6_16370:                            ;   in Loop: Header=BB6_13186 Depth=3
	s_or_b64 exec, exec, s[28:29]
	v_add_f32_e32 v3, v3, v2
	v_and_b32_e32 v20, 0x7f800000, v3
	v_mov_b32_e32 v21, v33
	v_cmp_ne_u64_e32 vcc, s[76:77], v[20:21]
	v_and_b32_e32 v1, 0x7fffff, v3
	v_mov_b32_e32 v2, v33
                                        ; implicit-def: $vgpr56
	s_and_saveexec_b64 s[28:29], vcc
	s_xor_b64 s[30:31], exec, s[28:29]
	s_cbranch_execz .LBB6_16384
; %bb.16371:                            ;   in Loop: Header=BB6_13186 Depth=3
	v_and_b32_e32 v20, 0x7fffffff, v3
	v_mov_b32_e32 v21, v33
	v_cmp_gt_u64_e32 vcc, s[78:79], v[20:21]
	v_and_b32_sdwa v20, v3, s97 dst_sel:DWORD dst_unused:UNUSED_PAD src0_sel:BYTE_3 src1_sel:DWORD
                                        ; implicit-def: $vgpr56
	s_and_saveexec_b64 s[28:29], vcc
	s_xor_b64 s[34:35], exec, s[28:29]
	s_cbranch_execz .LBB6_16381
; %bb.16372:                            ;   in Loop: Header=BB6_13186 Depth=3
	v_mov_b32_e32 v56, 0
	v_cmp_ne_u32_e32 vcc, 0, v3
	s_and_saveexec_b64 s[36:37], vcc
	s_cbranch_execz .LBB6_16380
; %bb.16373:                            ;   in Loop: Header=BB6_13186 Depth=3
	v_bfe_u32 v5, v3, 23, 8
	v_cmp_gt_u32_e64 s[28:29], s47, v5
	v_sub_u32_e32 v3, 0x71, v5
	v_cmp_eq_u32_e32 vcc, 0, v5
	v_cndmask_b32_e64 v3, 0, v3, s[28:29]
	v_mov_b32_e32 v17, 0x70
	v_cndmask_b32_e32 v21, v3, v17, vcc
	v_add_u32_e32 v3, 21, v21
	v_or_b32_e32 v16, 0x800000, v1
	v_lshlrev_b64 v[22:23], v3, -1
	v_cndmask_b32_e32 v1, v16, v1, vcc
	v_add_u32_e32 v3, 20, v21
	v_bfi_b32 v22, v22, 0, v1
	v_lshlrev_b64 v[31:32], v3, 1
	v_lshrrev_b64 v[1:2], v21, v[1:2]
	v_bfi_b32 v23, v23, 0, 0
	v_cmp_eq_u64_e64 s[28:29], v[22:23], v[31:32]
	v_mov_b32_e32 v3, v2
	v_mov_b32_e32 v2, v1
	s_and_saveexec_b64 s[38:39], s[28:29]
; %bb.16374:                            ;   in Loop: Header=BB6_13186 Depth=3
	v_bfe_u32 v2, v1, 21, 1
	v_add_co_u32_e64 v2, s[28:29], v1, v2
	v_add_co_u32_e64 v2, s[28:29], -1, v2
; %bb.16375:                            ;   in Loop: Header=BB6_13186 Depth=3
	s_or_b64 exec, exec, s[38:39]
	v_add_u32_e32 v3, 0xffffff81, v5
	v_mov_b32_e32 v5, 0xffffff82
	v_cndmask_b32_e32 v3, v3, v5, vcc
	v_lshrrev_b32_e32 v5, 23, v1
	v_add3_u32 v21, v21, v3, v5
	v_add_u32_e32 v5, 14, v21
	v_and_b32_e32 v2, 0x1fffff, v2
	v_add_u32_e32 v1, v2, v1
	v_mov_b32_e32 v2, v33
	v_cmp_ne_u32_e32 vcc, 0, v5
                                        ; implicit-def: $vgpr3
	s_and_saveexec_b64 s[28:29], vcc
	s_xor_b64 s[28:29], exec, s[28:29]
; %bb.16376:                            ;   in Loop: Header=BB6_13186 Depth=3
	v_cmp_lt_u64_e32 vcc, s[88:89], v[1:2]
	v_add_u32_e32 v3, 15, v21
	v_cndmask_b32_e32 v3, v5, v3, vcc
	v_cndmask_b32_e64 v5, 0, 1, vcc
	v_lshrrev_b64 v[1:2], v5, v[1:2]
; %bb.16377:                            ;   in Loop: Header=BB6_13186 Depth=3
	s_andn2_saveexec_b64 s[28:29], s[28:29]
; %bb.16378:                            ;   in Loop: Header=BB6_13186 Depth=3
	v_bfe_u32 v3, v1, 23, 1
; %bb.16379:                            ;   in Loop: Header=BB6_13186 Depth=3
	s_or_b64 exec, exec, s[28:29]
	v_lshrrev_b64 v[1:2], 21, v[1:2]
	v_cmp_gt_i32_e32 vcc, 32, v3
	v_cndmask_b32_e32 v2, 0, v2, vcc
	v_cndmask_b32_e32 v1, 3, v1, vcc
	v_cmp_eq_u64_e64 s[28:29], 0, v[1:2]
	v_min_i32_e32 v2, 31, v3
	v_lshlrev_b32_e32 v2, 2, v2
	v_cmp_eq_u32_e32 vcc, 0, v3
	v_and_b32_e32 v2, 0xfc, v2
	v_and_or_b32 v1, v1, 3, v2
	s_and_b64 s[28:29], vcc, s[28:29]
	v_cndmask_b32_e64 v1, v1, 0, s[28:29]
	v_or_b32_e32 v56, v1, v20
.LBB6_16380:                            ;   in Loop: Header=BB6_13186 Depth=3
	s_or_b64 exec, exec, s[36:37]
                                        ; implicit-def: $vgpr20
.LBB6_16381:                            ;   in Loop: Header=BB6_13186 Depth=3
	s_andn2_saveexec_b64 s[28:29], s[34:35]
; %bb.16382:                            ;   in Loop: Header=BB6_13186 Depth=3
	v_or_b32_e32 v56, 0x7b, v20
; %bb.16383:                            ;   in Loop: Header=BB6_13186 Depth=3
	s_or_b64 exec, exec, s[28:29]
                                        ; implicit-def: $vgpr3
                                        ; implicit-def: $vgpr1_vgpr2
.LBB6_16384:                            ;   in Loop: Header=BB6_13186 Depth=3
	s_andn2_saveexec_b64 s[28:29], s[30:31]
	s_cbranch_execz .LBB6_16390
; %bb.16385:                            ;   in Loop: Header=BB6_13186 Depth=3
	v_cmp_ne_u64_e32 vcc, 0, v[1:2]
                                        ; implicit-def: $vgpr56
	s_and_saveexec_b64 s[62:63], vcc
	s_xor_b64 vcc, exec, s[62:63]
; %bb.16386:                            ;   in Loop: Header=BB6_13186 Depth=3
	v_or_b32_sdwa v56, v3, s44 dst_sel:DWORD dst_unused:UNUSED_PAD src0_sel:BYTE_3 src1_sel:DWORD
                                        ; implicit-def: $vgpr3
; %bb.16387:                            ;   in Loop: Header=BB6_13186 Depth=3
	s_andn2_saveexec_b64 s[30:31], vcc
; %bb.16388:                            ;   in Loop: Header=BB6_13186 Depth=3
	v_cmp_lt_i32_e32 vcc, -1, v3
	v_bfrev_b32_e32 v1, 0.5
	v_mov_b32_e32 v2, 0x7c
	v_cndmask_b32_e32 v56, v1, v2, vcc
; %bb.16389:                            ;   in Loop: Header=BB6_13186 Depth=3
	s_or_b64 exec, exec, s[30:31]
.LBB6_16390:                            ;   in Loop: Header=BB6_13186 Depth=3
	s_or_b64 exec, exec, s[28:29]
	v_cmp_lt_u32_e32 vcc, s57, v0
	v_mov_b32_e32 v2, 0
	v_mov_b32_e32 v3, 0
	s_and_saveexec_b64 s[28:29], vcc
	s_cbranch_execz .LBB6_16398
; %bb.16391:                            ;   in Loop: Header=BB6_13186 Depth=3
	v_lshrrev_b32_e32 v1, 24, v0
	v_cmp_ne_u32_e32 vcc, s97, v1
	v_bfrev_b32_e32 v3, 1
	s_and_saveexec_b64 s[30:31], vcc
	s_cbranch_execz .LBB6_16397
; %bb.16392:                            ;   in Loop: Header=BB6_13186 Depth=3
	v_and_b32_e32 v3, 0x7c000000, v0
	v_bfe_u32 v5, v0, 24, 2
	v_cmp_ne_u32_e32 vcc, s68, v3
                                        ; implicit-def: $vgpr3
	s_and_saveexec_b64 s[62:63], vcc
	s_xor_b64 s[34:35], exec, s[62:63]
	s_cbranch_execz .LBB6_16394
; %bb.16393:                            ;   in Loop: Header=BB6_13186 Depth=3
	v_ffbh_u32_e32 v16, v5
	v_min_u32_e32 v16, 32, v16
	v_subrev_u32_e32 v17, 29, v16
	v_bfe_u32 v3, v0, 26, 5
	v_lshlrev_b64 v[20:21], v17, v[1:2]
	v_sub_u32_e32 v1, 30, v16
	v_cmp_eq_u32_e32 vcc, 0, v3
	v_and_b32_e32 v16, 3, v20
	v_cndmask_b32_e32 v1, v3, v1, vcc
	v_and_b32_e32 v0, 0x80000000, v0
	v_cndmask_b32_e32 v3, v5, v16, vcc
	v_lshl_add_u32 v0, v1, 23, v0
	v_lshl_or_b32 v0, v3, 21, v0
	v_add_u32_e32 v3, 0x38000000, v0
                                        ; implicit-def: $vgpr5
                                        ; implicit-def: $vgpr0_vgpr1
.LBB6_16394:                            ;   in Loop: Header=BB6_13186 Depth=3
	s_andn2_saveexec_b64 s[34:35], s[34:35]
; %bb.16395:                            ;   in Loop: Header=BB6_13186 Depth=3
	v_cmp_lt_i32_e32 vcc, -1, v0
	v_mov_b32_e32 v0, 0xff800000
	v_mov_b32_e32 v1, 0x7f800000
	v_cndmask_b32_e32 v0, v0, v1, vcc
	v_cmp_eq_u32_e32 vcc, 0, v5
	v_mov_b32_e32 v1, 0x7f800001
	v_cndmask_b32_e32 v3, v1, v0, vcc
; %bb.16396:                            ;   in Loop: Header=BB6_13186 Depth=3
	s_or_b64 exec, exec, s[34:35]
.LBB6_16397:                            ;   in Loop: Header=BB6_13186 Depth=3
	s_or_b64 exec, exec, s[30:31]
.LBB6_16398:                            ;   in Loop: Header=BB6_13186 Depth=3
	s_or_b64 exec, exec, s[28:29]
	v_cmp_lt_u64_e32 vcc, s[56:57], v[12:13]
	s_and_saveexec_b64 s[28:29], vcc
	s_cbranch_execz .LBB6_16406
; %bb.16399:                            ;   in Loop: Header=BB6_13186 Depth=3
	v_lshrrev_b32_e32 v0, 24, v13
	v_cmp_ne_u32_e32 vcc, s97, v0
	v_bfrev_b32_e32 v2, 1
	s_and_saveexec_b64 s[30:31], vcc
	s_cbranch_execz .LBB6_16405
; %bb.16400:                            ;   in Loop: Header=BB6_13186 Depth=3
	v_and_b32_e32 v2, 0x7c000000, v13
	v_bfe_u32 v1, v13, 24, 2
	v_cmp_ne_u32_e32 vcc, s68, v2
                                        ; implicit-def: $vgpr2
	s_and_saveexec_b64 s[62:63], vcc
	s_xor_b64 s[34:35], exec, s[62:63]
	s_cbranch_execz .LBB6_16402
; %bb.16401:                            ;   in Loop: Header=BB6_13186 Depth=3
	v_ffbh_u32_e32 v5, v1
	v_min_u32_e32 v5, 32, v5
	v_subrev_u32_e32 v16, 29, v5
	v_bfe_u32 v2, v13, 26, 5
	v_lshlrev_b64 v[20:21], v16, v[0:1]
	v_sub_u32_e32 v0, 30, v5
	v_cmp_eq_u32_e32 vcc, 0, v2
	v_and_b32_e32 v5, 3, v20
	v_cndmask_b32_e32 v0, v2, v0, vcc
	v_and_b32_e32 v2, 0x80000000, v13
	v_cndmask_b32_e32 v1, v1, v5, vcc
	v_lshl_add_u32 v0, v0, 23, v2
	v_lshl_or_b32 v0, v1, 21, v0
	v_add_u32_e32 v2, 0x38000000, v0
                                        ; implicit-def: $vgpr1
.LBB6_16402:                            ;   in Loop: Header=BB6_13186 Depth=3
	s_andn2_saveexec_b64 s[34:35], s[34:35]
; %bb.16403:                            ;   in Loop: Header=BB6_13186 Depth=3
	v_cmp_lt_i64_e32 vcc, -1, v[12:13]
	v_mov_b32_e32 v0, 0xff800000
	v_mov_b32_e32 v2, 0x7f800000
	v_cndmask_b32_e32 v0, v0, v2, vcc
	v_cmp_eq_u32_e32 vcc, 0, v1
	v_mov_b32_e32 v1, 0x7f800001
	v_cndmask_b32_e32 v2, v1, v0, vcc
; %bb.16404:                            ;   in Loop: Header=BB6_13186 Depth=3
	s_or_b64 exec, exec, s[34:35]
.LBB6_16405:                            ;   in Loop: Header=BB6_13186 Depth=3
	s_or_b64 exec, exec, s[30:31]
.LBB6_16406:                            ;   in Loop: Header=BB6_13186 Depth=3
	s_or_b64 exec, exec, s[28:29]
	v_add_f32_e32 v2, v3, v2
	v_and_b32_e32 v12, 0x7f800000, v2
	v_mov_b32_e32 v13, v33
	v_cmp_ne_u64_e32 vcc, s[76:77], v[12:13]
	v_and_b32_e32 v0, 0x7fffff, v2
	v_mov_b32_e32 v1, v33
                                        ; implicit-def: $vgpr12
	s_and_saveexec_b64 s[28:29], vcc
	s_xor_b64 s[30:31], exec, s[28:29]
	s_cbranch_execz .LBB6_16420
; %bb.16407:                            ;   in Loop: Header=BB6_13186 Depth=3
	v_and_b32_e32 v12, 0x7fffffff, v2
	v_mov_b32_e32 v13, v33
	v_cmp_gt_u64_e32 vcc, s[78:79], v[12:13]
	v_and_b32_sdwa v3, v2, s97 dst_sel:DWORD dst_unused:UNUSED_PAD src0_sel:BYTE_3 src1_sel:DWORD
                                        ; implicit-def: $vgpr12
	s_and_saveexec_b64 s[28:29], vcc
	s_xor_b64 s[34:35], exec, s[28:29]
	s_cbranch_execz .LBB6_16417
; %bb.16408:                            ;   in Loop: Header=BB6_13186 Depth=3
	v_mov_b32_e32 v12, 0
	v_cmp_ne_u32_e32 vcc, 0, v2
	s_and_saveexec_b64 s[36:37], vcc
	s_cbranch_execz .LBB6_16416
; %bb.16409:                            ;   in Loop: Header=BB6_13186 Depth=3
	v_bfe_u32 v5, v2, 23, 8
	v_cmp_gt_u32_e64 s[28:29], s47, v5
	v_sub_u32_e32 v2, 0x71, v5
	v_cmp_eq_u32_e32 vcc, 0, v5
	v_cndmask_b32_e64 v2, 0, v2, s[28:29]
	v_mov_b32_e32 v12, 0x70
	v_cndmask_b32_e32 v12, v2, v12, vcc
	v_add_u32_e32 v2, 21, v12
	v_or_b32_e32 v13, 0x800000, v0
	v_lshlrev_b64 v[20:21], v2, -1
	v_cndmask_b32_e32 v0, v13, v0, vcc
	v_add_u32_e32 v2, 20, v12
	v_bfi_b32 v20, v20, 0, v0
	v_lshlrev_b64 v[22:23], v2, 1
	v_lshrrev_b64 v[0:1], v12, v[0:1]
	v_bfi_b32 v21, v21, 0, 0
	v_cmp_eq_u64_e64 s[28:29], v[20:21], v[22:23]
	v_mov_b32_e32 v2, v1
	v_mov_b32_e32 v1, v0
	s_and_saveexec_b64 s[38:39], s[28:29]
; %bb.16410:                            ;   in Loop: Header=BB6_13186 Depth=3
	v_bfe_u32 v1, v0, 21, 1
	v_add_co_u32_e64 v1, s[28:29], v0, v1
	v_add_co_u32_e64 v1, s[28:29], -1, v1
; %bb.16411:                            ;   in Loop: Header=BB6_13186 Depth=3
	s_or_b64 exec, exec, s[38:39]
	v_add_u32_e32 v2, 0xffffff81, v5
	v_mov_b32_e32 v5, 0xffffff82
	v_cndmask_b32_e32 v2, v2, v5, vcc
	v_lshrrev_b32_e32 v5, 23, v0
	v_add3_u32 v12, v12, v2, v5
	v_add_u32_e32 v5, 14, v12
	v_and_b32_e32 v1, 0x1fffff, v1
	v_add_u32_e32 v0, v1, v0
	v_mov_b32_e32 v1, v33
	v_cmp_ne_u32_e32 vcc, 0, v5
                                        ; implicit-def: $vgpr2
	s_and_saveexec_b64 s[28:29], vcc
	s_xor_b64 s[28:29], exec, s[28:29]
; %bb.16412:                            ;   in Loop: Header=BB6_13186 Depth=3
	v_cmp_lt_u64_e32 vcc, s[88:89], v[0:1]
	v_add_u32_e32 v2, 15, v12
	v_cndmask_b32_e32 v2, v5, v2, vcc
	v_cndmask_b32_e64 v5, 0, 1, vcc
	v_lshrrev_b64 v[0:1], v5, v[0:1]
; %bb.16413:                            ;   in Loop: Header=BB6_13186 Depth=3
	s_andn2_saveexec_b64 s[28:29], s[28:29]
; %bb.16414:                            ;   in Loop: Header=BB6_13186 Depth=3
	v_bfe_u32 v2, v0, 23, 1
; %bb.16415:                            ;   in Loop: Header=BB6_13186 Depth=3
	s_or_b64 exec, exec, s[28:29]
	v_lshrrev_b64 v[0:1], 21, v[0:1]
	v_cmp_gt_i32_e32 vcc, 32, v2
	v_cndmask_b32_e32 v1, 0, v1, vcc
	v_cndmask_b32_e32 v0, 3, v0, vcc
	v_cmp_eq_u64_e64 s[28:29], 0, v[0:1]
	v_min_i32_e32 v1, 31, v2
	v_lshlrev_b32_e32 v1, 2, v1
	v_cmp_eq_u32_e32 vcc, 0, v2
	v_and_b32_e32 v1, 0xfc, v1
	v_and_or_b32 v0, v0, 3, v1
	s_and_b64 s[28:29], vcc, s[28:29]
	v_cndmask_b32_e64 v0, v0, 0, s[28:29]
	v_or_b32_e32 v12, v0, v3
.LBB6_16416:                            ;   in Loop: Header=BB6_13186 Depth=3
	s_or_b64 exec, exec, s[36:37]
                                        ; implicit-def: $vgpr3
.LBB6_16417:                            ;   in Loop: Header=BB6_13186 Depth=3
	s_andn2_saveexec_b64 s[28:29], s[34:35]
; %bb.16418:                            ;   in Loop: Header=BB6_13186 Depth=3
	v_or_b32_e32 v12, 0x7b, v3
; %bb.16419:                            ;   in Loop: Header=BB6_13186 Depth=3
	s_or_b64 exec, exec, s[28:29]
                                        ; implicit-def: $vgpr2
                                        ; implicit-def: $vgpr0_vgpr1
.LBB6_16420:                            ;   in Loop: Header=BB6_13186 Depth=3
	s_andn2_saveexec_b64 s[28:29], s[30:31]
	s_cbranch_execz .LBB6_16426
; %bb.16421:                            ;   in Loop: Header=BB6_13186 Depth=3
	v_cmp_ne_u64_e32 vcc, 0, v[0:1]
                                        ; implicit-def: $vgpr12
	s_and_saveexec_b64 s[62:63], vcc
	s_xor_b64 vcc, exec, s[62:63]
; %bb.16422:                            ;   in Loop: Header=BB6_13186 Depth=3
	v_or_b32_sdwa v12, v2, s44 dst_sel:DWORD dst_unused:UNUSED_PAD src0_sel:BYTE_3 src1_sel:DWORD
                                        ; implicit-def: $vgpr2
; %bb.16423:                            ;   in Loop: Header=BB6_13186 Depth=3
	s_andn2_saveexec_b64 s[30:31], vcc
; %bb.16424:                            ;   in Loop: Header=BB6_13186 Depth=3
	v_cmp_lt_i32_e32 vcc, -1, v2
	v_bfrev_b32_e32 v0, 0.5
	v_mov_b32_e32 v1, 0x7c
	v_cndmask_b32_e32 v12, v0, v1, vcc
; %bb.16425:                            ;   in Loop: Header=BB6_13186 Depth=3
	s_or_b64 exec, exec, s[30:31]
.LBB6_16426:                            ;   in Loop: Header=BB6_13186 Depth=3
	s_or_b64 exec, exec, s[28:29]
	buffer_load_dword v0, off, s[0:3], s33 offset:244 ; 4-byte Folded Reload
	buffer_load_dword v1, off, s[0:3], s33 offset:296 ; 4-byte Folded Reload
	v_cmp_ne_u32_e32 vcc, 0, v55
	v_mov_b32_e32 v2, 0
	v_mov_b32_e32 v3, 0
	s_waitcnt vmcnt(1)
	v_lshl_or_b32 v20, v0, 8, v55
	buffer_load_dword v0, off, s[0:3], s33 offset:260 ; 4-byte Folded Reload
	s_waitcnt vmcnt(1)
	v_lshlrev_b32_e32 v1, 24, v1
	s_waitcnt vmcnt(0)
	v_lshlrev_b32_e32 v0, 16, v0
	v_or3_b32 v0, v0, v1, v20
	v_mov_b32_e32 v1, v33
	s_and_saveexec_b64 s[30:31], vcc
	s_cbranch_execz .LBB6_16434
; %bb.16427:                            ;   in Loop: Header=BB6_13186 Depth=3
	v_cmp_ne_u32_e32 vcc, s97, v55
	v_bfrev_b32_e32 v3, 1
	s_and_saveexec_b64 s[34:35], vcc
	s_cbranch_execz .LBB6_16433
; %bb.16428:                            ;   in Loop: Header=BB6_13186 Depth=3
	v_and_b32_e32 v3, 0x7c, v55
	v_and_b32_e32 v5, 3, v55
	v_cmp_ne_u32_e32 vcc, s86, v3
                                        ; implicit-def: $vgpr3
	s_and_saveexec_b64 s[28:29], vcc
	s_xor_b64 s[28:29], exec, s[28:29]
	s_cbranch_execz .LBB6_16430
; %bb.16429:                            ;   in Loop: Header=BB6_13186 Depth=3
	v_ffbh_u32_e32 v13, v5
	v_min_u32_e32 v13, 32, v13
	v_subrev_u32_e32 v16, 29, v13
	v_lshlrev_b64 v[21:22], v16, v[0:1]
	v_bfe_u32 v3, v55, 2, 5
	v_sub_u32_e32 v1, 30, v13
	v_and_b32_e32 v13, 3, v21
	v_cmp_eq_u32_e32 vcc, 0, v3
	v_cndmask_b32_e32 v1, v3, v1, vcc
	v_cndmask_b32_e32 v3, v5, v13, vcc
	v_lshlrev_b32_e32 v5, 24, v55
	v_and_b32_e32 v5, 0x80000000, v5
	v_lshl_add_u32 v1, v1, 23, v5
	v_lshl_or_b32 v1, v3, 21, v1
	v_add_u32_e32 v3, 0x38000000, v1
                                        ; implicit-def: $vgpr5
                                        ; implicit-def: $vgpr55
.LBB6_16430:                            ;   in Loop: Header=BB6_13186 Depth=3
	s_andn2_saveexec_b64 s[36:37], s[28:29]
; %bb.16431:                            ;   in Loop: Header=BB6_13186 Depth=3
	v_and_b32_e32 v1, 0x80, v55
	v_cmp_eq_u32_e64 s[28:29], 0, v1
	v_mov_b32_e32 v1, 0xff800000
	v_mov_b32_e32 v3, 0x7f800000
	v_cmp_eq_u32_e32 vcc, 0, v5
	v_cndmask_b32_e64 v1, v1, v3, s[28:29]
	v_mov_b32_e32 v3, 0x7f800001
	v_cndmask_b32_e32 v3, v3, v1, vcc
; %bb.16432:                            ;   in Loop: Header=BB6_13186 Depth=3
	s_or_b64 exec, exec, s[36:37]
.LBB6_16433:                            ;   in Loop: Header=BB6_13186 Depth=3
	s_or_b64 exec, exec, s[34:35]
.LBB6_16434:                            ;   in Loop: Header=BB6_13186 Depth=3
	s_or_b64 exec, exec, s[30:31]
	v_cmp_ne_u16_sdwa s[62:63], v14, v33 src0_sel:BYTE_0 src1_sel:DWORD
	s_and_saveexec_b64 s[28:29], s[62:63]
	s_cbranch_execz .LBB6_16442
; %bb.16435:                            ;   in Loop: Header=BB6_13186 Depth=3
	v_cmp_ne_u16_sdwa s[62:63], sext(v14), s46 src0_sel:BYTE_0 src1_sel:DWORD
	v_bfrev_b32_e32 v2, 1
	s_and_saveexec_b64 s[30:31], s[62:63]
	s_cbranch_execz .LBB6_16441
; %bb.16436:                            ;   in Loop: Header=BB6_13186 Depth=3
	v_and_b32_e32 v2, 0x7c, v14
	v_and_b32_e32 v1, 3, v14
	v_cmp_ne_u32_e32 vcc, s86, v2
                                        ; implicit-def: $vgpr2
	s_and_saveexec_b64 s[62:63], vcc
	s_xor_b64 s[34:35], exec, s[62:63]
	s_cbranch_execz .LBB6_16438
; %bb.16437:                            ;   in Loop: Header=BB6_13186 Depth=3
	v_ffbh_u32_e32 v5, v1
	v_min_u32_e32 v5, 32, v5
	v_bfe_u32 v2, v14, 2, 5
	v_subrev_u32_e32 v13, 29, v5
	v_lshlrev_b64 v[21:22], v13, v[14:15]
	v_sub_u32_e32 v5, 30, v5
	v_cmp_eq_u32_e32 vcc, 0, v2
	v_cndmask_b32_e32 v2, v2, v5, vcc
	v_lshlrev_b32_e32 v5, 24, v14
	v_and_b32_e32 v13, 3, v21
	v_and_b32_e32 v5, 0x80000000, v5
	v_cndmask_b32_e32 v1, v1, v13, vcc
	v_lshl_add_u32 v2, v2, 23, v5
	v_lshl_or_b32 v1, v1, 21, v2
	v_add_u32_e32 v2, 0x38000000, v1
                                        ; implicit-def: $vgpr1
.LBB6_16438:                            ;   in Loop: Header=BB6_13186 Depth=3
	s_andn2_saveexec_b64 s[34:35], s[34:35]
; %bb.16439:                            ;   in Loop: Header=BB6_13186 Depth=3
	v_mov_b32_e32 v2, -1
	v_cmp_gt_i16_sdwa vcc, sext(v14), v2 src0_sel:BYTE_0 src1_sel:DWORD
	v_mov_b32_e32 v2, 0xff800000
	v_mov_b32_e32 v5, 0x7f800000
	v_cndmask_b32_e32 v2, v2, v5, vcc
	v_cmp_eq_u32_e32 vcc, 0, v1
	v_mov_b32_e32 v1, 0x7f800001
	v_cndmask_b32_e32 v2, v1, v2, vcc
; %bb.16440:                            ;   in Loop: Header=BB6_13186 Depth=3
	s_or_b64 exec, exec, s[34:35]
.LBB6_16441:                            ;   in Loop: Header=BB6_13186 Depth=3
	s_or_b64 exec, exec, s[30:31]
.LBB6_16442:                            ;   in Loop: Header=BB6_13186 Depth=3
	s_or_b64 exec, exec, s[28:29]
	v_add_f32_e32 v3, v3, v2
	v_and_b32_e32 v21, 0x7f800000, v3
	v_mov_b32_e32 v22, v33
	v_cmp_ne_u64_e32 vcc, s[76:77], v[21:22]
	v_and_b32_e32 v1, 0x7fffff, v3
	v_mov_b32_e32 v2, v33
                                        ; implicit-def: $vgpr13
	s_and_saveexec_b64 s[28:29], vcc
	s_xor_b64 s[30:31], exec, s[28:29]
	s_cbranch_execz .LBB6_16456
; %bb.16443:                            ;   in Loop: Header=BB6_13186 Depth=3
	v_and_b32_e32 v21, 0x7fffffff, v3
	v_mov_b32_e32 v22, v33
	v_cmp_gt_u64_e32 vcc, s[78:79], v[21:22]
	v_and_b32_sdwa v21, v3, s97 dst_sel:DWORD dst_unused:UNUSED_PAD src0_sel:BYTE_3 src1_sel:DWORD
                                        ; implicit-def: $vgpr13
	s_and_saveexec_b64 s[28:29], vcc
	s_xor_b64 s[34:35], exec, s[28:29]
	s_cbranch_execz .LBB6_16453
; %bb.16444:                            ;   in Loop: Header=BB6_13186 Depth=3
	v_mov_b32_e32 v13, 0
	v_cmp_ne_u32_e32 vcc, 0, v3
	s_and_saveexec_b64 s[36:37], vcc
	s_cbranch_execz .LBB6_16452
; %bb.16445:                            ;   in Loop: Header=BB6_13186 Depth=3
	v_bfe_u32 v5, v3, 23, 8
	v_cmp_gt_u32_e64 s[28:29], s47, v5
	v_sub_u32_e32 v3, 0x71, v5
	v_cmp_eq_u32_e32 vcc, 0, v5
	v_cndmask_b32_e64 v3, 0, v3, s[28:29]
	v_mov_b32_e32 v13, 0x70
	v_cndmask_b32_e32 v13, v3, v13, vcc
	v_add_u32_e32 v3, 21, v13
	v_or_b32_e32 v16, 0x800000, v1
	v_lshlrev_b64 v[22:23], v3, -1
	v_cndmask_b32_e32 v1, v16, v1, vcc
	v_add_u32_e32 v3, 20, v13
	v_bfi_b32 v22, v22, 0, v1
	v_lshlrev_b64 v[31:32], v3, 1
	v_lshrrev_b64 v[1:2], v13, v[1:2]
	v_bfi_b32 v23, v23, 0, 0
	v_cmp_eq_u64_e64 s[28:29], v[22:23], v[31:32]
	v_mov_b32_e32 v3, v2
	v_mov_b32_e32 v2, v1
	s_and_saveexec_b64 s[38:39], s[28:29]
; %bb.16446:                            ;   in Loop: Header=BB6_13186 Depth=3
	v_bfe_u32 v2, v1, 21, 1
	v_add_co_u32_e64 v2, s[28:29], v1, v2
	v_add_co_u32_e64 v2, s[28:29], -1, v2
; %bb.16447:                            ;   in Loop: Header=BB6_13186 Depth=3
	s_or_b64 exec, exec, s[38:39]
	v_add_u32_e32 v3, 0xffffff81, v5
	v_mov_b32_e32 v5, 0xffffff82
	v_cndmask_b32_e32 v3, v3, v5, vcc
	v_lshrrev_b32_e32 v5, 23, v1
	v_add3_u32 v13, v13, v3, v5
	v_add_u32_e32 v5, 14, v13
	v_and_b32_e32 v2, 0x1fffff, v2
	v_add_u32_e32 v1, v2, v1
	v_mov_b32_e32 v2, v33
	v_cmp_ne_u32_e32 vcc, 0, v5
                                        ; implicit-def: $vgpr3
	s_and_saveexec_b64 s[28:29], vcc
	s_xor_b64 s[28:29], exec, s[28:29]
; %bb.16448:                            ;   in Loop: Header=BB6_13186 Depth=3
	v_cmp_lt_u64_e32 vcc, s[88:89], v[1:2]
	v_add_u32_e32 v3, 15, v13
	v_cndmask_b32_e32 v3, v5, v3, vcc
	v_cndmask_b32_e64 v5, 0, 1, vcc
	v_lshrrev_b64 v[1:2], v5, v[1:2]
; %bb.16449:                            ;   in Loop: Header=BB6_13186 Depth=3
	s_andn2_saveexec_b64 s[28:29], s[28:29]
; %bb.16450:                            ;   in Loop: Header=BB6_13186 Depth=3
	v_bfe_u32 v3, v1, 23, 1
; %bb.16451:                            ;   in Loop: Header=BB6_13186 Depth=3
	s_or_b64 exec, exec, s[28:29]
	v_lshrrev_b64 v[1:2], 21, v[1:2]
	v_cmp_gt_i32_e32 vcc, 32, v3
	v_cndmask_b32_e32 v2, 0, v2, vcc
	v_cndmask_b32_e32 v1, 3, v1, vcc
	v_cmp_eq_u64_e64 s[28:29], 0, v[1:2]
	v_min_i32_e32 v2, 31, v3
	v_lshlrev_b32_e32 v2, 2, v2
	v_cmp_eq_u32_e32 vcc, 0, v3
	v_and_b32_e32 v2, 0xfc, v2
	v_and_or_b32 v1, v1, 3, v2
	s_and_b64 s[28:29], vcc, s[28:29]
	v_cndmask_b32_e64 v1, v1, 0, s[28:29]
	v_or_b32_e32 v13, v1, v21
.LBB6_16452:                            ;   in Loop: Header=BB6_13186 Depth=3
	s_or_b64 exec, exec, s[36:37]
                                        ; implicit-def: $vgpr21
.LBB6_16453:                            ;   in Loop: Header=BB6_13186 Depth=3
	s_andn2_saveexec_b64 s[28:29], s[34:35]
; %bb.16454:                            ;   in Loop: Header=BB6_13186 Depth=3
	v_or_b32_e32 v13, 0x7b, v21
; %bb.16455:                            ;   in Loop: Header=BB6_13186 Depth=3
	s_or_b64 exec, exec, s[28:29]
                                        ; implicit-def: $vgpr3
                                        ; implicit-def: $vgpr1_vgpr2
.LBB6_16456:                            ;   in Loop: Header=BB6_13186 Depth=3
	s_andn2_saveexec_b64 s[28:29], s[30:31]
	s_cbranch_execz .LBB6_16462
; %bb.16457:                            ;   in Loop: Header=BB6_13186 Depth=3
	v_cmp_ne_u64_e32 vcc, 0, v[1:2]
                                        ; implicit-def: $vgpr13
	s_and_saveexec_b64 s[62:63], vcc
	s_xor_b64 vcc, exec, s[62:63]
; %bb.16458:                            ;   in Loop: Header=BB6_13186 Depth=3
	v_or_b32_sdwa v13, v3, s44 dst_sel:DWORD dst_unused:UNUSED_PAD src0_sel:BYTE_3 src1_sel:DWORD
                                        ; implicit-def: $vgpr3
; %bb.16459:                            ;   in Loop: Header=BB6_13186 Depth=3
	s_andn2_saveexec_b64 s[30:31], vcc
; %bb.16460:                            ;   in Loop: Header=BB6_13186 Depth=3
	v_cmp_lt_i32_e32 vcc, -1, v3
	v_bfrev_b32_e32 v1, 0.5
	v_mov_b32_e32 v2, 0x7c
	v_cndmask_b32_e32 v13, v1, v2, vcc
; %bb.16461:                            ;   in Loop: Header=BB6_13186 Depth=3
	s_or_b64 exec, exec, s[30:31]
.LBB6_16462:                            ;   in Loop: Header=BB6_13186 Depth=3
	s_or_b64 exec, exec, s[28:29]
	v_lshrrev_b16_e32 v1, 8, v20
	v_cmp_ne_u16_e32 vcc, 0, v1
	v_mov_b32_e32 v3, 0
	v_mov_b32_e32 v5, 0
	s_and_saveexec_b64 s[28:29], vcc
	s_cbranch_execz .LBB6_16470
; %bb.16463:                            ;   in Loop: Header=BB6_13186 Depth=3
	v_cmp_ne_u16_e32 vcc, s97, v1
	v_bfrev_b32_e32 v5, 1
	s_and_saveexec_b64 s[30:31], vcc
	s_cbranch_execz .LBB6_16469
; %bb.16464:                            ;   in Loop: Header=BB6_13186 Depth=3
	v_and_b32_e32 v2, 0x7c, v1
	v_and_b32_e32 v21, 3, v1
	v_cmp_ne_u32_e32 vcc, s86, v2
                                        ; implicit-def: $vgpr5
	s_and_saveexec_b64 s[62:63], vcc
	s_xor_b64 s[34:35], exec, s[62:63]
	s_cbranch_execz .LBB6_16466
; %bb.16465:                            ;   in Loop: Header=BB6_13186 Depth=3
	v_ffbh_u32_e32 v16, v21
	v_min_u32_e32 v16, 32, v16
	v_mov_b32_e32 v2, v33
	v_subrev_u32_e32 v17, 29, v16
	v_bfe_u32 v5, v1, 2, 5
	v_lshlrev_b64 v[1:2], v17, v[1:2]
	v_sub_u32_e32 v2, 30, v16
	v_cmp_eq_u32_e32 vcc, 0, v5
	v_cndmask_b32_e32 v2, v5, v2, vcc
	v_lshlrev_b32_e32 v5, 16, v20
	v_and_b32_e32 v1, 3, v1
	v_and_b32_e32 v5, 0x80000000, v5
	v_cndmask_b32_e32 v1, v21, v1, vcc
	v_lshl_add_u32 v2, v2, 23, v5
	v_lshl_or_b32 v1, v1, 21, v2
	v_add_u32_e32 v5, 0x38000000, v1
                                        ; implicit-def: $vgpr21
                                        ; implicit-def: $vgpr20
.LBB6_16466:                            ;   in Loop: Header=BB6_13186 Depth=3
	s_andn2_saveexec_b64 s[34:35], s[34:35]
; %bb.16467:                            ;   in Loop: Header=BB6_13186 Depth=3
	v_cmp_lt_i16_e32 vcc, -1, v20
	v_mov_b32_e32 v1, 0xff800000
	v_mov_b32_e32 v2, 0x7f800000
	v_cndmask_b32_e32 v1, v1, v2, vcc
	v_cmp_eq_u32_e32 vcc, 0, v21
	v_mov_b32_e32 v2, 0x7f800001
	v_cndmask_b32_e32 v5, v2, v1, vcc
; %bb.16468:                            ;   in Loop: Header=BB6_13186 Depth=3
	s_or_b64 exec, exec, s[34:35]
.LBB6_16469:                            ;   in Loop: Header=BB6_13186 Depth=3
	s_or_b64 exec, exec, s[30:31]
.LBB6_16470:                            ;   in Loop: Header=BB6_13186 Depth=3
	s_or_b64 exec, exec, s[28:29]
	v_lshrrev_b16_e32 v1, 8, v14
	v_cmp_ne_u16_e32 vcc, 0, v1
	s_and_saveexec_b64 s[28:29], vcc
	s_cbranch_execz .LBB6_16478
; %bb.16471:                            ;   in Loop: Header=BB6_13186 Depth=3
	v_cmp_ne_u16_e32 vcc, s97, v1
	v_bfrev_b32_e32 v3, 1
	s_and_saveexec_b64 s[30:31], vcc
	s_cbranch_execz .LBB6_16477
; %bb.16472:                            ;   in Loop: Header=BB6_13186 Depth=3
	v_and_b32_e32 v2, 0x7c, v1
	v_and_b32_e32 v20, 3, v1
	v_cmp_ne_u32_e32 vcc, s86, v2
                                        ; implicit-def: $vgpr3
	s_and_saveexec_b64 s[62:63], vcc
	s_xor_b64 s[34:35], exec, s[62:63]
	s_cbranch_execz .LBB6_16474
; %bb.16473:                            ;   in Loop: Header=BB6_13186 Depth=3
	v_ffbh_u32_e32 v16, v20
	v_min_u32_e32 v16, 32, v16
	v_mov_b32_e32 v2, v33
	v_subrev_u32_e32 v17, 29, v16
	v_bfe_u32 v3, v1, 2, 5
	v_lshlrev_b64 v[1:2], v17, v[1:2]
	v_sub_u32_e32 v2, 30, v16
	v_cmp_eq_u32_e32 vcc, 0, v3
	v_cndmask_b32_e32 v2, v3, v2, vcc
	v_lshlrev_b32_e32 v3, 16, v14
	v_and_b32_e32 v1, 3, v1
	v_and_b32_e32 v3, 0x80000000, v3
	v_cndmask_b32_e32 v1, v20, v1, vcc
	v_lshl_add_u32 v2, v2, 23, v3
	v_lshl_or_b32 v1, v1, 21, v2
	v_add_u32_e32 v3, 0x38000000, v1
                                        ; implicit-def: $vgpr20
.LBB6_16474:                            ;   in Loop: Header=BB6_13186 Depth=3
	s_andn2_saveexec_b64 s[34:35], s[34:35]
; %bb.16475:                            ;   in Loop: Header=BB6_13186 Depth=3
	v_cmp_lt_i16_e32 vcc, -1, v14
	v_mov_b32_e32 v1, 0xff800000
	v_mov_b32_e32 v2, 0x7f800000
	v_cndmask_b32_e32 v1, v1, v2, vcc
	v_cmp_eq_u32_e32 vcc, 0, v20
	v_mov_b32_e32 v2, 0x7f800001
	v_cndmask_b32_e32 v3, v2, v1, vcc
; %bb.16476:                            ;   in Loop: Header=BB6_13186 Depth=3
	s_or_b64 exec, exec, s[34:35]
.LBB6_16477:                            ;   in Loop: Header=BB6_13186 Depth=3
	s_or_b64 exec, exec, s[30:31]
.LBB6_16478:                            ;   in Loop: Header=BB6_13186 Depth=3
	s_or_b64 exec, exec, s[28:29]
	v_add_f32_e32 v3, v5, v3
	v_and_b32_e32 v20, 0x7f800000, v3
	v_mov_b32_e32 v21, v33
	v_cmp_ne_u64_e32 vcc, s[76:77], v[20:21]
	v_and_b32_e32 v1, 0x7fffff, v3
	v_mov_b32_e32 v2, v33
                                        ; implicit-def: $vgpr55
	s_and_saveexec_b64 s[28:29], vcc
	s_xor_b64 s[30:31], exec, s[28:29]
	s_cbranch_execz .LBB6_16492
; %bb.16479:                            ;   in Loop: Header=BB6_13186 Depth=3
	v_and_b32_e32 v20, 0x7fffffff, v3
	v_mov_b32_e32 v21, v33
	v_cmp_gt_u64_e32 vcc, s[78:79], v[20:21]
	v_and_b32_sdwa v20, v3, s97 dst_sel:DWORD dst_unused:UNUSED_PAD src0_sel:BYTE_3 src1_sel:DWORD
                                        ; implicit-def: $vgpr55
	s_and_saveexec_b64 s[28:29], vcc
	s_xor_b64 s[34:35], exec, s[28:29]
	s_cbranch_execz .LBB6_16489
; %bb.16480:                            ;   in Loop: Header=BB6_13186 Depth=3
	v_mov_b32_e32 v55, 0
	v_cmp_ne_u32_e32 vcc, 0, v3
	s_and_saveexec_b64 s[36:37], vcc
	s_cbranch_execz .LBB6_16488
; %bb.16481:                            ;   in Loop: Header=BB6_13186 Depth=3
	v_bfe_u32 v5, v3, 23, 8
	v_cmp_gt_u32_e64 s[28:29], s47, v5
	v_sub_u32_e32 v3, 0x71, v5
	v_cmp_eq_u32_e32 vcc, 0, v5
	v_cndmask_b32_e64 v3, 0, v3, s[28:29]
	v_mov_b32_e32 v17, 0x70
	v_cndmask_b32_e32 v21, v3, v17, vcc
	v_add_u32_e32 v3, 21, v21
	v_or_b32_e32 v16, 0x800000, v1
	v_lshlrev_b64 v[22:23], v3, -1
	v_cndmask_b32_e32 v1, v16, v1, vcc
	v_add_u32_e32 v3, 20, v21
	v_bfi_b32 v22, v22, 0, v1
	v_lshlrev_b64 v[31:32], v3, 1
	v_lshrrev_b64 v[1:2], v21, v[1:2]
	v_bfi_b32 v23, v23, 0, 0
	v_cmp_eq_u64_e64 s[28:29], v[22:23], v[31:32]
	v_mov_b32_e32 v3, v2
	v_mov_b32_e32 v2, v1
	s_and_saveexec_b64 s[38:39], s[28:29]
; %bb.16482:                            ;   in Loop: Header=BB6_13186 Depth=3
	v_bfe_u32 v2, v1, 21, 1
	v_add_co_u32_e64 v2, s[28:29], v1, v2
	v_add_co_u32_e64 v2, s[28:29], -1, v2
; %bb.16483:                            ;   in Loop: Header=BB6_13186 Depth=3
	s_or_b64 exec, exec, s[38:39]
	v_add_u32_e32 v3, 0xffffff81, v5
	v_mov_b32_e32 v5, 0xffffff82
	v_cndmask_b32_e32 v3, v3, v5, vcc
	v_lshrrev_b32_e32 v5, 23, v1
	v_add3_u32 v21, v21, v3, v5
	v_add_u32_e32 v5, 14, v21
	v_and_b32_e32 v2, 0x1fffff, v2
	v_add_u32_e32 v1, v2, v1
	v_mov_b32_e32 v2, v33
	v_cmp_ne_u32_e32 vcc, 0, v5
                                        ; implicit-def: $vgpr3
	s_and_saveexec_b64 s[28:29], vcc
	s_xor_b64 s[28:29], exec, s[28:29]
; %bb.16484:                            ;   in Loop: Header=BB6_13186 Depth=3
	v_cmp_lt_u64_e32 vcc, s[88:89], v[1:2]
	v_add_u32_e32 v3, 15, v21
	v_cndmask_b32_e32 v3, v5, v3, vcc
	v_cndmask_b32_e64 v5, 0, 1, vcc
	v_lshrrev_b64 v[1:2], v5, v[1:2]
; %bb.16485:                            ;   in Loop: Header=BB6_13186 Depth=3
	s_andn2_saveexec_b64 s[28:29], s[28:29]
; %bb.16486:                            ;   in Loop: Header=BB6_13186 Depth=3
	v_bfe_u32 v3, v1, 23, 1
; %bb.16487:                            ;   in Loop: Header=BB6_13186 Depth=3
	s_or_b64 exec, exec, s[28:29]
	v_lshrrev_b64 v[1:2], 21, v[1:2]
	v_cmp_gt_i32_e32 vcc, 32, v3
	v_cndmask_b32_e32 v2, 0, v2, vcc
	v_cndmask_b32_e32 v1, 3, v1, vcc
	v_cmp_eq_u64_e64 s[28:29], 0, v[1:2]
	v_min_i32_e32 v2, 31, v3
	v_lshlrev_b32_e32 v2, 2, v2
	v_cmp_eq_u32_e32 vcc, 0, v3
	v_and_b32_e32 v2, 0xfc, v2
	v_and_or_b32 v1, v1, 3, v2
	s_and_b64 s[28:29], vcc, s[28:29]
	v_cndmask_b32_e64 v1, v1, 0, s[28:29]
	v_or_b32_e32 v55, v1, v20
.LBB6_16488:                            ;   in Loop: Header=BB6_13186 Depth=3
	s_or_b64 exec, exec, s[36:37]
                                        ; implicit-def: $vgpr20
.LBB6_16489:                            ;   in Loop: Header=BB6_13186 Depth=3
	s_andn2_saveexec_b64 s[28:29], s[34:35]
; %bb.16490:                            ;   in Loop: Header=BB6_13186 Depth=3
	v_or_b32_e32 v55, 0x7b, v20
; %bb.16491:                            ;   in Loop: Header=BB6_13186 Depth=3
	s_or_b64 exec, exec, s[28:29]
                                        ; implicit-def: $vgpr3
                                        ; implicit-def: $vgpr1_vgpr2
.LBB6_16492:                            ;   in Loop: Header=BB6_13186 Depth=3
	s_andn2_saveexec_b64 s[28:29], s[30:31]
	s_cbranch_execz .LBB6_16498
; %bb.16493:                            ;   in Loop: Header=BB6_13186 Depth=3
	v_cmp_ne_u64_e32 vcc, 0, v[1:2]
                                        ; implicit-def: $vgpr55
	s_and_saveexec_b64 s[62:63], vcc
	s_xor_b64 vcc, exec, s[62:63]
; %bb.16494:                            ;   in Loop: Header=BB6_13186 Depth=3
	v_or_b32_sdwa v55, v3, s44 dst_sel:DWORD dst_unused:UNUSED_PAD src0_sel:BYTE_3 src1_sel:DWORD
                                        ; implicit-def: $vgpr3
; %bb.16495:                            ;   in Loop: Header=BB6_13186 Depth=3
	s_andn2_saveexec_b64 s[30:31], vcc
; %bb.16496:                            ;   in Loop: Header=BB6_13186 Depth=3
	v_cmp_lt_i32_e32 vcc, -1, v3
	v_bfrev_b32_e32 v1, 0.5
	v_mov_b32_e32 v2, 0x7c
	v_cndmask_b32_e32 v55, v1, v2, vcc
; %bb.16497:                            ;   in Loop: Header=BB6_13186 Depth=3
	s_or_b64 exec, exec, s[30:31]
.LBB6_16498:                            ;   in Loop: Header=BB6_13186 Depth=3
	s_or_b64 exec, exec, s[28:29]
	v_and_b32_sdwa v5, v0, s96 dst_sel:DWORD dst_unused:UNUSED_PAD src0_sel:WORD_1 src1_sel:DWORD
	v_lshrrev_b32_e32 v1, 16, v0
	v_cmp_ne_u16_e32 vcc, 0, v5
	v_mov_b32_e32 v2, 0
	v_mov_b32_e32 v3, 0
	s_and_saveexec_b64 s[28:29], vcc
	s_cbranch_execz .LBB6_16506
; %bb.16499:                            ;   in Loop: Header=BB6_13186 Depth=3
	v_cmp_ne_u16_e32 vcc, s97, v5
	v_bfrev_b32_e32 v3, 1
	s_and_saveexec_b64 s[30:31], vcc
	s_cbranch_execz .LBB6_16505
; %bb.16500:                            ;   in Loop: Header=BB6_13186 Depth=3
	v_and_b32_e32 v3, 0x7c0000, v0
	v_bfe_u32 v5, v0, 16, 2
	v_cmp_ne_u32_e32 vcc, s45, v3
                                        ; implicit-def: $vgpr3
	s_and_saveexec_b64 s[62:63], vcc
	s_xor_b64 s[34:35], exec, s[62:63]
	s_cbranch_execz .LBB6_16502
; %bb.16501:                            ;   in Loop: Header=BB6_13186 Depth=3
	v_ffbh_u32_e32 v16, v5
	v_min_u32_e32 v16, 32, v16
	v_subrev_u32_e32 v17, 29, v16
	v_lshlrev_b64 v[20:21], v17, v[1:2]
	v_bfe_u32 v3, v0, 18, 5
	v_sub_u32_e32 v1, 30, v16
	v_and_b32_e32 v16, 3, v20
	v_cmp_eq_u32_e32 vcc, 0, v3
	v_cndmask_b32_e32 v1, v3, v1, vcc
	v_cndmask_b32_e32 v3, v5, v16, vcc
	v_lshlrev_b32_e32 v5, 8, v0
	v_and_b32_e32 v5, 0x80000000, v5
	v_lshl_add_u32 v1, v1, 23, v5
	v_lshl_or_b32 v1, v3, 21, v1
	v_add_u32_e32 v3, 0x38000000, v1
                                        ; implicit-def: $vgpr5
                                        ; implicit-def: $vgpr1
.LBB6_16502:                            ;   in Loop: Header=BB6_13186 Depth=3
	s_andn2_saveexec_b64 s[34:35], s[34:35]
; %bb.16503:                            ;   in Loop: Header=BB6_13186 Depth=3
	v_mov_b32_e32 v3, -1
	v_cmp_gt_i16_sdwa vcc, sext(v1), v3 src0_sel:BYTE_0 src1_sel:DWORD
	v_mov_b32_e32 v1, 0xff800000
	v_mov_b32_e32 v3, 0x7f800000
	v_cndmask_b32_e32 v1, v1, v3, vcc
	v_cmp_eq_u32_e32 vcc, 0, v5
	v_mov_b32_e32 v3, 0x7f800001
	v_cndmask_b32_e32 v3, v3, v1, vcc
; %bb.16504:                            ;   in Loop: Header=BB6_13186 Depth=3
	s_or_b64 exec, exec, s[34:35]
.LBB6_16505:                            ;   in Loop: Header=BB6_13186 Depth=3
	s_or_b64 exec, exec, s[30:31]
.LBB6_16506:                            ;   in Loop: Header=BB6_13186 Depth=3
	s_or_b64 exec, exec, s[28:29]
	v_lshrrev_b32_e32 v1, 16, v14
	v_cmp_ne_u16_sdwa s[62:63], v1, v33 src0_sel:BYTE_0 src1_sel:DWORD
	s_and_saveexec_b64 s[28:29], s[62:63]
	s_cbranch_execz .LBB6_16514
; %bb.16507:                            ;   in Loop: Header=BB6_13186 Depth=3
	v_cmp_ne_u16_sdwa s[62:63], v1, s97 src0_sel:BYTE_0 src1_sel:DWORD
	v_bfrev_b32_e32 v2, 1
	s_and_saveexec_b64 s[30:31], s[62:63]
	s_cbranch_execz .LBB6_16513
; %bb.16508:                            ;   in Loop: Header=BB6_13186 Depth=3
	v_and_b32_e32 v2, 0x7c0000, v14
	v_bfe_u32 v5, v14, 16, 2
	v_cmp_ne_u32_e32 vcc, s45, v2
                                        ; implicit-def: $vgpr2
	s_and_saveexec_b64 s[62:63], vcc
	s_xor_b64 s[34:35], exec, s[62:63]
	s_cbranch_execz .LBB6_16510
; %bb.16509:                            ;   in Loop: Header=BB6_13186 Depth=3
	v_ffbh_u32_e32 v2, v5
	v_min_u32_e32 v17, 32, v2
	v_subrev_u32_e32 v2, 29, v17
	v_lshlrev_b64 v[1:2], v2, v[1:2]
	v_bfe_u32 v16, v14, 18, 5
	v_and_b32_e32 v1, 3, v1
	v_cmp_eq_u32_e32 vcc, 0, v16
	v_sub_u32_e32 v2, 30, v17
	v_cndmask_b32_e32 v1, v5, v1, vcc
	v_lshlrev_b32_e32 v5, 8, v14
	v_cndmask_b32_e32 v2, v16, v2, vcc
	v_and_b32_e32 v5, 0x80000000, v5
	v_lshl_add_u32 v2, v2, 23, v5
	v_lshl_or_b32 v1, v1, 21, v2
	v_add_u32_e32 v2, 0x38000000, v1
                                        ; implicit-def: $vgpr5
                                        ; implicit-def: $vgpr1
.LBB6_16510:                            ;   in Loop: Header=BB6_13186 Depth=3
	s_andn2_saveexec_b64 s[34:35], s[34:35]
; %bb.16511:                            ;   in Loop: Header=BB6_13186 Depth=3
	v_mov_b32_e32 v2, -1
	v_cmp_gt_i16_sdwa vcc, sext(v1), v2 src0_sel:BYTE_0 src1_sel:DWORD
	v_mov_b32_e32 v1, 0xff800000
	v_mov_b32_e32 v2, 0x7f800000
	v_cndmask_b32_e32 v1, v1, v2, vcc
	v_cmp_eq_u32_e32 vcc, 0, v5
	v_mov_b32_e32 v2, 0x7f800001
	v_cndmask_b32_e32 v2, v2, v1, vcc
; %bb.16512:                            ;   in Loop: Header=BB6_13186 Depth=3
	s_or_b64 exec, exec, s[34:35]
.LBB6_16513:                            ;   in Loop: Header=BB6_13186 Depth=3
	s_or_b64 exec, exec, s[30:31]
.LBB6_16514:                            ;   in Loop: Header=BB6_13186 Depth=3
	s_or_b64 exec, exec, s[28:29]
	v_add_f32_e32 v3, v3, v2
	v_and_b32_e32 v20, 0x7f800000, v3
	v_mov_b32_e32 v21, v33
	v_cmp_ne_u64_e32 vcc, s[76:77], v[20:21]
	v_and_b32_e32 v1, 0x7fffff, v3
	v_mov_b32_e32 v2, v33
                                        ; implicit-def: $vgpr57
	s_and_saveexec_b64 s[28:29], vcc
	s_xor_b64 s[30:31], exec, s[28:29]
	s_cbranch_execz .LBB6_16528
; %bb.16515:                            ;   in Loop: Header=BB6_13186 Depth=3
	v_and_b32_e32 v20, 0x7fffffff, v3
	v_mov_b32_e32 v21, v33
	v_cmp_gt_u64_e32 vcc, s[78:79], v[20:21]
	v_and_b32_sdwa v20, v3, s97 dst_sel:DWORD dst_unused:UNUSED_PAD src0_sel:BYTE_3 src1_sel:DWORD
                                        ; implicit-def: $vgpr57
	s_and_saveexec_b64 s[28:29], vcc
	s_xor_b64 s[34:35], exec, s[28:29]
	s_cbranch_execz .LBB6_16525
; %bb.16516:                            ;   in Loop: Header=BB6_13186 Depth=3
	v_mov_b32_e32 v57, 0
	v_cmp_ne_u32_e32 vcc, 0, v3
	s_and_saveexec_b64 s[36:37], vcc
	s_cbranch_execz .LBB6_16524
; %bb.16517:                            ;   in Loop: Header=BB6_13186 Depth=3
	v_bfe_u32 v5, v3, 23, 8
	v_cmp_gt_u32_e64 s[28:29], s47, v5
	v_sub_u32_e32 v3, 0x71, v5
	v_cmp_eq_u32_e32 vcc, 0, v5
	v_cndmask_b32_e64 v3, 0, v3, s[28:29]
	v_mov_b32_e32 v17, 0x70
	v_cndmask_b32_e32 v21, v3, v17, vcc
	v_add_u32_e32 v3, 21, v21
	v_or_b32_e32 v16, 0x800000, v1
	v_lshlrev_b64 v[22:23], v3, -1
	v_cndmask_b32_e32 v1, v16, v1, vcc
	v_add_u32_e32 v3, 20, v21
	v_bfi_b32 v22, v22, 0, v1
	v_lshlrev_b64 v[31:32], v3, 1
	v_lshrrev_b64 v[1:2], v21, v[1:2]
	v_bfi_b32 v23, v23, 0, 0
	v_cmp_eq_u64_e64 s[28:29], v[22:23], v[31:32]
	v_mov_b32_e32 v3, v2
	v_mov_b32_e32 v2, v1
	s_and_saveexec_b64 s[38:39], s[28:29]
; %bb.16518:                            ;   in Loop: Header=BB6_13186 Depth=3
	v_bfe_u32 v2, v1, 21, 1
	v_add_co_u32_e64 v2, s[28:29], v1, v2
	v_add_co_u32_e64 v2, s[28:29], -1, v2
; %bb.16519:                            ;   in Loop: Header=BB6_13186 Depth=3
	s_or_b64 exec, exec, s[38:39]
	v_add_u32_e32 v3, 0xffffff81, v5
	v_mov_b32_e32 v5, 0xffffff82
	v_cndmask_b32_e32 v3, v3, v5, vcc
	v_lshrrev_b32_e32 v5, 23, v1
	v_add3_u32 v21, v21, v3, v5
	v_add_u32_e32 v5, 14, v21
	v_and_b32_e32 v2, 0x1fffff, v2
	v_add_u32_e32 v1, v2, v1
	v_mov_b32_e32 v2, v33
	v_cmp_ne_u32_e32 vcc, 0, v5
                                        ; implicit-def: $vgpr3
	s_and_saveexec_b64 s[28:29], vcc
	s_xor_b64 s[28:29], exec, s[28:29]
; %bb.16520:                            ;   in Loop: Header=BB6_13186 Depth=3
	v_cmp_lt_u64_e32 vcc, s[88:89], v[1:2]
	v_add_u32_e32 v3, 15, v21
	v_cndmask_b32_e32 v3, v5, v3, vcc
	v_cndmask_b32_e64 v5, 0, 1, vcc
	v_lshrrev_b64 v[1:2], v5, v[1:2]
; %bb.16521:                            ;   in Loop: Header=BB6_13186 Depth=3
	s_andn2_saveexec_b64 s[28:29], s[28:29]
; %bb.16522:                            ;   in Loop: Header=BB6_13186 Depth=3
	v_bfe_u32 v3, v1, 23, 1
; %bb.16523:                            ;   in Loop: Header=BB6_13186 Depth=3
	s_or_b64 exec, exec, s[28:29]
	v_lshrrev_b64 v[1:2], 21, v[1:2]
	v_cmp_gt_i32_e32 vcc, 32, v3
	v_cndmask_b32_e32 v2, 0, v2, vcc
	v_cndmask_b32_e32 v1, 3, v1, vcc
	v_cmp_eq_u64_e64 s[28:29], 0, v[1:2]
	v_min_i32_e32 v2, 31, v3
	v_lshlrev_b32_e32 v2, 2, v2
	v_cmp_eq_u32_e32 vcc, 0, v3
	v_and_b32_e32 v2, 0xfc, v2
	v_and_or_b32 v1, v1, 3, v2
	s_and_b64 s[28:29], vcc, s[28:29]
	v_cndmask_b32_e64 v1, v1, 0, s[28:29]
	v_or_b32_e32 v57, v1, v20
.LBB6_16524:                            ;   in Loop: Header=BB6_13186 Depth=3
	s_or_b64 exec, exec, s[36:37]
                                        ; implicit-def: $vgpr20
.LBB6_16525:                            ;   in Loop: Header=BB6_13186 Depth=3
	s_andn2_saveexec_b64 s[28:29], s[34:35]
; %bb.16526:                            ;   in Loop: Header=BB6_13186 Depth=3
	v_or_b32_e32 v57, 0x7b, v20
; %bb.16527:                            ;   in Loop: Header=BB6_13186 Depth=3
	s_or_b64 exec, exec, s[28:29]
                                        ; implicit-def: $vgpr3
                                        ; implicit-def: $vgpr1_vgpr2
.LBB6_16528:                            ;   in Loop: Header=BB6_13186 Depth=3
	s_andn2_saveexec_b64 s[28:29], s[30:31]
	s_cbranch_execz .LBB6_16534
; %bb.16529:                            ;   in Loop: Header=BB6_13186 Depth=3
	v_cmp_ne_u64_e32 vcc, 0, v[1:2]
                                        ; implicit-def: $vgpr57
	s_and_saveexec_b64 s[62:63], vcc
	s_xor_b64 vcc, exec, s[62:63]
; %bb.16530:                            ;   in Loop: Header=BB6_13186 Depth=3
	v_or_b32_sdwa v57, v3, s44 dst_sel:DWORD dst_unused:UNUSED_PAD src0_sel:BYTE_3 src1_sel:DWORD
                                        ; implicit-def: $vgpr3
; %bb.16531:                            ;   in Loop: Header=BB6_13186 Depth=3
	s_andn2_saveexec_b64 s[30:31], vcc
; %bb.16532:                            ;   in Loop: Header=BB6_13186 Depth=3
	v_cmp_lt_i32_e32 vcc, -1, v3
	v_bfrev_b32_e32 v1, 0.5
	v_mov_b32_e32 v2, 0x7c
	v_cndmask_b32_e32 v57, v1, v2, vcc
; %bb.16533:                            ;   in Loop: Header=BB6_13186 Depth=3
	s_or_b64 exec, exec, s[30:31]
.LBB6_16534:                            ;   in Loop: Header=BB6_13186 Depth=3
	s_or_b64 exec, exec, s[28:29]
	v_cmp_lt_u32_e32 vcc, s57, v0
	v_mov_b32_e32 v2, 0
	v_mov_b32_e32 v3, 0
	s_and_saveexec_b64 s[28:29], vcc
	s_cbranch_execz .LBB6_16542
; %bb.16535:                            ;   in Loop: Header=BB6_13186 Depth=3
	v_lshrrev_b32_e32 v1, 24, v0
	v_cmp_ne_u32_e32 vcc, s97, v1
	v_bfrev_b32_e32 v3, 1
	s_and_saveexec_b64 s[30:31], vcc
	s_cbranch_execz .LBB6_16541
; %bb.16536:                            ;   in Loop: Header=BB6_13186 Depth=3
	v_and_b32_e32 v3, 0x7c000000, v0
	v_bfe_u32 v5, v0, 24, 2
	v_cmp_ne_u32_e32 vcc, s68, v3
                                        ; implicit-def: $vgpr3
	s_and_saveexec_b64 s[62:63], vcc
	s_xor_b64 s[34:35], exec, s[62:63]
	s_cbranch_execz .LBB6_16538
; %bb.16537:                            ;   in Loop: Header=BB6_13186 Depth=3
	v_ffbh_u32_e32 v16, v5
	v_min_u32_e32 v16, 32, v16
	v_subrev_u32_e32 v17, 29, v16
	v_bfe_u32 v3, v0, 26, 5
	v_lshlrev_b64 v[20:21], v17, v[1:2]
	v_sub_u32_e32 v1, 30, v16
	v_cmp_eq_u32_e32 vcc, 0, v3
	v_and_b32_e32 v16, 3, v20
	v_cndmask_b32_e32 v1, v3, v1, vcc
	v_and_b32_e32 v0, 0x80000000, v0
	v_cndmask_b32_e32 v3, v5, v16, vcc
	v_lshl_add_u32 v0, v1, 23, v0
	v_lshl_or_b32 v0, v3, 21, v0
	v_add_u32_e32 v3, 0x38000000, v0
                                        ; implicit-def: $vgpr5
                                        ; implicit-def: $vgpr0_vgpr1
.LBB6_16538:                            ;   in Loop: Header=BB6_13186 Depth=3
	s_andn2_saveexec_b64 s[34:35], s[34:35]
; %bb.16539:                            ;   in Loop: Header=BB6_13186 Depth=3
	v_cmp_lt_i32_e32 vcc, -1, v0
	v_mov_b32_e32 v0, 0xff800000
	v_mov_b32_e32 v1, 0x7f800000
	v_cndmask_b32_e32 v0, v0, v1, vcc
	v_cmp_eq_u32_e32 vcc, 0, v5
	v_mov_b32_e32 v1, 0x7f800001
	v_cndmask_b32_e32 v3, v1, v0, vcc
; %bb.16540:                            ;   in Loop: Header=BB6_13186 Depth=3
	s_or_b64 exec, exec, s[34:35]
.LBB6_16541:                            ;   in Loop: Header=BB6_13186 Depth=3
	s_or_b64 exec, exec, s[30:31]
.LBB6_16542:                            ;   in Loop: Header=BB6_13186 Depth=3
	s_or_b64 exec, exec, s[28:29]
	v_cmp_lt_u32_e32 vcc, s57, v14
	s_and_saveexec_b64 s[28:29], vcc
	s_cbranch_execz .LBB6_16550
; %bb.16543:                            ;   in Loop: Header=BB6_13186 Depth=3
	v_lshrrev_b32_e32 v0, 24, v14
	v_cmp_ne_u32_e32 vcc, s97, v0
	v_bfrev_b32_e32 v2, 1
	s_and_saveexec_b64 s[30:31], vcc
	s_cbranch_execz .LBB6_16549
; %bb.16544:                            ;   in Loop: Header=BB6_13186 Depth=3
	v_and_b32_e32 v2, 0x7c000000, v14
	v_bfe_u32 v1, v14, 24, 2
	v_cmp_ne_u32_e32 vcc, s68, v2
                                        ; implicit-def: $vgpr2
	s_and_saveexec_b64 s[62:63], vcc
	s_xor_b64 s[34:35], exec, s[62:63]
	s_cbranch_execz .LBB6_16546
; %bb.16545:                            ;   in Loop: Header=BB6_13186 Depth=3
	v_ffbh_u32_e32 v5, v1
	v_min_u32_e32 v5, 32, v5
	v_subrev_u32_e32 v16, 29, v5
	v_bfe_u32 v2, v14, 26, 5
	v_lshlrev_b64 v[20:21], v16, v[0:1]
	v_sub_u32_e32 v0, 30, v5
	v_cmp_eq_u32_e32 vcc, 0, v2
	v_and_b32_e32 v5, 3, v20
	v_cndmask_b32_e32 v0, v2, v0, vcc
	v_and_b32_e32 v2, 0x80000000, v14
	v_cndmask_b32_e32 v1, v1, v5, vcc
	v_lshl_add_u32 v0, v0, 23, v2
	v_lshl_or_b32 v0, v1, 21, v0
	v_add_u32_e32 v2, 0x38000000, v0
                                        ; implicit-def: $vgpr1
.LBB6_16546:                            ;   in Loop: Header=BB6_13186 Depth=3
	s_andn2_saveexec_b64 s[34:35], s[34:35]
; %bb.16547:                            ;   in Loop: Header=BB6_13186 Depth=3
	v_cmp_lt_i32_e32 vcc, -1, v14
	v_mov_b32_e32 v0, 0xff800000
	v_mov_b32_e32 v2, 0x7f800000
	v_cndmask_b32_e32 v0, v0, v2, vcc
	v_cmp_eq_u32_e32 vcc, 0, v1
	v_mov_b32_e32 v1, 0x7f800001
	v_cndmask_b32_e32 v2, v1, v0, vcc
; %bb.16548:                            ;   in Loop: Header=BB6_13186 Depth=3
	s_or_b64 exec, exec, s[34:35]
.LBB6_16549:                            ;   in Loop: Header=BB6_13186 Depth=3
	s_or_b64 exec, exec, s[30:31]
.LBB6_16550:                            ;   in Loop: Header=BB6_13186 Depth=3
	s_or_b64 exec, exec, s[28:29]
	v_add_f32_e32 v2, v3, v2
	v_and_b32_e32 v20, 0x7f800000, v2
	v_mov_b32_e32 v21, v33
	v_cmp_ne_u64_e32 vcc, s[76:77], v[20:21]
	v_and_b32_e32 v0, 0x7fffff, v2
	v_mov_b32_e32 v1, v33
                                        ; implicit-def: $vgpr58
	s_and_saveexec_b64 s[28:29], vcc
	s_xor_b64 s[30:31], exec, s[28:29]
	s_cbranch_execz .LBB6_16564
; %bb.16551:                            ;   in Loop: Header=BB6_13186 Depth=3
	v_and_b32_e32 v20, 0x7fffffff, v2
	v_mov_b32_e32 v21, v33
	v_cmp_gt_u64_e32 vcc, s[78:79], v[20:21]
	v_and_b32_sdwa v3, v2, s97 dst_sel:DWORD dst_unused:UNUSED_PAD src0_sel:BYTE_3 src1_sel:DWORD
                                        ; implicit-def: $vgpr58
	s_and_saveexec_b64 s[28:29], vcc
	s_xor_b64 s[34:35], exec, s[28:29]
	s_cbranch_execz .LBB6_16561
; %bb.16552:                            ;   in Loop: Header=BB6_13186 Depth=3
	v_mov_b32_e32 v58, 0
	v_cmp_ne_u32_e32 vcc, 0, v2
	s_and_saveexec_b64 s[36:37], vcc
	s_cbranch_execz .LBB6_16560
; %bb.16553:                            ;   in Loop: Header=BB6_13186 Depth=3
	v_bfe_u32 v5, v2, 23, 8
	v_cmp_gt_u32_e64 s[28:29], s47, v5
	v_sub_u32_e32 v2, 0x71, v5
	v_cmp_eq_u32_e32 vcc, 0, v5
	v_cndmask_b32_e64 v2, 0, v2, s[28:29]
	v_mov_b32_e32 v17, 0x70
	v_cndmask_b32_e32 v20, v2, v17, vcc
	v_add_u32_e32 v2, 21, v20
	v_or_b32_e32 v16, 0x800000, v0
	v_lshlrev_b64 v[21:22], v2, -1
	v_cndmask_b32_e32 v0, v16, v0, vcc
	v_add_u32_e32 v2, 20, v20
	v_bfi_b32 v21, v21, 0, v0
	v_lshlrev_b64 v[31:32], v2, 1
	v_lshrrev_b64 v[0:1], v20, v[0:1]
	v_bfi_b32 v22, v22, 0, 0
	v_cmp_eq_u64_e64 s[28:29], v[21:22], v[31:32]
	v_mov_b32_e32 v2, v1
	v_mov_b32_e32 v1, v0
	s_and_saveexec_b64 s[38:39], s[28:29]
; %bb.16554:                            ;   in Loop: Header=BB6_13186 Depth=3
	v_bfe_u32 v1, v0, 21, 1
	v_add_co_u32_e64 v1, s[28:29], v0, v1
	v_add_co_u32_e64 v1, s[28:29], -1, v1
; %bb.16555:                            ;   in Loop: Header=BB6_13186 Depth=3
	s_or_b64 exec, exec, s[38:39]
	v_add_u32_e32 v2, 0xffffff81, v5
	v_mov_b32_e32 v5, 0xffffff82
	v_cndmask_b32_e32 v2, v2, v5, vcc
	v_lshrrev_b32_e32 v5, 23, v0
	v_add3_u32 v20, v20, v2, v5
	v_add_u32_e32 v5, 14, v20
	v_and_b32_e32 v1, 0x1fffff, v1
	v_add_u32_e32 v0, v1, v0
	v_mov_b32_e32 v1, v33
	v_cmp_ne_u32_e32 vcc, 0, v5
                                        ; implicit-def: $vgpr2
	s_and_saveexec_b64 s[28:29], vcc
	s_xor_b64 s[28:29], exec, s[28:29]
; %bb.16556:                            ;   in Loop: Header=BB6_13186 Depth=3
	v_cmp_lt_u64_e32 vcc, s[88:89], v[0:1]
	v_add_u32_e32 v2, 15, v20
	v_cndmask_b32_e32 v2, v5, v2, vcc
	v_cndmask_b32_e64 v5, 0, 1, vcc
	v_lshrrev_b64 v[0:1], v5, v[0:1]
; %bb.16557:                            ;   in Loop: Header=BB6_13186 Depth=3
	s_andn2_saveexec_b64 s[28:29], s[28:29]
; %bb.16558:                            ;   in Loop: Header=BB6_13186 Depth=3
	v_bfe_u32 v2, v0, 23, 1
; %bb.16559:                            ;   in Loop: Header=BB6_13186 Depth=3
	s_or_b64 exec, exec, s[28:29]
	v_lshrrev_b64 v[0:1], 21, v[0:1]
	v_cmp_gt_i32_e32 vcc, 32, v2
	v_cndmask_b32_e32 v1, 0, v1, vcc
	v_cndmask_b32_e32 v0, 3, v0, vcc
	v_cmp_eq_u64_e64 s[28:29], 0, v[0:1]
	v_min_i32_e32 v1, 31, v2
	v_lshlrev_b32_e32 v1, 2, v1
	v_cmp_eq_u32_e32 vcc, 0, v2
	v_and_b32_e32 v1, 0xfc, v1
	v_and_or_b32 v0, v0, 3, v1
	s_and_b64 s[28:29], vcc, s[28:29]
	v_cndmask_b32_e64 v0, v0, 0, s[28:29]
	v_or_b32_e32 v58, v0, v3
.LBB6_16560:                            ;   in Loop: Header=BB6_13186 Depth=3
	s_or_b64 exec, exec, s[36:37]
                                        ; implicit-def: $vgpr3
.LBB6_16561:                            ;   in Loop: Header=BB6_13186 Depth=3
	s_andn2_saveexec_b64 s[28:29], s[34:35]
; %bb.16562:                            ;   in Loop: Header=BB6_13186 Depth=3
	v_or_b32_e32 v58, 0x7b, v3
; %bb.16563:                            ;   in Loop: Header=BB6_13186 Depth=3
	s_or_b64 exec, exec, s[28:29]
                                        ; implicit-def: $vgpr2
                                        ; implicit-def: $vgpr0_vgpr1
.LBB6_16564:                            ;   in Loop: Header=BB6_13186 Depth=3
	s_andn2_saveexec_b64 s[28:29], s[30:31]
	s_cbranch_execz .LBB6_16570
; %bb.16565:                            ;   in Loop: Header=BB6_13186 Depth=3
	v_cmp_ne_u64_e32 vcc, 0, v[0:1]
                                        ; implicit-def: $vgpr58
	s_and_saveexec_b64 s[62:63], vcc
	s_xor_b64 vcc, exec, s[62:63]
; %bb.16566:                            ;   in Loop: Header=BB6_13186 Depth=3
	v_or_b32_sdwa v58, v2, s44 dst_sel:DWORD dst_unused:UNUSED_PAD src0_sel:BYTE_3 src1_sel:DWORD
                                        ; implicit-def: $vgpr2
; %bb.16567:                            ;   in Loop: Header=BB6_13186 Depth=3
	s_andn2_saveexec_b64 s[30:31], vcc
; %bb.16568:                            ;   in Loop: Header=BB6_13186 Depth=3
	v_cmp_lt_i32_e32 vcc, -1, v2
	v_bfrev_b32_e32 v0, 0.5
	v_mov_b32_e32 v1, 0x7c
	v_cndmask_b32_e32 v58, v0, v1, vcc
; %bb.16569:                            ;   in Loop: Header=BB6_13186 Depth=3
	s_or_b64 exec, exec, s[30:31]
.LBB6_16570:                            ;   in Loop: Header=BB6_13186 Depth=3
	s_or_b64 exec, exec, s[28:29]
	buffer_load_dword v0, off, s[0:3], s33 offset:268 ; 4-byte Folded Reload
	buffer_load_dword v1, off, s[0:3], s33 offset:236 ; 4-byte Folded Reload
	;; [unrolled: 1-line block ×3, first 2 shown]
	v_cmp_ne_u32_e32 vcc, 0, v50
	v_mov_b32_e32 v3, 0
	s_waitcnt vmcnt(2)
	v_lshlrev_b32_e32 v0, 24, v0
	s_waitcnt vmcnt(1)
	v_lshlrev_b32_e32 v1, 16, v1
	s_waitcnt vmcnt(0)
	v_lshl_or_b32 v20, v2, 8, v50
	v_or3_b32 v0, v1, v0, v20
	v_mov_b32_e32 v1, v33
	v_mov_b32_e32 v2, 0
	s_and_saveexec_b64 s[30:31], vcc
	s_cbranch_execz .LBB6_16578
; %bb.16571:                            ;   in Loop: Header=BB6_13186 Depth=3
	v_cmp_ne_u32_e32 vcc, s97, v50
	v_bfrev_b32_e32 v3, 1
	s_and_saveexec_b64 s[34:35], vcc
	s_cbranch_execz .LBB6_16577
; %bb.16572:                            ;   in Loop: Header=BB6_13186 Depth=3
	v_and_b32_e32 v3, 0x7c, v50
	v_and_b32_e32 v5, 3, v50
	v_cmp_ne_u32_e32 vcc, s86, v3
                                        ; implicit-def: $vgpr3
	s_and_saveexec_b64 s[28:29], vcc
	s_xor_b64 s[28:29], exec, s[28:29]
	s_cbranch_execz .LBB6_16574
; %bb.16573:                            ;   in Loop: Header=BB6_13186 Depth=3
	v_ffbh_u32_e32 v16, v5
	v_min_u32_e32 v16, 32, v16
	v_subrev_u32_e32 v17, 29, v16
	v_lshlrev_b64 v[21:22], v17, v[0:1]
	v_bfe_u32 v3, v50, 2, 5
	v_sub_u32_e32 v1, 30, v16
	v_and_b32_e32 v16, 3, v21
	v_cmp_eq_u32_e32 vcc, 0, v3
	v_cndmask_b32_e32 v1, v3, v1, vcc
	v_cndmask_b32_e32 v3, v5, v16, vcc
	v_lshlrev_b32_e32 v5, 24, v50
	v_and_b32_e32 v5, 0x80000000, v5
	v_lshl_add_u32 v1, v1, 23, v5
	v_lshl_or_b32 v1, v3, 21, v1
	v_add_u32_e32 v3, 0x38000000, v1
                                        ; implicit-def: $vgpr5
                                        ; implicit-def: $vgpr50
.LBB6_16574:                            ;   in Loop: Header=BB6_13186 Depth=3
	s_andn2_saveexec_b64 s[36:37], s[28:29]
; %bb.16575:                            ;   in Loop: Header=BB6_13186 Depth=3
	v_and_b32_e32 v1, 0x80, v50
	v_cmp_eq_u32_e64 s[28:29], 0, v1
	v_mov_b32_e32 v1, 0xff800000
	v_mov_b32_e32 v3, 0x7f800000
	v_cmp_eq_u32_e32 vcc, 0, v5
	v_cndmask_b32_e64 v1, v1, v3, s[28:29]
	v_mov_b32_e32 v3, 0x7f800001
	v_cndmask_b32_e32 v3, v3, v1, vcc
; %bb.16576:                            ;   in Loop: Header=BB6_13186 Depth=3
	s_or_b64 exec, exec, s[36:37]
.LBB6_16577:                            ;   in Loop: Header=BB6_13186 Depth=3
	s_or_b64 exec, exec, s[34:35]
.LBB6_16578:                            ;   in Loop: Header=BB6_13186 Depth=3
	s_or_b64 exec, exec, s[30:31]
	v_cmp_ne_u16_sdwa s[62:63], v15, v33 src0_sel:BYTE_0 src1_sel:DWORD
	s_and_saveexec_b64 s[28:29], s[62:63]
	s_cbranch_execz .LBB6_16586
; %bb.16579:                            ;   in Loop: Header=BB6_13186 Depth=3
	v_cmp_ne_u16_sdwa s[62:63], v15, s97 src0_sel:BYTE_0 src1_sel:DWORD
	v_bfrev_b32_e32 v2, 1
	s_and_saveexec_b64 s[30:31], s[62:63]
	s_cbranch_execz .LBB6_16585
; %bb.16580:                            ;   in Loop: Header=BB6_13186 Depth=3
	v_and_b32_e32 v2, 0x7c, v15
	v_and_b32_e32 v1, 3, v15
	v_cmp_ne_u32_e32 vcc, s86, v2
                                        ; implicit-def: $vgpr2
	s_and_saveexec_b64 s[62:63], vcc
	s_xor_b64 s[34:35], exec, s[62:63]
	s_cbranch_execz .LBB6_16582
; %bb.16581:                            ;   in Loop: Header=BB6_13186 Depth=3
	v_ffbh_u32_e32 v5, v1
	v_min_u32_e32 v5, 32, v5
	v_mov_b32_e32 v21, v15
	v_mov_b32_e32 v22, v33
	v_bfe_u32 v2, v15, 2, 5
	v_subrev_u32_e32 v16, 29, v5
	v_lshlrev_b64 v[21:22], v16, v[21:22]
	v_sub_u32_e32 v5, 30, v5
	v_cmp_eq_u32_e32 vcc, 0, v2
	v_cndmask_b32_e32 v2, v2, v5, vcc
	v_lshlrev_b32_e32 v5, 24, v15
	v_and_b32_e32 v16, 3, v21
	v_and_b32_e32 v5, 0x80000000, v5
	v_cndmask_b32_e32 v1, v1, v16, vcc
	v_lshl_add_u32 v2, v2, 23, v5
	v_lshl_or_b32 v1, v1, 21, v2
	v_add_u32_e32 v2, 0x38000000, v1
                                        ; implicit-def: $vgpr1
.LBB6_16582:                            ;   in Loop: Header=BB6_13186 Depth=3
	s_andn2_saveexec_b64 s[34:35], s[34:35]
; %bb.16583:                            ;   in Loop: Header=BB6_13186 Depth=3
	v_mov_b32_e32 v2, -1
	v_cmp_gt_i16_sdwa vcc, sext(v15), v2 src0_sel:BYTE_0 src1_sel:DWORD
	v_mov_b32_e32 v2, 0xff800000
	v_mov_b32_e32 v5, 0x7f800000
	v_cndmask_b32_e32 v2, v2, v5, vcc
	v_cmp_eq_u32_e32 vcc, 0, v1
	v_mov_b32_e32 v1, 0x7f800001
	v_cndmask_b32_e32 v2, v1, v2, vcc
; %bb.16584:                            ;   in Loop: Header=BB6_13186 Depth=3
	s_or_b64 exec, exec, s[34:35]
.LBB6_16585:                            ;   in Loop: Header=BB6_13186 Depth=3
	s_or_b64 exec, exec, s[30:31]
.LBB6_16586:                            ;   in Loop: Header=BB6_13186 Depth=3
	s_or_b64 exec, exec, s[28:29]
	v_add_f32_e32 v3, v3, v2
	v_and_b32_e32 v21, 0x7f800000, v3
	v_mov_b32_e32 v22, v33
	v_cmp_ne_u64_e32 vcc, s[76:77], v[21:22]
	v_and_b32_e32 v1, 0x7fffff, v3
	v_mov_b32_e32 v2, v33
                                        ; implicit-def: $vgpr50
	s_and_saveexec_b64 s[28:29], vcc
	s_xor_b64 s[30:31], exec, s[28:29]
	s_cbranch_execz .LBB6_16600
; %bb.16587:                            ;   in Loop: Header=BB6_13186 Depth=3
	v_and_b32_e32 v21, 0x7fffffff, v3
	v_mov_b32_e32 v22, v33
	v_cmp_gt_u64_e32 vcc, s[78:79], v[21:22]
	v_and_b32_sdwa v21, v3, s97 dst_sel:DWORD dst_unused:UNUSED_PAD src0_sel:BYTE_3 src1_sel:DWORD
                                        ; implicit-def: $vgpr50
	s_and_saveexec_b64 s[28:29], vcc
	s_xor_b64 s[34:35], exec, s[28:29]
	s_cbranch_execz .LBB6_16597
; %bb.16588:                            ;   in Loop: Header=BB6_13186 Depth=3
	v_mov_b32_e32 v50, 0
	v_cmp_ne_u32_e32 vcc, 0, v3
	s_and_saveexec_b64 s[36:37], vcc
	s_cbranch_execz .LBB6_16596
; %bb.16589:                            ;   in Loop: Header=BB6_13186 Depth=3
	v_bfe_u32 v5, v3, 23, 8
	v_cmp_gt_u32_e64 s[28:29], s47, v5
	v_sub_u32_e32 v3, 0x71, v5
	v_cmp_eq_u32_e32 vcc, 0, v5
	v_cndmask_b32_e64 v3, 0, v3, s[28:29]
	v_mov_b32_e32 v17, 0x70
	v_cndmask_b32_e32 v22, v3, v17, vcc
	v_add_u32_e32 v3, 21, v22
	v_or_b32_e32 v16, 0x800000, v1
	v_lshlrev_b64 v[31:32], v3, -1
	v_cndmask_b32_e32 v1, v16, v1, vcc
	v_add_u32_e32 v3, 20, v22
	v_bfi_b32 v31, v31, 0, v1
	v_lshlrev_b64 v[38:39], v3, 1
	v_lshrrev_b64 v[1:2], v22, v[1:2]
	v_bfi_b32 v32, v32, 0, 0
	v_cmp_eq_u64_e64 s[28:29], v[31:32], v[38:39]
	v_mov_b32_e32 v3, v2
	v_mov_b32_e32 v2, v1
	s_and_saveexec_b64 s[38:39], s[28:29]
; %bb.16590:                            ;   in Loop: Header=BB6_13186 Depth=3
	v_bfe_u32 v2, v1, 21, 1
	v_add_co_u32_e64 v2, s[28:29], v1, v2
	v_add_co_u32_e64 v2, s[28:29], -1, v2
; %bb.16591:                            ;   in Loop: Header=BB6_13186 Depth=3
	s_or_b64 exec, exec, s[38:39]
	v_add_u32_e32 v3, 0xffffff81, v5
	v_mov_b32_e32 v5, 0xffffff82
	v_cndmask_b32_e32 v3, v3, v5, vcc
	v_lshrrev_b32_e32 v5, 23, v1
	v_add3_u32 v22, v22, v3, v5
	v_add_u32_e32 v5, 14, v22
	v_and_b32_e32 v2, 0x1fffff, v2
	v_add_u32_e32 v1, v2, v1
	v_mov_b32_e32 v2, v33
	v_cmp_ne_u32_e32 vcc, 0, v5
                                        ; implicit-def: $vgpr3
	s_and_saveexec_b64 s[28:29], vcc
	s_xor_b64 s[28:29], exec, s[28:29]
; %bb.16592:                            ;   in Loop: Header=BB6_13186 Depth=3
	v_cmp_lt_u64_e32 vcc, s[88:89], v[1:2]
	v_add_u32_e32 v3, 15, v22
	v_cndmask_b32_e32 v3, v5, v3, vcc
	v_cndmask_b32_e64 v5, 0, 1, vcc
	v_lshrrev_b64 v[1:2], v5, v[1:2]
; %bb.16593:                            ;   in Loop: Header=BB6_13186 Depth=3
	s_andn2_saveexec_b64 s[28:29], s[28:29]
; %bb.16594:                            ;   in Loop: Header=BB6_13186 Depth=3
	v_bfe_u32 v3, v1, 23, 1
; %bb.16595:                            ;   in Loop: Header=BB6_13186 Depth=3
	s_or_b64 exec, exec, s[28:29]
	v_lshrrev_b64 v[1:2], 21, v[1:2]
	v_cmp_gt_i32_e32 vcc, 32, v3
	v_cndmask_b32_e32 v2, 0, v2, vcc
	v_cndmask_b32_e32 v1, 3, v1, vcc
	v_cmp_eq_u64_e64 s[28:29], 0, v[1:2]
	v_min_i32_e32 v2, 31, v3
	v_lshlrev_b32_e32 v2, 2, v2
	v_cmp_eq_u32_e32 vcc, 0, v3
	v_and_b32_e32 v2, 0xfc, v2
	v_and_or_b32 v1, v1, 3, v2
	s_and_b64 s[28:29], vcc, s[28:29]
	v_cndmask_b32_e64 v1, v1, 0, s[28:29]
	v_or_b32_e32 v50, v1, v21
.LBB6_16596:                            ;   in Loop: Header=BB6_13186 Depth=3
	s_or_b64 exec, exec, s[36:37]
                                        ; implicit-def: $vgpr21
.LBB6_16597:                            ;   in Loop: Header=BB6_13186 Depth=3
	s_andn2_saveexec_b64 s[28:29], s[34:35]
; %bb.16598:                            ;   in Loop: Header=BB6_13186 Depth=3
	v_or_b32_e32 v50, 0x7b, v21
; %bb.16599:                            ;   in Loop: Header=BB6_13186 Depth=3
	s_or_b64 exec, exec, s[28:29]
                                        ; implicit-def: $vgpr3
                                        ; implicit-def: $vgpr1_vgpr2
.LBB6_16600:                            ;   in Loop: Header=BB6_13186 Depth=3
	s_andn2_saveexec_b64 s[28:29], s[30:31]
	s_cbranch_execz .LBB6_16606
; %bb.16601:                            ;   in Loop: Header=BB6_13186 Depth=3
	v_cmp_ne_u64_e32 vcc, 0, v[1:2]
                                        ; implicit-def: $vgpr50
	s_and_saveexec_b64 s[62:63], vcc
	s_xor_b64 vcc, exec, s[62:63]
; %bb.16602:                            ;   in Loop: Header=BB6_13186 Depth=3
	v_or_b32_sdwa v50, v3, s44 dst_sel:DWORD dst_unused:UNUSED_PAD src0_sel:BYTE_3 src1_sel:DWORD
                                        ; implicit-def: $vgpr3
; %bb.16603:                            ;   in Loop: Header=BB6_13186 Depth=3
	s_andn2_saveexec_b64 s[30:31], vcc
; %bb.16604:                            ;   in Loop: Header=BB6_13186 Depth=3
	v_cmp_lt_i32_e32 vcc, -1, v3
	v_bfrev_b32_e32 v1, 0.5
	v_mov_b32_e32 v2, 0x7c
	v_cndmask_b32_e32 v50, v1, v2, vcc
; %bb.16605:                            ;   in Loop: Header=BB6_13186 Depth=3
	s_or_b64 exec, exec, s[30:31]
.LBB6_16606:                            ;   in Loop: Header=BB6_13186 Depth=3
	s_or_b64 exec, exec, s[28:29]
	v_lshrrev_b16_e32 v1, 8, v20
	v_cmp_ne_u16_e32 vcc, 0, v1
	v_mov_b32_e32 v3, 0
	v_mov_b32_e32 v5, 0
	s_and_saveexec_b64 s[28:29], vcc
	s_cbranch_execz .LBB6_16614
; %bb.16607:                            ;   in Loop: Header=BB6_13186 Depth=3
	v_cmp_ne_u16_e32 vcc, s97, v1
	v_bfrev_b32_e32 v5, 1
	s_and_saveexec_b64 s[30:31], vcc
	s_cbranch_execz .LBB6_16613
; %bb.16608:                            ;   in Loop: Header=BB6_13186 Depth=3
	v_and_b32_e32 v2, 0x7c, v1
	v_and_b32_e32 v21, 3, v1
	v_cmp_ne_u32_e32 vcc, s86, v2
                                        ; implicit-def: $vgpr5
	s_and_saveexec_b64 s[62:63], vcc
	s_xor_b64 s[34:35], exec, s[62:63]
	s_cbranch_execz .LBB6_16610
; %bb.16609:                            ;   in Loop: Header=BB6_13186 Depth=3
	v_ffbh_u32_e32 v16, v21
	v_min_u32_e32 v16, 32, v16
	v_mov_b32_e32 v2, v33
	v_subrev_u32_e32 v17, 29, v16
	v_bfe_u32 v5, v1, 2, 5
	v_lshlrev_b64 v[1:2], v17, v[1:2]
	v_sub_u32_e32 v2, 30, v16
	v_cmp_eq_u32_e32 vcc, 0, v5
	v_cndmask_b32_e32 v2, v5, v2, vcc
	v_lshlrev_b32_e32 v5, 16, v20
	v_and_b32_e32 v1, 3, v1
	v_and_b32_e32 v5, 0x80000000, v5
	v_cndmask_b32_e32 v1, v21, v1, vcc
	v_lshl_add_u32 v2, v2, 23, v5
	v_lshl_or_b32 v1, v1, 21, v2
	v_add_u32_e32 v5, 0x38000000, v1
                                        ; implicit-def: $vgpr21
                                        ; implicit-def: $vgpr20
.LBB6_16610:                            ;   in Loop: Header=BB6_13186 Depth=3
	s_andn2_saveexec_b64 s[34:35], s[34:35]
; %bb.16611:                            ;   in Loop: Header=BB6_13186 Depth=3
	v_cmp_lt_i16_e32 vcc, -1, v20
	v_mov_b32_e32 v1, 0xff800000
	v_mov_b32_e32 v2, 0x7f800000
	v_cndmask_b32_e32 v1, v1, v2, vcc
	v_cmp_eq_u32_e32 vcc, 0, v21
	v_mov_b32_e32 v2, 0x7f800001
	v_cndmask_b32_e32 v5, v2, v1, vcc
; %bb.16612:                            ;   in Loop: Header=BB6_13186 Depth=3
	s_or_b64 exec, exec, s[34:35]
.LBB6_16613:                            ;   in Loop: Header=BB6_13186 Depth=3
	s_or_b64 exec, exec, s[30:31]
.LBB6_16614:                            ;   in Loop: Header=BB6_13186 Depth=3
	s_or_b64 exec, exec, s[28:29]
	v_lshrrev_b16_e32 v1, 8, v15
	v_cmp_ne_u16_e32 vcc, 0, v1
	s_and_saveexec_b64 s[28:29], vcc
	s_cbranch_execz .LBB6_16622
; %bb.16615:                            ;   in Loop: Header=BB6_13186 Depth=3
	v_cmp_ne_u16_e32 vcc, s97, v1
	v_bfrev_b32_e32 v3, 1
	s_and_saveexec_b64 s[30:31], vcc
	s_cbranch_execz .LBB6_16621
; %bb.16616:                            ;   in Loop: Header=BB6_13186 Depth=3
	v_and_b32_e32 v2, 0x7c, v1
	v_and_b32_e32 v20, 3, v1
	v_cmp_ne_u32_e32 vcc, s86, v2
                                        ; implicit-def: $vgpr3
	s_and_saveexec_b64 s[62:63], vcc
	s_xor_b64 s[34:35], exec, s[62:63]
	s_cbranch_execz .LBB6_16618
; %bb.16617:                            ;   in Loop: Header=BB6_13186 Depth=3
	v_ffbh_u32_e32 v16, v20
	v_min_u32_e32 v16, 32, v16
	v_mov_b32_e32 v2, v33
	v_subrev_u32_e32 v17, 29, v16
	v_bfe_u32 v3, v1, 2, 5
	v_lshlrev_b64 v[1:2], v17, v[1:2]
	v_sub_u32_e32 v2, 30, v16
	v_cmp_eq_u32_e32 vcc, 0, v3
	v_cndmask_b32_e32 v2, v3, v2, vcc
	v_lshlrev_b32_e32 v3, 16, v15
	v_and_b32_e32 v1, 3, v1
	v_and_b32_e32 v3, 0x80000000, v3
	v_cndmask_b32_e32 v1, v20, v1, vcc
	v_lshl_add_u32 v2, v2, 23, v3
	v_lshl_or_b32 v1, v1, 21, v2
	v_add_u32_e32 v3, 0x38000000, v1
                                        ; implicit-def: $vgpr20
.LBB6_16618:                            ;   in Loop: Header=BB6_13186 Depth=3
	s_andn2_saveexec_b64 s[34:35], s[34:35]
; %bb.16619:                            ;   in Loop: Header=BB6_13186 Depth=3
	v_cmp_lt_i16_e32 vcc, -1, v15
	v_mov_b32_e32 v1, 0xff800000
	v_mov_b32_e32 v2, 0x7f800000
	v_cndmask_b32_e32 v1, v1, v2, vcc
	v_cmp_eq_u32_e32 vcc, 0, v20
	v_mov_b32_e32 v2, 0x7f800001
	v_cndmask_b32_e32 v3, v2, v1, vcc
; %bb.16620:                            ;   in Loop: Header=BB6_13186 Depth=3
	s_or_b64 exec, exec, s[34:35]
.LBB6_16621:                            ;   in Loop: Header=BB6_13186 Depth=3
	s_or_b64 exec, exec, s[30:31]
.LBB6_16622:                            ;   in Loop: Header=BB6_13186 Depth=3
	s_or_b64 exec, exec, s[28:29]
	v_add_f32_e32 v3, v5, v3
	v_and_b32_e32 v20, 0x7f800000, v3
	v_mov_b32_e32 v21, v33
	v_cmp_ne_u64_e32 vcc, s[76:77], v[20:21]
	v_and_b32_e32 v1, 0x7fffff, v3
	v_mov_b32_e32 v2, v33
                                        ; implicit-def: $vgpr20
	s_and_saveexec_b64 s[28:29], vcc
	s_xor_b64 s[30:31], exec, s[28:29]
	s_cbranch_execz .LBB6_16636
; %bb.16623:                            ;   in Loop: Header=BB6_13186 Depth=3
	v_and_b32_e32 v20, 0x7fffffff, v3
	v_mov_b32_e32 v21, v33
	v_cmp_gt_u64_e32 vcc, s[78:79], v[20:21]
	v_and_b32_sdwa v21, v3, s97 dst_sel:DWORD dst_unused:UNUSED_PAD src0_sel:BYTE_3 src1_sel:DWORD
                                        ; implicit-def: $vgpr20
	s_and_saveexec_b64 s[28:29], vcc
	s_xor_b64 s[34:35], exec, s[28:29]
	s_cbranch_execz .LBB6_16633
; %bb.16624:                            ;   in Loop: Header=BB6_13186 Depth=3
	v_mov_b32_e32 v20, 0
	v_cmp_ne_u32_e32 vcc, 0, v3
	s_and_saveexec_b64 s[36:37], vcc
	s_cbranch_execz .LBB6_16632
; %bb.16625:                            ;   in Loop: Header=BB6_13186 Depth=3
	v_bfe_u32 v5, v3, 23, 8
	v_cmp_gt_u32_e64 s[28:29], s47, v5
	v_sub_u32_e32 v3, 0x71, v5
	v_cmp_eq_u32_e32 vcc, 0, v5
	v_cndmask_b32_e64 v3, 0, v3, s[28:29]
	v_mov_b32_e32 v17, 0x70
	v_cndmask_b32_e32 v20, v3, v17, vcc
	v_add_u32_e32 v3, 21, v20
	v_or_b32_e32 v16, 0x800000, v1
	v_lshlrev_b64 v[22:23], v3, -1
	v_cndmask_b32_e32 v1, v16, v1, vcc
	v_add_u32_e32 v3, 20, v20
	v_bfi_b32 v22, v22, 0, v1
	v_lshlrev_b64 v[31:32], v3, 1
	v_lshrrev_b64 v[1:2], v20, v[1:2]
	v_bfi_b32 v23, v23, 0, 0
	v_cmp_eq_u64_e64 s[28:29], v[22:23], v[31:32]
	v_mov_b32_e32 v3, v2
	v_mov_b32_e32 v2, v1
	s_and_saveexec_b64 s[38:39], s[28:29]
; %bb.16626:                            ;   in Loop: Header=BB6_13186 Depth=3
	v_bfe_u32 v2, v1, 21, 1
	v_add_co_u32_e64 v2, s[28:29], v1, v2
	v_add_co_u32_e64 v2, s[28:29], -1, v2
; %bb.16627:                            ;   in Loop: Header=BB6_13186 Depth=3
	s_or_b64 exec, exec, s[38:39]
	v_add_u32_e32 v3, 0xffffff81, v5
	v_mov_b32_e32 v5, 0xffffff82
	v_cndmask_b32_e32 v3, v3, v5, vcc
	v_lshrrev_b32_e32 v5, 23, v1
	v_add3_u32 v20, v20, v3, v5
	v_add_u32_e32 v5, 14, v20
	v_and_b32_e32 v2, 0x1fffff, v2
	v_add_u32_e32 v1, v2, v1
	v_mov_b32_e32 v2, v33
	v_cmp_ne_u32_e32 vcc, 0, v5
                                        ; implicit-def: $vgpr3
	s_and_saveexec_b64 s[28:29], vcc
	s_xor_b64 s[28:29], exec, s[28:29]
; %bb.16628:                            ;   in Loop: Header=BB6_13186 Depth=3
	v_cmp_lt_u64_e32 vcc, s[88:89], v[1:2]
	v_add_u32_e32 v3, 15, v20
	v_cndmask_b32_e32 v3, v5, v3, vcc
	v_cndmask_b32_e64 v5, 0, 1, vcc
	v_lshrrev_b64 v[1:2], v5, v[1:2]
; %bb.16629:                            ;   in Loop: Header=BB6_13186 Depth=3
	s_andn2_saveexec_b64 s[28:29], s[28:29]
; %bb.16630:                            ;   in Loop: Header=BB6_13186 Depth=3
	v_bfe_u32 v3, v1, 23, 1
; %bb.16631:                            ;   in Loop: Header=BB6_13186 Depth=3
	s_or_b64 exec, exec, s[28:29]
	v_lshrrev_b64 v[1:2], 21, v[1:2]
	v_cmp_gt_i32_e32 vcc, 32, v3
	v_cndmask_b32_e32 v2, 0, v2, vcc
	v_cndmask_b32_e32 v1, 3, v1, vcc
	v_cmp_eq_u64_e64 s[28:29], 0, v[1:2]
	v_min_i32_e32 v2, 31, v3
	v_lshlrev_b32_e32 v2, 2, v2
	v_cmp_eq_u32_e32 vcc, 0, v3
	v_and_b32_e32 v2, 0xfc, v2
	v_and_or_b32 v1, v1, 3, v2
	s_and_b64 s[28:29], vcc, s[28:29]
	v_cndmask_b32_e64 v1, v1, 0, s[28:29]
	v_or_b32_e32 v20, v1, v21
.LBB6_16632:                            ;   in Loop: Header=BB6_13186 Depth=3
	s_or_b64 exec, exec, s[36:37]
                                        ; implicit-def: $vgpr21
.LBB6_16633:                            ;   in Loop: Header=BB6_13186 Depth=3
	s_andn2_saveexec_b64 s[28:29], s[34:35]
; %bb.16634:                            ;   in Loop: Header=BB6_13186 Depth=3
	v_or_b32_e32 v20, 0x7b, v21
; %bb.16635:                            ;   in Loop: Header=BB6_13186 Depth=3
	s_or_b64 exec, exec, s[28:29]
                                        ; implicit-def: $vgpr3
                                        ; implicit-def: $vgpr1_vgpr2
.LBB6_16636:                            ;   in Loop: Header=BB6_13186 Depth=3
	s_andn2_saveexec_b64 s[28:29], s[30:31]
	s_cbranch_execz .LBB6_16642
; %bb.16637:                            ;   in Loop: Header=BB6_13186 Depth=3
	v_cmp_ne_u64_e32 vcc, 0, v[1:2]
                                        ; implicit-def: $vgpr20
	s_and_saveexec_b64 s[62:63], vcc
	s_xor_b64 vcc, exec, s[62:63]
; %bb.16638:                            ;   in Loop: Header=BB6_13186 Depth=3
	v_or_b32_sdwa v20, v3, s44 dst_sel:DWORD dst_unused:UNUSED_PAD src0_sel:BYTE_3 src1_sel:DWORD
                                        ; implicit-def: $vgpr3
; %bb.16639:                            ;   in Loop: Header=BB6_13186 Depth=3
	s_andn2_saveexec_b64 s[30:31], vcc
; %bb.16640:                            ;   in Loop: Header=BB6_13186 Depth=3
	v_cmp_lt_i32_e32 vcc, -1, v3
	v_bfrev_b32_e32 v1, 0.5
	v_mov_b32_e32 v2, 0x7c
	v_cndmask_b32_e32 v20, v1, v2, vcc
; %bb.16641:                            ;   in Loop: Header=BB6_13186 Depth=3
	s_or_b64 exec, exec, s[30:31]
.LBB6_16642:                            ;   in Loop: Header=BB6_13186 Depth=3
	s_or_b64 exec, exec, s[28:29]
	v_and_b32_sdwa v5, v0, s96 dst_sel:DWORD dst_unused:UNUSED_PAD src0_sel:WORD_1 src1_sel:DWORD
	v_lshrrev_b32_e32 v1, 16, v0
	v_cmp_ne_u16_e32 vcc, 0, v5
	v_mov_b32_e32 v2, 0
	v_mov_b32_e32 v3, 0
	s_and_saveexec_b64 s[28:29], vcc
	s_cbranch_execz .LBB6_16650
; %bb.16643:                            ;   in Loop: Header=BB6_13186 Depth=3
	v_cmp_ne_u16_e32 vcc, s97, v5
	v_bfrev_b32_e32 v3, 1
	s_and_saveexec_b64 s[30:31], vcc
	s_cbranch_execz .LBB6_16649
; %bb.16644:                            ;   in Loop: Header=BB6_13186 Depth=3
	v_and_b32_e32 v3, 0x7c0000, v0
	v_bfe_u32 v5, v0, 16, 2
	v_cmp_ne_u32_e32 vcc, s45, v3
                                        ; implicit-def: $vgpr3
	s_and_saveexec_b64 s[62:63], vcc
	s_xor_b64 s[34:35], exec, s[62:63]
	s_cbranch_execz .LBB6_16646
; %bb.16645:                            ;   in Loop: Header=BB6_13186 Depth=3
	v_ffbh_u32_e32 v16, v5
	v_min_u32_e32 v16, 32, v16
	v_subrev_u32_e32 v17, 29, v16
	v_lshlrev_b64 v[21:22], v17, v[1:2]
	v_bfe_u32 v3, v0, 18, 5
	v_sub_u32_e32 v1, 30, v16
	v_and_b32_e32 v16, 3, v21
	v_cmp_eq_u32_e32 vcc, 0, v3
	v_cndmask_b32_e32 v1, v3, v1, vcc
	v_cndmask_b32_e32 v3, v5, v16, vcc
	v_lshlrev_b32_e32 v5, 8, v0
	v_and_b32_e32 v5, 0x80000000, v5
	v_lshl_add_u32 v1, v1, 23, v5
	v_lshl_or_b32 v1, v3, 21, v1
	v_add_u32_e32 v3, 0x38000000, v1
                                        ; implicit-def: $vgpr5
                                        ; implicit-def: $vgpr1
.LBB6_16646:                            ;   in Loop: Header=BB6_13186 Depth=3
	s_andn2_saveexec_b64 s[34:35], s[34:35]
; %bb.16647:                            ;   in Loop: Header=BB6_13186 Depth=3
	v_mov_b32_e32 v3, -1
	v_cmp_gt_i16_sdwa vcc, sext(v1), v3 src0_sel:BYTE_0 src1_sel:DWORD
	v_mov_b32_e32 v1, 0xff800000
	v_mov_b32_e32 v3, 0x7f800000
	v_cndmask_b32_e32 v1, v1, v3, vcc
	v_cmp_eq_u32_e32 vcc, 0, v5
	v_mov_b32_e32 v3, 0x7f800001
	v_cndmask_b32_e32 v3, v3, v1, vcc
; %bb.16648:                            ;   in Loop: Header=BB6_13186 Depth=3
	s_or_b64 exec, exec, s[34:35]
.LBB6_16649:                            ;   in Loop: Header=BB6_13186 Depth=3
	s_or_b64 exec, exec, s[30:31]
.LBB6_16650:                            ;   in Loop: Header=BB6_13186 Depth=3
	s_or_b64 exec, exec, s[28:29]
	v_lshrrev_b32_e32 v1, 16, v15
	v_cmp_ne_u16_sdwa s[62:63], v1, v33 src0_sel:BYTE_0 src1_sel:DWORD
	s_and_saveexec_b64 s[28:29], s[62:63]
	s_cbranch_execz .LBB6_16658
; %bb.16651:                            ;   in Loop: Header=BB6_13186 Depth=3
	v_cmp_ne_u16_sdwa s[62:63], v1, s97 src0_sel:BYTE_0 src1_sel:DWORD
	v_bfrev_b32_e32 v2, 1
	s_and_saveexec_b64 s[30:31], s[62:63]
	s_cbranch_execz .LBB6_16657
; %bb.16652:                            ;   in Loop: Header=BB6_13186 Depth=3
	v_and_b32_e32 v2, 0x7c0000, v15
	v_bfe_u32 v5, v15, 16, 2
	v_cmp_ne_u32_e32 vcc, s45, v2
                                        ; implicit-def: $vgpr2
	s_and_saveexec_b64 s[62:63], vcc
	s_xor_b64 s[34:35], exec, s[62:63]
	s_cbranch_execz .LBB6_16654
; %bb.16653:                            ;   in Loop: Header=BB6_13186 Depth=3
	v_ffbh_u32_e32 v2, v5
	v_min_u32_e32 v17, 32, v2
	v_subrev_u32_e32 v2, 29, v17
	v_lshlrev_b64 v[1:2], v2, v[1:2]
	v_bfe_u32 v16, v15, 18, 5
	v_and_b32_e32 v1, 3, v1
	v_cmp_eq_u32_e32 vcc, 0, v16
	v_sub_u32_e32 v2, 30, v17
	v_cndmask_b32_e32 v1, v5, v1, vcc
	v_lshlrev_b32_e32 v5, 8, v15
	v_cndmask_b32_e32 v2, v16, v2, vcc
	v_and_b32_e32 v5, 0x80000000, v5
	v_lshl_add_u32 v2, v2, 23, v5
	v_lshl_or_b32 v1, v1, 21, v2
	v_add_u32_e32 v2, 0x38000000, v1
                                        ; implicit-def: $vgpr5
                                        ; implicit-def: $vgpr1
.LBB6_16654:                            ;   in Loop: Header=BB6_13186 Depth=3
	s_andn2_saveexec_b64 s[34:35], s[34:35]
; %bb.16655:                            ;   in Loop: Header=BB6_13186 Depth=3
	v_mov_b32_e32 v2, -1
	v_cmp_gt_i16_sdwa vcc, sext(v1), v2 src0_sel:BYTE_0 src1_sel:DWORD
	v_mov_b32_e32 v1, 0xff800000
	v_mov_b32_e32 v2, 0x7f800000
	v_cndmask_b32_e32 v1, v1, v2, vcc
	v_cmp_eq_u32_e32 vcc, 0, v5
	v_mov_b32_e32 v2, 0x7f800001
	v_cndmask_b32_e32 v2, v2, v1, vcc
; %bb.16656:                            ;   in Loop: Header=BB6_13186 Depth=3
	s_or_b64 exec, exec, s[34:35]
.LBB6_16657:                            ;   in Loop: Header=BB6_13186 Depth=3
	s_or_b64 exec, exec, s[30:31]
.LBB6_16658:                            ;   in Loop: Header=BB6_13186 Depth=3
	s_or_b64 exec, exec, s[28:29]
	v_add_f32_e32 v3, v3, v2
	v_and_b32_e32 v21, 0x7f800000, v3
	v_mov_b32_e32 v22, v33
	v_cmp_ne_u64_e32 vcc, s[76:77], v[21:22]
	v_and_b32_e32 v1, 0x7fffff, v3
	v_mov_b32_e32 v2, v33
                                        ; implicit-def: $vgpr21
	s_and_saveexec_b64 s[28:29], vcc
	s_xor_b64 s[30:31], exec, s[28:29]
	s_cbranch_execz .LBB6_16672
; %bb.16659:                            ;   in Loop: Header=BB6_13186 Depth=3
	v_and_b32_e32 v21, 0x7fffffff, v3
	v_mov_b32_e32 v22, v33
	v_cmp_gt_u64_e32 vcc, s[78:79], v[21:22]
	v_and_b32_sdwa v22, v3, s97 dst_sel:DWORD dst_unused:UNUSED_PAD src0_sel:BYTE_3 src1_sel:DWORD
                                        ; implicit-def: $vgpr21
	s_and_saveexec_b64 s[28:29], vcc
	s_xor_b64 s[34:35], exec, s[28:29]
	s_cbranch_execz .LBB6_16669
; %bb.16660:                            ;   in Loop: Header=BB6_13186 Depth=3
	v_mov_b32_e32 v21, 0
	v_cmp_ne_u32_e32 vcc, 0, v3
	s_and_saveexec_b64 s[36:37], vcc
	s_cbranch_execz .LBB6_16668
; %bb.16661:                            ;   in Loop: Header=BB6_13186 Depth=3
	v_bfe_u32 v5, v3, 23, 8
	v_cmp_gt_u32_e64 s[28:29], s47, v5
	v_sub_u32_e32 v3, 0x71, v5
	v_cmp_eq_u32_e32 vcc, 0, v5
	v_cndmask_b32_e64 v3, 0, v3, s[28:29]
	v_mov_b32_e32 v17, 0x70
	v_cndmask_b32_e32 v21, v3, v17, vcc
	v_add_u32_e32 v3, 21, v21
	v_or_b32_e32 v16, 0x800000, v1
	v_lshlrev_b64 v[31:32], v3, -1
	v_cndmask_b32_e32 v1, v16, v1, vcc
	v_add_u32_e32 v3, 20, v21
	v_bfi_b32 v31, v31, 0, v1
	v_lshlrev_b64 v[38:39], v3, 1
	v_lshrrev_b64 v[1:2], v21, v[1:2]
	v_bfi_b32 v32, v32, 0, 0
	v_cmp_eq_u64_e64 s[28:29], v[31:32], v[38:39]
	v_mov_b32_e32 v3, v2
	v_mov_b32_e32 v2, v1
	s_and_saveexec_b64 s[38:39], s[28:29]
; %bb.16662:                            ;   in Loop: Header=BB6_13186 Depth=3
	v_bfe_u32 v2, v1, 21, 1
	v_add_co_u32_e64 v2, s[28:29], v1, v2
	v_add_co_u32_e64 v2, s[28:29], -1, v2
; %bb.16663:                            ;   in Loop: Header=BB6_13186 Depth=3
	s_or_b64 exec, exec, s[38:39]
	v_add_u32_e32 v3, 0xffffff81, v5
	v_mov_b32_e32 v5, 0xffffff82
	v_cndmask_b32_e32 v3, v3, v5, vcc
	v_lshrrev_b32_e32 v5, 23, v1
	v_add3_u32 v21, v21, v3, v5
	v_add_u32_e32 v5, 14, v21
	v_and_b32_e32 v2, 0x1fffff, v2
	v_add_u32_e32 v1, v2, v1
	v_mov_b32_e32 v2, v33
	v_cmp_ne_u32_e32 vcc, 0, v5
                                        ; implicit-def: $vgpr3
	s_and_saveexec_b64 s[28:29], vcc
	s_xor_b64 s[28:29], exec, s[28:29]
; %bb.16664:                            ;   in Loop: Header=BB6_13186 Depth=3
	v_cmp_lt_u64_e32 vcc, s[88:89], v[1:2]
	v_add_u32_e32 v3, 15, v21
	v_cndmask_b32_e32 v3, v5, v3, vcc
	v_cndmask_b32_e64 v5, 0, 1, vcc
	v_lshrrev_b64 v[1:2], v5, v[1:2]
; %bb.16665:                            ;   in Loop: Header=BB6_13186 Depth=3
	s_andn2_saveexec_b64 s[28:29], s[28:29]
; %bb.16666:                            ;   in Loop: Header=BB6_13186 Depth=3
	v_bfe_u32 v3, v1, 23, 1
; %bb.16667:                            ;   in Loop: Header=BB6_13186 Depth=3
	s_or_b64 exec, exec, s[28:29]
	v_lshrrev_b64 v[1:2], 21, v[1:2]
	v_cmp_gt_i32_e32 vcc, 32, v3
	v_cndmask_b32_e32 v2, 0, v2, vcc
	v_cndmask_b32_e32 v1, 3, v1, vcc
	v_cmp_eq_u64_e64 s[28:29], 0, v[1:2]
	v_min_i32_e32 v2, 31, v3
	v_lshlrev_b32_e32 v2, 2, v2
	v_cmp_eq_u32_e32 vcc, 0, v3
	v_and_b32_e32 v2, 0xfc, v2
	v_and_or_b32 v1, v1, 3, v2
	s_and_b64 s[28:29], vcc, s[28:29]
	v_cndmask_b32_e64 v1, v1, 0, s[28:29]
	v_or_b32_e32 v21, v1, v22
.LBB6_16668:                            ;   in Loop: Header=BB6_13186 Depth=3
	s_or_b64 exec, exec, s[36:37]
                                        ; implicit-def: $vgpr22
.LBB6_16669:                            ;   in Loop: Header=BB6_13186 Depth=3
	s_andn2_saveexec_b64 s[28:29], s[34:35]
; %bb.16670:                            ;   in Loop: Header=BB6_13186 Depth=3
	v_or_b32_e32 v21, 0x7b, v22
; %bb.16671:                            ;   in Loop: Header=BB6_13186 Depth=3
	s_or_b64 exec, exec, s[28:29]
                                        ; implicit-def: $vgpr3
                                        ; implicit-def: $vgpr1_vgpr2
.LBB6_16672:                            ;   in Loop: Header=BB6_13186 Depth=3
	s_andn2_saveexec_b64 s[28:29], s[30:31]
	s_cbranch_execz .LBB6_16678
; %bb.16673:                            ;   in Loop: Header=BB6_13186 Depth=3
	v_cmp_ne_u64_e32 vcc, 0, v[1:2]
                                        ; implicit-def: $vgpr21
	s_and_saveexec_b64 s[62:63], vcc
	s_xor_b64 vcc, exec, s[62:63]
; %bb.16674:                            ;   in Loop: Header=BB6_13186 Depth=3
	v_or_b32_sdwa v21, v3, s44 dst_sel:DWORD dst_unused:UNUSED_PAD src0_sel:BYTE_3 src1_sel:DWORD
                                        ; implicit-def: $vgpr3
; %bb.16675:                            ;   in Loop: Header=BB6_13186 Depth=3
	s_andn2_saveexec_b64 s[30:31], vcc
; %bb.16676:                            ;   in Loop: Header=BB6_13186 Depth=3
	v_cmp_lt_i32_e32 vcc, -1, v3
	v_bfrev_b32_e32 v1, 0.5
	v_mov_b32_e32 v2, 0x7c
	v_cndmask_b32_e32 v21, v1, v2, vcc
; %bb.16677:                            ;   in Loop: Header=BB6_13186 Depth=3
	s_or_b64 exec, exec, s[30:31]
.LBB6_16678:                            ;   in Loop: Header=BB6_13186 Depth=3
	s_or_b64 exec, exec, s[28:29]
	v_cmp_lt_u32_e32 vcc, s57, v0
	v_mov_b32_e32 v2, 0
	v_mov_b32_e32 v3, 0
	s_and_saveexec_b64 s[28:29], vcc
	s_cbranch_execz .LBB6_16686
; %bb.16679:                            ;   in Loop: Header=BB6_13186 Depth=3
	v_lshrrev_b32_e32 v1, 24, v0
	v_cmp_ne_u32_e32 vcc, s97, v1
	v_bfrev_b32_e32 v3, 1
	s_and_saveexec_b64 s[30:31], vcc
	s_cbranch_execz .LBB6_16685
; %bb.16680:                            ;   in Loop: Header=BB6_13186 Depth=3
	v_and_b32_e32 v3, 0x7c000000, v0
	v_bfe_u32 v5, v0, 24, 2
	v_cmp_ne_u32_e32 vcc, s68, v3
                                        ; implicit-def: $vgpr3
	s_and_saveexec_b64 s[62:63], vcc
	s_xor_b64 s[34:35], exec, s[62:63]
	s_cbranch_execz .LBB6_16682
; %bb.16681:                            ;   in Loop: Header=BB6_13186 Depth=3
	v_ffbh_u32_e32 v16, v5
	v_min_u32_e32 v16, 32, v16
	v_subrev_u32_e32 v17, 29, v16
	v_bfe_u32 v3, v0, 26, 5
	v_lshlrev_b64 v[22:23], v17, v[1:2]
	v_sub_u32_e32 v1, 30, v16
	v_cmp_eq_u32_e32 vcc, 0, v3
	v_and_b32_e32 v16, 3, v22
	v_cndmask_b32_e32 v1, v3, v1, vcc
	v_and_b32_e32 v0, 0x80000000, v0
	v_cndmask_b32_e32 v3, v5, v16, vcc
	v_lshl_add_u32 v0, v1, 23, v0
	v_lshl_or_b32 v0, v3, 21, v0
	v_add_u32_e32 v3, 0x38000000, v0
                                        ; implicit-def: $vgpr5
                                        ; implicit-def: $vgpr0_vgpr1
.LBB6_16682:                            ;   in Loop: Header=BB6_13186 Depth=3
	s_andn2_saveexec_b64 s[34:35], s[34:35]
; %bb.16683:                            ;   in Loop: Header=BB6_13186 Depth=3
	v_cmp_lt_i32_e32 vcc, -1, v0
	v_mov_b32_e32 v0, 0xff800000
	v_mov_b32_e32 v1, 0x7f800000
	v_cndmask_b32_e32 v0, v0, v1, vcc
	v_cmp_eq_u32_e32 vcc, 0, v5
	v_mov_b32_e32 v1, 0x7f800001
	v_cndmask_b32_e32 v3, v1, v0, vcc
; %bb.16684:                            ;   in Loop: Header=BB6_13186 Depth=3
	s_or_b64 exec, exec, s[34:35]
.LBB6_16685:                            ;   in Loop: Header=BB6_13186 Depth=3
	s_or_b64 exec, exec, s[30:31]
.LBB6_16686:                            ;   in Loop: Header=BB6_13186 Depth=3
	s_or_b64 exec, exec, s[28:29]
	v_cmp_lt_u64_e32 vcc, s[56:57], v[14:15]
	s_and_saveexec_b64 s[28:29], vcc
	s_cbranch_execz .LBB6_16694
; %bb.16687:                            ;   in Loop: Header=BB6_13186 Depth=3
	v_lshrrev_b32_e32 v0, 24, v15
	v_cmp_ne_u32_e32 vcc, s97, v0
	v_bfrev_b32_e32 v2, 1
	s_and_saveexec_b64 s[30:31], vcc
	s_cbranch_execz .LBB6_16693
; %bb.16688:                            ;   in Loop: Header=BB6_13186 Depth=3
	v_and_b32_e32 v2, 0x7c000000, v15
	v_bfe_u32 v1, v15, 24, 2
	v_cmp_ne_u32_e32 vcc, s68, v2
                                        ; implicit-def: $vgpr2
	s_and_saveexec_b64 s[62:63], vcc
	s_xor_b64 s[34:35], exec, s[62:63]
	s_cbranch_execz .LBB6_16690
; %bb.16689:                            ;   in Loop: Header=BB6_13186 Depth=3
	v_ffbh_u32_e32 v5, v1
	v_min_u32_e32 v5, 32, v5
	v_subrev_u32_e32 v14, 29, v5
	v_bfe_u32 v2, v15, 26, 5
	v_lshlrev_b64 v[22:23], v14, v[0:1]
	v_sub_u32_e32 v0, 30, v5
	v_cmp_eq_u32_e32 vcc, 0, v2
	v_and_b32_e32 v5, 3, v22
	v_cndmask_b32_e32 v0, v2, v0, vcc
	v_and_b32_e32 v2, 0x80000000, v15
	v_cndmask_b32_e32 v1, v1, v5, vcc
	v_lshl_add_u32 v0, v0, 23, v2
	v_lshl_or_b32 v0, v1, 21, v0
	v_add_u32_e32 v2, 0x38000000, v0
                                        ; implicit-def: $vgpr1
                                        ; implicit-def: $vgpr14_vgpr15
.LBB6_16690:                            ;   in Loop: Header=BB6_13186 Depth=3
	s_andn2_saveexec_b64 s[34:35], s[34:35]
; %bb.16691:                            ;   in Loop: Header=BB6_13186 Depth=3
	v_cmp_lt_i64_e32 vcc, -1, v[14:15]
	v_mov_b32_e32 v0, 0xff800000
	v_mov_b32_e32 v2, 0x7f800000
	v_cndmask_b32_e32 v0, v0, v2, vcc
	v_cmp_eq_u32_e32 vcc, 0, v1
	v_mov_b32_e32 v1, 0x7f800001
	v_cndmask_b32_e32 v2, v1, v0, vcc
; %bb.16692:                            ;   in Loop: Header=BB6_13186 Depth=3
	s_or_b64 exec, exec, s[34:35]
.LBB6_16693:                            ;   in Loop: Header=BB6_13186 Depth=3
	s_or_b64 exec, exec, s[30:31]
.LBB6_16694:                            ;   in Loop: Header=BB6_13186 Depth=3
	s_or_b64 exec, exec, s[28:29]
	v_add_f32_e32 v2, v3, v2
	v_and_b32_e32 v14, 0x7f800000, v2
	v_mov_b32_e32 v15, v33
	v_cmp_ne_u64_e32 vcc, s[76:77], v[14:15]
	v_and_b32_e32 v0, 0x7fffff, v2
	v_mov_b32_e32 v1, v33
                                        ; implicit-def: $vgpr14
	s_and_saveexec_b64 s[28:29], vcc
	s_xor_b64 s[30:31], exec, s[28:29]
	s_cbranch_execz .LBB6_16708
; %bb.16695:                            ;   in Loop: Header=BB6_13186 Depth=3
	v_and_b32_e32 v14, 0x7fffffff, v2
	v_mov_b32_e32 v15, v33
	v_cmp_gt_u64_e32 vcc, s[78:79], v[14:15]
	v_and_b32_sdwa v3, v2, s97 dst_sel:DWORD dst_unused:UNUSED_PAD src0_sel:BYTE_3 src1_sel:DWORD
                                        ; implicit-def: $vgpr14
	s_and_saveexec_b64 s[28:29], vcc
	s_xor_b64 s[34:35], exec, s[28:29]
	s_cbranch_execz .LBB6_16705
; %bb.16696:                            ;   in Loop: Header=BB6_13186 Depth=3
	v_mov_b32_e32 v14, 0
	v_cmp_ne_u32_e32 vcc, 0, v2
	s_and_saveexec_b64 s[36:37], vcc
	s_cbranch_execz .LBB6_16704
; %bb.16697:                            ;   in Loop: Header=BB6_13186 Depth=3
	v_bfe_u32 v5, v2, 23, 8
	v_cmp_gt_u32_e64 s[28:29], s47, v5
	v_sub_u32_e32 v2, 0x71, v5
	v_cmp_eq_u32_e32 vcc, 0, v5
	v_cndmask_b32_e64 v2, 0, v2, s[28:29]
	v_mov_b32_e32 v14, 0x70
	v_cndmask_b32_e32 v14, v2, v14, vcc
	v_add_u32_e32 v2, 21, v14
	v_or_b32_e32 v15, 0x800000, v0
	v_lshlrev_b64 v[22:23], v2, -1
	v_cndmask_b32_e32 v0, v15, v0, vcc
	v_add_u32_e32 v2, 20, v14
	v_bfi_b32 v22, v22, 0, v0
	v_lshlrev_b64 v[31:32], v2, 1
	v_lshrrev_b64 v[0:1], v14, v[0:1]
	v_bfi_b32 v23, v23, 0, 0
	v_cmp_eq_u64_e64 s[28:29], v[22:23], v[31:32]
	v_mov_b32_e32 v2, v1
	v_mov_b32_e32 v1, v0
	s_and_saveexec_b64 s[38:39], s[28:29]
; %bb.16698:                            ;   in Loop: Header=BB6_13186 Depth=3
	v_bfe_u32 v1, v0, 21, 1
	v_add_co_u32_e64 v1, s[28:29], v0, v1
	v_add_co_u32_e64 v1, s[28:29], -1, v1
; %bb.16699:                            ;   in Loop: Header=BB6_13186 Depth=3
	s_or_b64 exec, exec, s[38:39]
	v_add_u32_e32 v2, 0xffffff81, v5
	v_mov_b32_e32 v5, 0xffffff82
	v_cndmask_b32_e32 v2, v2, v5, vcc
	v_lshrrev_b32_e32 v5, 23, v0
	v_add3_u32 v14, v14, v2, v5
	v_add_u32_e32 v5, 14, v14
	v_and_b32_e32 v1, 0x1fffff, v1
	v_add_u32_e32 v0, v1, v0
	v_mov_b32_e32 v1, v33
	v_cmp_ne_u32_e32 vcc, 0, v5
                                        ; implicit-def: $vgpr2
	s_and_saveexec_b64 s[28:29], vcc
	s_xor_b64 s[28:29], exec, s[28:29]
; %bb.16700:                            ;   in Loop: Header=BB6_13186 Depth=3
	v_cmp_lt_u64_e32 vcc, s[88:89], v[0:1]
	v_add_u32_e32 v2, 15, v14
	v_cndmask_b32_e32 v2, v5, v2, vcc
	v_cndmask_b32_e64 v5, 0, 1, vcc
	v_lshrrev_b64 v[0:1], v5, v[0:1]
; %bb.16701:                            ;   in Loop: Header=BB6_13186 Depth=3
	s_andn2_saveexec_b64 s[28:29], s[28:29]
; %bb.16702:                            ;   in Loop: Header=BB6_13186 Depth=3
	v_bfe_u32 v2, v0, 23, 1
; %bb.16703:                            ;   in Loop: Header=BB6_13186 Depth=3
	s_or_b64 exec, exec, s[28:29]
	v_lshrrev_b64 v[0:1], 21, v[0:1]
	v_cmp_gt_i32_e32 vcc, 32, v2
	v_cndmask_b32_e32 v1, 0, v1, vcc
	v_cndmask_b32_e32 v0, 3, v0, vcc
	v_cmp_eq_u64_e64 s[28:29], 0, v[0:1]
	v_min_i32_e32 v1, 31, v2
	v_lshlrev_b32_e32 v1, 2, v1
	v_cmp_eq_u32_e32 vcc, 0, v2
	v_and_b32_e32 v1, 0xfc, v1
	v_and_or_b32 v0, v0, 3, v1
	s_and_b64 s[28:29], vcc, s[28:29]
	v_cndmask_b32_e64 v0, v0, 0, s[28:29]
	v_or_b32_e32 v14, v0, v3
.LBB6_16704:                            ;   in Loop: Header=BB6_13186 Depth=3
	s_or_b64 exec, exec, s[36:37]
                                        ; implicit-def: $vgpr3
.LBB6_16705:                            ;   in Loop: Header=BB6_13186 Depth=3
	s_andn2_saveexec_b64 s[28:29], s[34:35]
; %bb.16706:                            ;   in Loop: Header=BB6_13186 Depth=3
	v_or_b32_e32 v14, 0x7b, v3
; %bb.16707:                            ;   in Loop: Header=BB6_13186 Depth=3
	s_or_b64 exec, exec, s[28:29]
                                        ; implicit-def: $vgpr2
                                        ; implicit-def: $vgpr0_vgpr1
.LBB6_16708:                            ;   in Loop: Header=BB6_13186 Depth=3
	s_andn2_saveexec_b64 s[28:29], s[30:31]
	s_cbranch_execz .LBB6_16714
; %bb.16709:                            ;   in Loop: Header=BB6_13186 Depth=3
	v_cmp_ne_u64_e32 vcc, 0, v[0:1]
                                        ; implicit-def: $vgpr14
	s_and_saveexec_b64 s[62:63], vcc
	s_xor_b64 vcc, exec, s[62:63]
; %bb.16710:                            ;   in Loop: Header=BB6_13186 Depth=3
	v_or_b32_sdwa v14, v2, s44 dst_sel:DWORD dst_unused:UNUSED_PAD src0_sel:BYTE_3 src1_sel:DWORD
                                        ; implicit-def: $vgpr2
; %bb.16711:                            ;   in Loop: Header=BB6_13186 Depth=3
	s_andn2_saveexec_b64 s[30:31], vcc
; %bb.16712:                            ;   in Loop: Header=BB6_13186 Depth=3
	v_cmp_lt_i32_e32 vcc, -1, v2
	v_bfrev_b32_e32 v0, 0.5
	v_mov_b32_e32 v1, 0x7c
	v_cndmask_b32_e32 v14, v0, v1, vcc
; %bb.16713:                            ;   in Loop: Header=BB6_13186 Depth=3
	s_or_b64 exec, exec, s[30:31]
.LBB6_16714:                            ;   in Loop: Header=BB6_13186 Depth=3
	s_or_b64 exec, exec, s[28:29]
	buffer_load_dword v0, off, s[0:3], s33 offset:180 ; 4-byte Folded Reload
	buffer_load_dword v1, off, s[0:3], s33 offset:228 ; 4-byte Folded Reload
	v_cmp_ne_u32_e32 vcc, 0, v37
	v_mov_b32_e32 v2, 0
	v_mov_b32_e32 v3, 0
	s_waitcnt vmcnt(1)
	v_lshl_or_b32 v22, v0, 8, v37
	buffer_load_dword v0, off, s[0:3], s33 offset:204 ; 4-byte Folded Reload
	s_waitcnt vmcnt(1)
	v_lshlrev_b32_e32 v1, 24, v1
	s_waitcnt vmcnt(0)
	v_lshlrev_b32_e32 v0, 16, v0
	v_or3_b32 v0, v0, v1, v22
	v_mov_b32_e32 v1, v33
	s_and_saveexec_b64 s[30:31], vcc
	s_cbranch_execz .LBB6_16722
; %bb.16715:                            ;   in Loop: Header=BB6_13186 Depth=3
	v_cmp_ne_u32_e32 vcc, s97, v37
	v_bfrev_b32_e32 v3, 1
	s_and_saveexec_b64 s[34:35], vcc
	s_cbranch_execz .LBB6_16721
; %bb.16716:                            ;   in Loop: Header=BB6_13186 Depth=3
	v_and_b32_e32 v3, 0x7c, v37
	v_and_b32_e32 v5, 3, v37
	v_cmp_ne_u32_e32 vcc, s86, v3
                                        ; implicit-def: $vgpr3
	s_and_saveexec_b64 s[28:29], vcc
	s_xor_b64 s[28:29], exec, s[28:29]
	s_cbranch_execz .LBB6_16718
; %bb.16717:                            ;   in Loop: Header=BB6_13186 Depth=3
	v_ffbh_u32_e32 v15, v5
	v_min_u32_e32 v15, 32, v15
	v_subrev_u32_e32 v16, 29, v15
	v_lshlrev_b64 v[31:32], v16, v[0:1]
	v_bfe_u32 v3, v37, 2, 5
	v_sub_u32_e32 v1, 30, v15
	v_and_b32_e32 v15, 3, v31
	v_cmp_eq_u32_e32 vcc, 0, v3
	v_cndmask_b32_e32 v1, v3, v1, vcc
	v_cndmask_b32_e32 v3, v5, v15, vcc
	v_lshlrev_b32_e32 v5, 24, v37
	v_and_b32_e32 v5, 0x80000000, v5
	v_lshl_add_u32 v1, v1, 23, v5
	v_lshl_or_b32 v1, v3, 21, v1
	v_add_u32_e32 v3, 0x38000000, v1
                                        ; implicit-def: $vgpr5
                                        ; implicit-def: $vgpr37
.LBB6_16718:                            ;   in Loop: Header=BB6_13186 Depth=3
	s_andn2_saveexec_b64 s[36:37], s[28:29]
; %bb.16719:                            ;   in Loop: Header=BB6_13186 Depth=3
	v_and_b32_e32 v1, 0x80, v37
	v_cmp_eq_u32_e64 s[28:29], 0, v1
	v_mov_b32_e32 v1, 0xff800000
	v_mov_b32_e32 v3, 0x7f800000
	v_cmp_eq_u32_e32 vcc, 0, v5
	v_cndmask_b32_e64 v1, v1, v3, s[28:29]
	v_mov_b32_e32 v3, 0x7f800001
	v_cndmask_b32_e32 v3, v3, v1, vcc
; %bb.16720:                            ;   in Loop: Header=BB6_13186 Depth=3
	s_or_b64 exec, exec, s[36:37]
.LBB6_16721:                            ;   in Loop: Header=BB6_13186 Depth=3
	s_or_b64 exec, exec, s[34:35]
.LBB6_16722:                            ;   in Loop: Header=BB6_13186 Depth=3
	s_or_b64 exec, exec, s[30:31]
	v_cmp_ne_u16_sdwa s[62:63], v8, v33 src0_sel:BYTE_0 src1_sel:DWORD
	s_and_saveexec_b64 s[28:29], s[62:63]
	s_cbranch_execz .LBB6_16730
; %bb.16723:                            ;   in Loop: Header=BB6_13186 Depth=3
	v_cmp_ne_u16_sdwa s[62:63], sext(v8), s46 src0_sel:BYTE_0 src1_sel:DWORD
	v_bfrev_b32_e32 v2, 1
	s_and_saveexec_b64 s[30:31], s[62:63]
	s_cbranch_execz .LBB6_16729
; %bb.16724:                            ;   in Loop: Header=BB6_13186 Depth=3
	v_and_b32_e32 v2, 0x7c, v8
	v_and_b32_e32 v1, 3, v8
	v_cmp_ne_u32_e32 vcc, s86, v2
                                        ; implicit-def: $vgpr2
	s_and_saveexec_b64 s[62:63], vcc
	s_xor_b64 s[34:35], exec, s[62:63]
	s_cbranch_execz .LBB6_16726
; %bb.16725:                            ;   in Loop: Header=BB6_13186 Depth=3
	v_ffbh_u32_e32 v5, v1
	v_min_u32_e32 v5, 32, v5
	v_bfe_u32 v2, v8, 2, 5
	v_subrev_u32_e32 v15, 29, v5
	v_lshlrev_b64 v[31:32], v15, v[8:9]
	v_sub_u32_e32 v5, 30, v5
	v_cmp_eq_u32_e32 vcc, 0, v2
	v_cndmask_b32_e32 v2, v2, v5, vcc
	v_lshlrev_b32_e32 v5, 24, v8
	v_and_b32_e32 v15, 3, v31
	v_and_b32_e32 v5, 0x80000000, v5
	v_cndmask_b32_e32 v1, v1, v15, vcc
	v_lshl_add_u32 v2, v2, 23, v5
	v_lshl_or_b32 v1, v1, 21, v2
	v_add_u32_e32 v2, 0x38000000, v1
                                        ; implicit-def: $vgpr1
.LBB6_16726:                            ;   in Loop: Header=BB6_13186 Depth=3
	s_andn2_saveexec_b64 s[34:35], s[34:35]
; %bb.16727:                            ;   in Loop: Header=BB6_13186 Depth=3
	v_mov_b32_e32 v2, -1
	v_cmp_gt_i16_sdwa vcc, sext(v8), v2 src0_sel:BYTE_0 src1_sel:DWORD
	v_mov_b32_e32 v2, 0xff800000
	v_mov_b32_e32 v5, 0x7f800000
	v_cndmask_b32_e32 v2, v2, v5, vcc
	v_cmp_eq_u32_e32 vcc, 0, v1
	v_mov_b32_e32 v1, 0x7f800001
	v_cndmask_b32_e32 v2, v1, v2, vcc
; %bb.16728:                            ;   in Loop: Header=BB6_13186 Depth=3
	s_or_b64 exec, exec, s[34:35]
.LBB6_16729:                            ;   in Loop: Header=BB6_13186 Depth=3
	s_or_b64 exec, exec, s[30:31]
.LBB6_16730:                            ;   in Loop: Header=BB6_13186 Depth=3
	s_or_b64 exec, exec, s[28:29]
	v_add_f32_e32 v3, v3, v2
	v_and_b32_e32 v31, 0x7f800000, v3
	v_mov_b32_e32 v32, v33
	v_cmp_ne_u64_e32 vcc, s[76:77], v[31:32]
	v_and_b32_e32 v1, 0x7fffff, v3
	v_mov_b32_e32 v2, v33
                                        ; implicit-def: $vgpr15
	s_and_saveexec_b64 s[28:29], vcc
	s_xor_b64 s[30:31], exec, s[28:29]
	s_cbranch_execz .LBB6_16744
; %bb.16731:                            ;   in Loop: Header=BB6_13186 Depth=3
	v_and_b32_e32 v31, 0x7fffffff, v3
	v_mov_b32_e32 v32, v33
	v_cmp_gt_u64_e32 vcc, s[78:79], v[31:32]
	v_and_b32_sdwa v32, v3, s97 dst_sel:DWORD dst_unused:UNUSED_PAD src0_sel:BYTE_3 src1_sel:DWORD
                                        ; implicit-def: $vgpr15
	s_and_saveexec_b64 s[28:29], vcc
	s_xor_b64 s[34:35], exec, s[28:29]
	s_cbranch_execz .LBB6_16741
; %bb.16732:                            ;   in Loop: Header=BB6_13186 Depth=3
	v_mov_b32_e32 v15, 0
	v_cmp_ne_u32_e32 vcc, 0, v3
	s_and_saveexec_b64 s[36:37], vcc
	s_cbranch_execz .LBB6_16740
; %bb.16733:                            ;   in Loop: Header=BB6_13186 Depth=3
	v_bfe_u32 v5, v3, 23, 8
	v_cmp_gt_u32_e64 s[28:29], s47, v5
	v_sub_u32_e32 v3, 0x71, v5
	v_cmp_eq_u32_e32 vcc, 0, v5
	v_cndmask_b32_e64 v3, 0, v3, s[28:29]
	v_mov_b32_e32 v15, 0x70
	v_cndmask_b32_e32 v15, v3, v15, vcc
	v_add_u32_e32 v3, 21, v15
	v_or_b32_e32 v16, 0x800000, v1
	v_lshlrev_b64 v[37:38], v3, -1
	v_cndmask_b32_e32 v1, v16, v1, vcc
	v_add_u32_e32 v3, 20, v15
	v_mov_b32_e32 v17, v48
	v_bfi_b32 v37, v37, 0, v1
	v_lshlrev_b64 v[47:48], v3, 1
	v_lshrrev_b64 v[1:2], v15, v[1:2]
	v_bfi_b32 v38, v38, 0, 0
	v_cmp_eq_u64_e64 s[28:29], v[37:38], v[47:48]
	v_mov_b32_e32 v3, v2
	v_mov_b32_e32 v2, v1
	s_and_saveexec_b64 s[38:39], s[28:29]
; %bb.16734:                            ;   in Loop: Header=BB6_13186 Depth=3
	v_bfe_u32 v2, v1, 21, 1
	v_add_co_u32_e64 v2, s[28:29], v1, v2
	v_add_co_u32_e64 v2, s[28:29], -1, v2
; %bb.16735:                            ;   in Loop: Header=BB6_13186 Depth=3
	s_or_b64 exec, exec, s[38:39]
	v_add_u32_e32 v3, 0xffffff81, v5
	v_mov_b32_e32 v5, 0xffffff82
	v_cndmask_b32_e32 v3, v3, v5, vcc
	v_lshrrev_b32_e32 v5, 23, v1
	v_add3_u32 v15, v15, v3, v5
	v_add_u32_e32 v5, 14, v15
	v_and_b32_e32 v2, 0x1fffff, v2
	v_add_u32_e32 v1, v2, v1
	v_mov_b32_e32 v2, v33
	v_cmp_ne_u32_e32 vcc, 0, v5
                                        ; implicit-def: $vgpr3
	s_and_saveexec_b64 s[28:29], vcc
	s_xor_b64 s[28:29], exec, s[28:29]
; %bb.16736:                            ;   in Loop: Header=BB6_13186 Depth=3
	v_cmp_lt_u64_e32 vcc, s[88:89], v[1:2]
	v_add_u32_e32 v3, 15, v15
	v_cndmask_b32_e32 v3, v5, v3, vcc
	v_cndmask_b32_e64 v5, 0, 1, vcc
	v_lshrrev_b64 v[1:2], v5, v[1:2]
; %bb.16737:                            ;   in Loop: Header=BB6_13186 Depth=3
	s_or_saveexec_b64 s[28:29], s[28:29]
	v_mov_b32_e32 v48, v17
	s_xor_b64 exec, exec, s[28:29]
; %bb.16738:                            ;   in Loop: Header=BB6_13186 Depth=3
	v_bfe_u32 v3, v1, 23, 1
; %bb.16739:                            ;   in Loop: Header=BB6_13186 Depth=3
	s_or_b64 exec, exec, s[28:29]
	v_lshrrev_b64 v[1:2], 21, v[1:2]
	v_cmp_gt_i32_e32 vcc, 32, v3
	v_cndmask_b32_e32 v2, 0, v2, vcc
	v_cndmask_b32_e32 v1, 3, v1, vcc
	v_cmp_eq_u64_e64 s[28:29], 0, v[1:2]
	v_min_i32_e32 v2, 31, v3
	v_lshlrev_b32_e32 v2, 2, v2
	v_cmp_eq_u32_e32 vcc, 0, v3
	v_and_b32_e32 v2, 0xfc, v2
	v_and_or_b32 v1, v1, 3, v2
	s_and_b64 s[28:29], vcc, s[28:29]
	v_cndmask_b32_e64 v1, v1, 0, s[28:29]
	v_or_b32_e32 v15, v1, v32
.LBB6_16740:                            ;   in Loop: Header=BB6_13186 Depth=3
	s_or_b64 exec, exec, s[36:37]
                                        ; implicit-def: $vgpr32
.LBB6_16741:                            ;   in Loop: Header=BB6_13186 Depth=3
	s_andn2_saveexec_b64 s[28:29], s[34:35]
; %bb.16742:                            ;   in Loop: Header=BB6_13186 Depth=3
	v_or_b32_e32 v15, 0x7b, v32
; %bb.16743:                            ;   in Loop: Header=BB6_13186 Depth=3
	s_or_b64 exec, exec, s[28:29]
                                        ; implicit-def: $vgpr3
                                        ; implicit-def: $vgpr1_vgpr2
.LBB6_16744:                            ;   in Loop: Header=BB6_13186 Depth=3
	s_andn2_saveexec_b64 s[28:29], s[30:31]
	s_cbranch_execz .LBB6_16750
; %bb.16745:                            ;   in Loop: Header=BB6_13186 Depth=3
	v_cmp_ne_u64_e32 vcc, 0, v[1:2]
                                        ; implicit-def: $vgpr15
	s_and_saveexec_b64 s[62:63], vcc
	s_xor_b64 vcc, exec, s[62:63]
; %bb.16746:                            ;   in Loop: Header=BB6_13186 Depth=3
	v_or_b32_sdwa v15, v3, s44 dst_sel:DWORD dst_unused:UNUSED_PAD src0_sel:BYTE_3 src1_sel:DWORD
                                        ; implicit-def: $vgpr3
; %bb.16747:                            ;   in Loop: Header=BB6_13186 Depth=3
	s_andn2_saveexec_b64 s[30:31], vcc
; %bb.16748:                            ;   in Loop: Header=BB6_13186 Depth=3
	v_cmp_lt_i32_e32 vcc, -1, v3
	v_bfrev_b32_e32 v1, 0.5
	v_mov_b32_e32 v2, 0x7c
	v_cndmask_b32_e32 v15, v1, v2, vcc
; %bb.16749:                            ;   in Loop: Header=BB6_13186 Depth=3
	s_or_b64 exec, exec, s[30:31]
.LBB6_16750:                            ;   in Loop: Header=BB6_13186 Depth=3
	s_or_b64 exec, exec, s[28:29]
	v_lshrrev_b16_e32 v1, 8, v22
	v_cmp_ne_u16_e32 vcc, 0, v1
	v_mov_b32_e32 v3, 0
	v_mov_b32_e32 v5, 0
	s_and_saveexec_b64 s[28:29], vcc
	s_cbranch_execz .LBB6_16758
; %bb.16751:                            ;   in Loop: Header=BB6_13186 Depth=3
	v_cmp_ne_u16_e32 vcc, s97, v1
	v_bfrev_b32_e32 v5, 1
	s_and_saveexec_b64 s[30:31], vcc
	s_cbranch_execz .LBB6_16757
; %bb.16752:                            ;   in Loop: Header=BB6_13186 Depth=3
	v_and_b32_e32 v2, 0x7c, v1
	v_and_b32_e32 v23, 3, v1
	v_cmp_ne_u32_e32 vcc, s86, v2
                                        ; implicit-def: $vgpr5
	s_and_saveexec_b64 s[62:63], vcc
	s_xor_b64 s[34:35], exec, s[62:63]
	s_cbranch_execz .LBB6_16754
; %bb.16753:                            ;   in Loop: Header=BB6_13186 Depth=3
	v_ffbh_u32_e32 v16, v23
	v_min_u32_e32 v16, 32, v16
	v_mov_b32_e32 v2, v33
	v_subrev_u32_e32 v17, 29, v16
	v_bfe_u32 v5, v1, 2, 5
	v_lshlrev_b64 v[1:2], v17, v[1:2]
	v_sub_u32_e32 v2, 30, v16
	v_cmp_eq_u32_e32 vcc, 0, v5
	v_cndmask_b32_e32 v2, v5, v2, vcc
	v_lshlrev_b32_e32 v5, 16, v22
	v_and_b32_e32 v1, 3, v1
	v_and_b32_e32 v5, 0x80000000, v5
	v_cndmask_b32_e32 v1, v23, v1, vcc
	v_lshl_add_u32 v2, v2, 23, v5
	v_lshl_or_b32 v1, v1, 21, v2
	v_add_u32_e32 v5, 0x38000000, v1
                                        ; implicit-def: $vgpr23
                                        ; implicit-def: $vgpr22
.LBB6_16754:                            ;   in Loop: Header=BB6_13186 Depth=3
	s_andn2_saveexec_b64 s[34:35], s[34:35]
; %bb.16755:                            ;   in Loop: Header=BB6_13186 Depth=3
	v_cmp_lt_i16_e32 vcc, -1, v22
	v_mov_b32_e32 v1, 0xff800000
	v_mov_b32_e32 v2, 0x7f800000
	v_cndmask_b32_e32 v1, v1, v2, vcc
	v_cmp_eq_u32_e32 vcc, 0, v23
	v_mov_b32_e32 v2, 0x7f800001
	v_cndmask_b32_e32 v5, v2, v1, vcc
; %bb.16756:                            ;   in Loop: Header=BB6_13186 Depth=3
	s_or_b64 exec, exec, s[34:35]
.LBB6_16757:                            ;   in Loop: Header=BB6_13186 Depth=3
	s_or_b64 exec, exec, s[30:31]
.LBB6_16758:                            ;   in Loop: Header=BB6_13186 Depth=3
	s_or_b64 exec, exec, s[28:29]
	v_lshrrev_b16_e32 v1, 8, v8
	v_cmp_ne_u16_e32 vcc, 0, v1
	s_and_saveexec_b64 s[28:29], vcc
	s_cbranch_execz .LBB6_16766
; %bb.16759:                            ;   in Loop: Header=BB6_13186 Depth=3
	v_cmp_ne_u16_e32 vcc, s97, v1
	v_bfrev_b32_e32 v3, 1
	s_and_saveexec_b64 s[30:31], vcc
	s_cbranch_execz .LBB6_16765
; %bb.16760:                            ;   in Loop: Header=BB6_13186 Depth=3
	v_and_b32_e32 v2, 0x7c, v1
	v_and_b32_e32 v22, 3, v1
	v_cmp_ne_u32_e32 vcc, s86, v2
                                        ; implicit-def: $vgpr3
	s_and_saveexec_b64 s[62:63], vcc
	s_xor_b64 s[34:35], exec, s[62:63]
	s_cbranch_execz .LBB6_16762
; %bb.16761:                            ;   in Loop: Header=BB6_13186 Depth=3
	v_ffbh_u32_e32 v16, v22
	v_min_u32_e32 v16, 32, v16
	v_mov_b32_e32 v2, v33
	v_subrev_u32_e32 v17, 29, v16
	v_bfe_u32 v3, v1, 2, 5
	v_lshlrev_b64 v[1:2], v17, v[1:2]
	v_sub_u32_e32 v2, 30, v16
	v_cmp_eq_u32_e32 vcc, 0, v3
	v_cndmask_b32_e32 v2, v3, v2, vcc
	v_lshlrev_b32_e32 v3, 16, v8
	v_and_b32_e32 v1, 3, v1
	v_and_b32_e32 v3, 0x80000000, v3
	v_cndmask_b32_e32 v1, v22, v1, vcc
	v_lshl_add_u32 v2, v2, 23, v3
	v_lshl_or_b32 v1, v1, 21, v2
	v_add_u32_e32 v3, 0x38000000, v1
                                        ; implicit-def: $vgpr22
.LBB6_16762:                            ;   in Loop: Header=BB6_13186 Depth=3
	s_andn2_saveexec_b64 s[34:35], s[34:35]
; %bb.16763:                            ;   in Loop: Header=BB6_13186 Depth=3
	v_cmp_lt_i16_e32 vcc, -1, v8
	v_mov_b32_e32 v1, 0xff800000
	v_mov_b32_e32 v2, 0x7f800000
	v_cndmask_b32_e32 v1, v1, v2, vcc
	v_cmp_eq_u32_e32 vcc, 0, v22
	v_mov_b32_e32 v2, 0x7f800001
	v_cndmask_b32_e32 v3, v2, v1, vcc
; %bb.16764:                            ;   in Loop: Header=BB6_13186 Depth=3
	s_or_b64 exec, exec, s[34:35]
.LBB6_16765:                            ;   in Loop: Header=BB6_13186 Depth=3
	s_or_b64 exec, exec, s[30:31]
.LBB6_16766:                            ;   in Loop: Header=BB6_13186 Depth=3
	s_or_b64 exec, exec, s[28:29]
	v_add_f32_e32 v3, v5, v3
	v_and_b32_e32 v22, 0x7f800000, v3
	v_mov_b32_e32 v23, v33
	v_cmp_ne_u64_e32 vcc, s[76:77], v[22:23]
	v_and_b32_e32 v1, 0x7fffff, v3
	v_mov_b32_e32 v2, v33
                                        ; implicit-def: $vgpr37
	s_and_saveexec_b64 s[28:29], vcc
	s_xor_b64 s[30:31], exec, s[28:29]
	s_cbranch_execz .LBB6_16780
; %bb.16767:                            ;   in Loop: Header=BB6_13186 Depth=3
	v_and_b32_e32 v22, 0x7fffffff, v3
	v_mov_b32_e32 v23, v33
	v_cmp_gt_u64_e32 vcc, s[78:79], v[22:23]
	v_and_b32_sdwa v22, v3, s97 dst_sel:DWORD dst_unused:UNUSED_PAD src0_sel:BYTE_3 src1_sel:DWORD
                                        ; implicit-def: $vgpr37
	s_and_saveexec_b64 s[28:29], vcc
	s_xor_b64 s[34:35], exec, s[28:29]
	s_cbranch_execz .LBB6_16777
; %bb.16768:                            ;   in Loop: Header=BB6_13186 Depth=3
	v_mov_b32_e32 v37, 0
	v_cmp_ne_u32_e32 vcc, 0, v3
	s_and_saveexec_b64 s[36:37], vcc
	s_cbranch_execz .LBB6_16776
; %bb.16769:                            ;   in Loop: Header=BB6_13186 Depth=3
	v_bfe_u32 v5, v3, 23, 8
	v_cmp_gt_u32_e64 s[28:29], s47, v5
	v_sub_u32_e32 v3, 0x71, v5
	v_cmp_eq_u32_e32 vcc, 0, v5
	v_cndmask_b32_e64 v3, 0, v3, s[28:29]
	v_mov_b32_e32 v17, 0x70
	v_cndmask_b32_e32 v23, v3, v17, vcc
	v_add_u32_e32 v3, 21, v23
	v_or_b32_e32 v16, 0x800000, v1
	v_lshlrev_b64 v[31:32], v3, -1
	v_cndmask_b32_e32 v1, v16, v1, vcc
	v_add_u32_e32 v3, 20, v23
	v_bfi_b32 v31, v31, 0, v1
	v_lshlrev_b64 v[37:38], v3, 1
	v_lshrrev_b64 v[1:2], v23, v[1:2]
	v_bfi_b32 v32, v32, 0, 0
	v_cmp_eq_u64_e64 s[28:29], v[31:32], v[37:38]
	v_mov_b32_e32 v3, v2
	v_mov_b32_e32 v2, v1
	s_and_saveexec_b64 s[38:39], s[28:29]
; %bb.16770:                            ;   in Loop: Header=BB6_13186 Depth=3
	v_bfe_u32 v2, v1, 21, 1
	v_add_co_u32_e64 v2, s[28:29], v1, v2
	v_add_co_u32_e64 v2, s[28:29], -1, v2
; %bb.16771:                            ;   in Loop: Header=BB6_13186 Depth=3
	s_or_b64 exec, exec, s[38:39]
	v_add_u32_e32 v3, 0xffffff81, v5
	v_mov_b32_e32 v5, 0xffffff82
	v_cndmask_b32_e32 v3, v3, v5, vcc
	v_lshrrev_b32_e32 v5, 23, v1
	v_add3_u32 v23, v23, v3, v5
	v_add_u32_e32 v5, 14, v23
	v_and_b32_e32 v2, 0x1fffff, v2
	v_add_u32_e32 v1, v2, v1
	v_mov_b32_e32 v2, v33
	v_cmp_ne_u32_e32 vcc, 0, v5
                                        ; implicit-def: $vgpr3
	s_and_saveexec_b64 s[28:29], vcc
	s_xor_b64 s[28:29], exec, s[28:29]
; %bb.16772:                            ;   in Loop: Header=BB6_13186 Depth=3
	v_cmp_lt_u64_e32 vcc, s[88:89], v[1:2]
	v_add_u32_e32 v3, 15, v23
	v_cndmask_b32_e32 v3, v5, v3, vcc
	v_cndmask_b32_e64 v5, 0, 1, vcc
	v_lshrrev_b64 v[1:2], v5, v[1:2]
; %bb.16773:                            ;   in Loop: Header=BB6_13186 Depth=3
	s_andn2_saveexec_b64 s[28:29], s[28:29]
; %bb.16774:                            ;   in Loop: Header=BB6_13186 Depth=3
	v_bfe_u32 v3, v1, 23, 1
; %bb.16775:                            ;   in Loop: Header=BB6_13186 Depth=3
	s_or_b64 exec, exec, s[28:29]
	v_lshrrev_b64 v[1:2], 21, v[1:2]
	v_cmp_gt_i32_e32 vcc, 32, v3
	v_cndmask_b32_e32 v2, 0, v2, vcc
	v_cndmask_b32_e32 v1, 3, v1, vcc
	v_cmp_eq_u64_e64 s[28:29], 0, v[1:2]
	v_min_i32_e32 v2, 31, v3
	v_lshlrev_b32_e32 v2, 2, v2
	v_cmp_eq_u32_e32 vcc, 0, v3
	v_and_b32_e32 v2, 0xfc, v2
	v_and_or_b32 v1, v1, 3, v2
	s_and_b64 s[28:29], vcc, s[28:29]
	v_cndmask_b32_e64 v1, v1, 0, s[28:29]
	v_or_b32_e32 v37, v1, v22
.LBB6_16776:                            ;   in Loop: Header=BB6_13186 Depth=3
	s_or_b64 exec, exec, s[36:37]
                                        ; implicit-def: $vgpr22
.LBB6_16777:                            ;   in Loop: Header=BB6_13186 Depth=3
	s_andn2_saveexec_b64 s[28:29], s[34:35]
; %bb.16778:                            ;   in Loop: Header=BB6_13186 Depth=3
	v_or_b32_e32 v37, 0x7b, v22
; %bb.16779:                            ;   in Loop: Header=BB6_13186 Depth=3
	s_or_b64 exec, exec, s[28:29]
                                        ; implicit-def: $vgpr3
                                        ; implicit-def: $vgpr1_vgpr2
.LBB6_16780:                            ;   in Loop: Header=BB6_13186 Depth=3
	s_andn2_saveexec_b64 s[28:29], s[30:31]
	s_cbranch_execz .LBB6_16786
; %bb.16781:                            ;   in Loop: Header=BB6_13186 Depth=3
	v_cmp_ne_u64_e32 vcc, 0, v[1:2]
                                        ; implicit-def: $vgpr37
	s_and_saveexec_b64 s[62:63], vcc
	s_xor_b64 vcc, exec, s[62:63]
; %bb.16782:                            ;   in Loop: Header=BB6_13186 Depth=3
	v_or_b32_sdwa v37, v3, s44 dst_sel:DWORD dst_unused:UNUSED_PAD src0_sel:BYTE_3 src1_sel:DWORD
                                        ; implicit-def: $vgpr3
; %bb.16783:                            ;   in Loop: Header=BB6_13186 Depth=3
	s_andn2_saveexec_b64 s[30:31], vcc
; %bb.16784:                            ;   in Loop: Header=BB6_13186 Depth=3
	v_cmp_lt_i32_e32 vcc, -1, v3
	v_bfrev_b32_e32 v1, 0.5
	v_mov_b32_e32 v2, 0x7c
	v_cndmask_b32_e32 v37, v1, v2, vcc
; %bb.16785:                            ;   in Loop: Header=BB6_13186 Depth=3
	s_or_b64 exec, exec, s[30:31]
.LBB6_16786:                            ;   in Loop: Header=BB6_13186 Depth=3
	s_or_b64 exec, exec, s[28:29]
	v_and_b32_sdwa v5, v0, s96 dst_sel:DWORD dst_unused:UNUSED_PAD src0_sel:WORD_1 src1_sel:DWORD
	v_lshrrev_b32_e32 v1, 16, v0
	v_cmp_ne_u16_e32 vcc, 0, v5
	v_mov_b32_e32 v2, 0
	v_mov_b32_e32 v3, 0
	s_and_saveexec_b64 s[28:29], vcc
	s_cbranch_execz .LBB6_16794
; %bb.16787:                            ;   in Loop: Header=BB6_13186 Depth=3
	v_cmp_ne_u16_e32 vcc, s97, v5
	v_bfrev_b32_e32 v3, 1
	s_and_saveexec_b64 s[30:31], vcc
	s_cbranch_execz .LBB6_16793
; %bb.16788:                            ;   in Loop: Header=BB6_13186 Depth=3
	v_and_b32_e32 v3, 0x7c0000, v0
	v_bfe_u32 v5, v0, 16, 2
	v_cmp_ne_u32_e32 vcc, s45, v3
                                        ; implicit-def: $vgpr3
	s_and_saveexec_b64 s[62:63], vcc
	s_xor_b64 s[34:35], exec, s[62:63]
	s_cbranch_execz .LBB6_16790
; %bb.16789:                            ;   in Loop: Header=BB6_13186 Depth=3
	v_ffbh_u32_e32 v16, v5
	v_min_u32_e32 v16, 32, v16
	v_subrev_u32_e32 v17, 29, v16
	v_lshlrev_b64 v[22:23], v17, v[1:2]
	v_bfe_u32 v3, v0, 18, 5
	v_sub_u32_e32 v1, 30, v16
	v_and_b32_e32 v16, 3, v22
	v_cmp_eq_u32_e32 vcc, 0, v3
	v_cndmask_b32_e32 v1, v3, v1, vcc
	v_cndmask_b32_e32 v3, v5, v16, vcc
	v_lshlrev_b32_e32 v5, 8, v0
	v_and_b32_e32 v5, 0x80000000, v5
	v_lshl_add_u32 v1, v1, 23, v5
	v_lshl_or_b32 v1, v3, 21, v1
	v_add_u32_e32 v3, 0x38000000, v1
                                        ; implicit-def: $vgpr5
                                        ; implicit-def: $vgpr1
.LBB6_16790:                            ;   in Loop: Header=BB6_13186 Depth=3
	s_andn2_saveexec_b64 s[34:35], s[34:35]
; %bb.16791:                            ;   in Loop: Header=BB6_13186 Depth=3
	v_mov_b32_e32 v3, -1
	v_cmp_gt_i16_sdwa vcc, sext(v1), v3 src0_sel:BYTE_0 src1_sel:DWORD
	v_mov_b32_e32 v1, 0xff800000
	v_mov_b32_e32 v3, 0x7f800000
	v_cndmask_b32_e32 v1, v1, v3, vcc
	v_cmp_eq_u32_e32 vcc, 0, v5
	v_mov_b32_e32 v3, 0x7f800001
	v_cndmask_b32_e32 v3, v3, v1, vcc
; %bb.16792:                            ;   in Loop: Header=BB6_13186 Depth=3
	s_or_b64 exec, exec, s[34:35]
.LBB6_16793:                            ;   in Loop: Header=BB6_13186 Depth=3
	s_or_b64 exec, exec, s[30:31]
.LBB6_16794:                            ;   in Loop: Header=BB6_13186 Depth=3
	s_or_b64 exec, exec, s[28:29]
	v_lshrrev_b32_e32 v1, 16, v8
	v_cmp_ne_u16_sdwa s[62:63], v1, v33 src0_sel:BYTE_0 src1_sel:DWORD
	s_and_saveexec_b64 s[28:29], s[62:63]
	s_cbranch_execz .LBB6_16802
; %bb.16795:                            ;   in Loop: Header=BB6_13186 Depth=3
	v_cmp_ne_u16_sdwa s[62:63], v1, s97 src0_sel:BYTE_0 src1_sel:DWORD
	v_bfrev_b32_e32 v2, 1
	s_and_saveexec_b64 s[30:31], s[62:63]
	s_cbranch_execz .LBB6_16801
; %bb.16796:                            ;   in Loop: Header=BB6_13186 Depth=3
	v_and_b32_e32 v2, 0x7c0000, v8
	v_bfe_u32 v5, v8, 16, 2
	v_cmp_ne_u32_e32 vcc, s45, v2
                                        ; implicit-def: $vgpr2
	s_and_saveexec_b64 s[62:63], vcc
	s_xor_b64 s[34:35], exec, s[62:63]
	s_cbranch_execz .LBB6_16798
; %bb.16797:                            ;   in Loop: Header=BB6_13186 Depth=3
	v_ffbh_u32_e32 v2, v5
	v_min_u32_e32 v17, 32, v2
	v_subrev_u32_e32 v2, 29, v17
	v_lshlrev_b64 v[1:2], v2, v[1:2]
	v_bfe_u32 v16, v8, 18, 5
	v_and_b32_e32 v1, 3, v1
	v_cmp_eq_u32_e32 vcc, 0, v16
	v_sub_u32_e32 v2, 30, v17
	v_cndmask_b32_e32 v1, v5, v1, vcc
	v_lshlrev_b32_e32 v5, 8, v8
	v_cndmask_b32_e32 v2, v16, v2, vcc
	v_and_b32_e32 v5, 0x80000000, v5
	v_lshl_add_u32 v2, v2, 23, v5
	v_lshl_or_b32 v1, v1, 21, v2
	v_add_u32_e32 v2, 0x38000000, v1
                                        ; implicit-def: $vgpr5
                                        ; implicit-def: $vgpr1
.LBB6_16798:                            ;   in Loop: Header=BB6_13186 Depth=3
	s_andn2_saveexec_b64 s[34:35], s[34:35]
; %bb.16799:                            ;   in Loop: Header=BB6_13186 Depth=3
	v_mov_b32_e32 v2, -1
	v_cmp_gt_i16_sdwa vcc, sext(v1), v2 src0_sel:BYTE_0 src1_sel:DWORD
	v_mov_b32_e32 v1, 0xff800000
	v_mov_b32_e32 v2, 0x7f800000
	v_cndmask_b32_e32 v1, v1, v2, vcc
	v_cmp_eq_u32_e32 vcc, 0, v5
	v_mov_b32_e32 v2, 0x7f800001
	v_cndmask_b32_e32 v2, v2, v1, vcc
; %bb.16800:                            ;   in Loop: Header=BB6_13186 Depth=3
	s_or_b64 exec, exec, s[34:35]
.LBB6_16801:                            ;   in Loop: Header=BB6_13186 Depth=3
	s_or_b64 exec, exec, s[30:31]
.LBB6_16802:                            ;   in Loop: Header=BB6_13186 Depth=3
	s_or_b64 exec, exec, s[28:29]
	v_add_f32_e32 v3, v3, v2
	v_and_b32_e32 v22, 0x7f800000, v3
	v_mov_b32_e32 v23, v33
	v_cmp_ne_u64_e32 vcc, s[76:77], v[22:23]
	v_and_b32_e32 v1, 0x7fffff, v3
	v_mov_b32_e32 v2, v33
                                        ; implicit-def: $vgpr54
	s_and_saveexec_b64 s[28:29], vcc
	s_xor_b64 s[30:31], exec, s[28:29]
	s_cbranch_execz .LBB6_16816
; %bb.16803:                            ;   in Loop: Header=BB6_13186 Depth=3
	v_and_b32_e32 v22, 0x7fffffff, v3
	v_mov_b32_e32 v23, v33
	v_cmp_gt_u64_e32 vcc, s[78:79], v[22:23]
	v_and_b32_sdwa v22, v3, s97 dst_sel:DWORD dst_unused:UNUSED_PAD src0_sel:BYTE_3 src1_sel:DWORD
                                        ; implicit-def: $vgpr54
	s_and_saveexec_b64 s[28:29], vcc
	s_xor_b64 s[34:35], exec, s[28:29]
	s_cbranch_execz .LBB6_16813
; %bb.16804:                            ;   in Loop: Header=BB6_13186 Depth=3
	v_mov_b32_e32 v54, 0
	v_cmp_ne_u32_e32 vcc, 0, v3
	s_and_saveexec_b64 s[36:37], vcc
	s_cbranch_execz .LBB6_16812
; %bb.16805:                            ;   in Loop: Header=BB6_13186 Depth=3
	v_bfe_u32 v5, v3, 23, 8
	v_cmp_gt_u32_e64 s[28:29], s47, v5
	v_sub_u32_e32 v3, 0x71, v5
	v_cmp_eq_u32_e32 vcc, 0, v5
	v_cndmask_b32_e64 v3, 0, v3, s[28:29]
	v_mov_b32_e32 v17, 0x70
	v_cndmask_b32_e32 v23, v3, v17, vcc
	v_add_u32_e32 v3, 21, v23
	v_or_b32_e32 v16, 0x800000, v1
	v_lshlrev_b64 v[31:32], v3, -1
	v_cndmask_b32_e32 v1, v16, v1, vcc
	v_add_u32_e32 v3, 20, v23
	v_bfi_b32 v31, v31, 0, v1
	v_lshlrev_b64 v[38:39], v3, 1
	v_lshrrev_b64 v[1:2], v23, v[1:2]
	v_bfi_b32 v32, v32, 0, 0
	v_cmp_eq_u64_e64 s[28:29], v[31:32], v[38:39]
	v_mov_b32_e32 v3, v2
	v_mov_b32_e32 v2, v1
	s_and_saveexec_b64 s[38:39], s[28:29]
; %bb.16806:                            ;   in Loop: Header=BB6_13186 Depth=3
	v_bfe_u32 v2, v1, 21, 1
	v_add_co_u32_e64 v2, s[28:29], v1, v2
	v_add_co_u32_e64 v2, s[28:29], -1, v2
; %bb.16807:                            ;   in Loop: Header=BB6_13186 Depth=3
	s_or_b64 exec, exec, s[38:39]
	v_add_u32_e32 v3, 0xffffff81, v5
	v_mov_b32_e32 v5, 0xffffff82
	v_cndmask_b32_e32 v3, v3, v5, vcc
	v_lshrrev_b32_e32 v5, 23, v1
	v_add3_u32 v23, v23, v3, v5
	v_add_u32_e32 v5, 14, v23
	v_and_b32_e32 v2, 0x1fffff, v2
	v_add_u32_e32 v1, v2, v1
	v_mov_b32_e32 v2, v33
	v_cmp_ne_u32_e32 vcc, 0, v5
                                        ; implicit-def: $vgpr3
	s_and_saveexec_b64 s[28:29], vcc
	s_xor_b64 s[28:29], exec, s[28:29]
; %bb.16808:                            ;   in Loop: Header=BB6_13186 Depth=3
	v_cmp_lt_u64_e32 vcc, s[88:89], v[1:2]
	v_add_u32_e32 v3, 15, v23
	v_cndmask_b32_e32 v3, v5, v3, vcc
	v_cndmask_b32_e64 v5, 0, 1, vcc
	v_lshrrev_b64 v[1:2], v5, v[1:2]
; %bb.16809:                            ;   in Loop: Header=BB6_13186 Depth=3
	s_andn2_saveexec_b64 s[28:29], s[28:29]
; %bb.16810:                            ;   in Loop: Header=BB6_13186 Depth=3
	v_bfe_u32 v3, v1, 23, 1
; %bb.16811:                            ;   in Loop: Header=BB6_13186 Depth=3
	s_or_b64 exec, exec, s[28:29]
	v_lshrrev_b64 v[1:2], 21, v[1:2]
	v_cmp_gt_i32_e32 vcc, 32, v3
	v_cndmask_b32_e32 v2, 0, v2, vcc
	v_cndmask_b32_e32 v1, 3, v1, vcc
	v_cmp_eq_u64_e64 s[28:29], 0, v[1:2]
	v_min_i32_e32 v2, 31, v3
	v_lshlrev_b32_e32 v2, 2, v2
	v_cmp_eq_u32_e32 vcc, 0, v3
	v_and_b32_e32 v2, 0xfc, v2
	v_and_or_b32 v1, v1, 3, v2
	s_and_b64 s[28:29], vcc, s[28:29]
	v_cndmask_b32_e64 v1, v1, 0, s[28:29]
	v_or_b32_e32 v54, v1, v22
.LBB6_16812:                            ;   in Loop: Header=BB6_13186 Depth=3
	s_or_b64 exec, exec, s[36:37]
                                        ; implicit-def: $vgpr22
.LBB6_16813:                            ;   in Loop: Header=BB6_13186 Depth=3
	s_andn2_saveexec_b64 s[28:29], s[34:35]
; %bb.16814:                            ;   in Loop: Header=BB6_13186 Depth=3
	v_or_b32_e32 v54, 0x7b, v22
; %bb.16815:                            ;   in Loop: Header=BB6_13186 Depth=3
	s_or_b64 exec, exec, s[28:29]
                                        ; implicit-def: $vgpr3
                                        ; implicit-def: $vgpr1_vgpr2
.LBB6_16816:                            ;   in Loop: Header=BB6_13186 Depth=3
	s_andn2_saveexec_b64 s[28:29], s[30:31]
	s_cbranch_execz .LBB6_16822
; %bb.16817:                            ;   in Loop: Header=BB6_13186 Depth=3
	v_cmp_ne_u64_e32 vcc, 0, v[1:2]
                                        ; implicit-def: $vgpr54
	s_and_saveexec_b64 s[62:63], vcc
	s_xor_b64 vcc, exec, s[62:63]
; %bb.16818:                            ;   in Loop: Header=BB6_13186 Depth=3
	v_or_b32_sdwa v54, v3, s44 dst_sel:DWORD dst_unused:UNUSED_PAD src0_sel:BYTE_3 src1_sel:DWORD
                                        ; implicit-def: $vgpr3
; %bb.16819:                            ;   in Loop: Header=BB6_13186 Depth=3
	s_andn2_saveexec_b64 s[30:31], vcc
; %bb.16820:                            ;   in Loop: Header=BB6_13186 Depth=3
	v_cmp_lt_i32_e32 vcc, -1, v3
	v_bfrev_b32_e32 v1, 0.5
	v_mov_b32_e32 v2, 0x7c
	v_cndmask_b32_e32 v54, v1, v2, vcc
; %bb.16821:                            ;   in Loop: Header=BB6_13186 Depth=3
	s_or_b64 exec, exec, s[30:31]
.LBB6_16822:                            ;   in Loop: Header=BB6_13186 Depth=3
	s_or_b64 exec, exec, s[28:29]
	v_cmp_lt_u32_e32 vcc, s57, v0
	v_mov_b32_e32 v2, 0
	v_mov_b32_e32 v3, 0
	s_and_saveexec_b64 s[28:29], vcc
	s_cbranch_execz .LBB6_16830
; %bb.16823:                            ;   in Loop: Header=BB6_13186 Depth=3
	v_lshrrev_b32_e32 v1, 24, v0
	v_cmp_ne_u32_e32 vcc, s97, v1
	v_bfrev_b32_e32 v3, 1
	s_and_saveexec_b64 s[30:31], vcc
	s_cbranch_execz .LBB6_16829
; %bb.16824:                            ;   in Loop: Header=BB6_13186 Depth=3
	v_and_b32_e32 v3, 0x7c000000, v0
	v_bfe_u32 v5, v0, 24, 2
	v_cmp_ne_u32_e32 vcc, s68, v3
                                        ; implicit-def: $vgpr3
	s_and_saveexec_b64 s[62:63], vcc
	s_xor_b64 s[34:35], exec, s[62:63]
	s_cbranch_execz .LBB6_16826
; %bb.16825:                            ;   in Loop: Header=BB6_13186 Depth=3
	v_ffbh_u32_e32 v16, v5
	v_min_u32_e32 v16, 32, v16
	v_subrev_u32_e32 v17, 29, v16
	v_bfe_u32 v3, v0, 26, 5
	v_lshlrev_b64 v[22:23], v17, v[1:2]
	v_sub_u32_e32 v1, 30, v16
	v_cmp_eq_u32_e32 vcc, 0, v3
	v_and_b32_e32 v16, 3, v22
	v_cndmask_b32_e32 v1, v3, v1, vcc
	v_and_b32_e32 v0, 0x80000000, v0
	v_cndmask_b32_e32 v3, v5, v16, vcc
	v_lshl_add_u32 v0, v1, 23, v0
	v_lshl_or_b32 v0, v3, 21, v0
	v_add_u32_e32 v3, 0x38000000, v0
                                        ; implicit-def: $vgpr5
                                        ; implicit-def: $vgpr0_vgpr1
.LBB6_16826:                            ;   in Loop: Header=BB6_13186 Depth=3
	s_andn2_saveexec_b64 s[34:35], s[34:35]
; %bb.16827:                            ;   in Loop: Header=BB6_13186 Depth=3
	v_cmp_lt_i32_e32 vcc, -1, v0
	v_mov_b32_e32 v0, 0xff800000
	v_mov_b32_e32 v1, 0x7f800000
	v_cndmask_b32_e32 v0, v0, v1, vcc
	v_cmp_eq_u32_e32 vcc, 0, v5
	v_mov_b32_e32 v1, 0x7f800001
	v_cndmask_b32_e32 v3, v1, v0, vcc
; %bb.16828:                            ;   in Loop: Header=BB6_13186 Depth=3
	s_or_b64 exec, exec, s[34:35]
.LBB6_16829:                            ;   in Loop: Header=BB6_13186 Depth=3
	s_or_b64 exec, exec, s[30:31]
.LBB6_16830:                            ;   in Loop: Header=BB6_13186 Depth=3
	s_or_b64 exec, exec, s[28:29]
	v_cmp_lt_u32_e32 vcc, s57, v8
	s_and_saveexec_b64 s[28:29], vcc
	s_cbranch_execz .LBB6_16838
; %bb.16831:                            ;   in Loop: Header=BB6_13186 Depth=3
	v_lshrrev_b32_e32 v0, 24, v8
	v_cmp_ne_u32_e32 vcc, s97, v0
	v_bfrev_b32_e32 v2, 1
	s_and_saveexec_b64 s[30:31], vcc
	s_cbranch_execz .LBB6_16837
; %bb.16832:                            ;   in Loop: Header=BB6_13186 Depth=3
	v_and_b32_e32 v2, 0x7c000000, v8
	v_bfe_u32 v1, v8, 24, 2
	v_cmp_ne_u32_e32 vcc, s68, v2
                                        ; implicit-def: $vgpr2
	s_and_saveexec_b64 s[62:63], vcc
	s_xor_b64 s[34:35], exec, s[62:63]
	s_cbranch_execz .LBB6_16834
; %bb.16833:                            ;   in Loop: Header=BB6_13186 Depth=3
	v_ffbh_u32_e32 v5, v1
	v_min_u32_e32 v5, 32, v5
	v_subrev_u32_e32 v16, 29, v5
	v_bfe_u32 v2, v8, 26, 5
	v_lshlrev_b64 v[22:23], v16, v[0:1]
	v_sub_u32_e32 v0, 30, v5
	v_cmp_eq_u32_e32 vcc, 0, v2
	v_and_b32_e32 v5, 3, v22
	v_cndmask_b32_e32 v0, v2, v0, vcc
	v_and_b32_e32 v2, 0x80000000, v8
	v_cndmask_b32_e32 v1, v1, v5, vcc
	v_lshl_add_u32 v0, v0, 23, v2
	v_lshl_or_b32 v0, v1, 21, v0
	v_add_u32_e32 v2, 0x38000000, v0
                                        ; implicit-def: $vgpr1
.LBB6_16834:                            ;   in Loop: Header=BB6_13186 Depth=3
	s_andn2_saveexec_b64 s[34:35], s[34:35]
; %bb.16835:                            ;   in Loop: Header=BB6_13186 Depth=3
	v_cmp_lt_i32_e32 vcc, -1, v8
	v_mov_b32_e32 v0, 0xff800000
	v_mov_b32_e32 v2, 0x7f800000
	v_cndmask_b32_e32 v0, v0, v2, vcc
	v_cmp_eq_u32_e32 vcc, 0, v1
	v_mov_b32_e32 v1, 0x7f800001
	v_cndmask_b32_e32 v2, v1, v0, vcc
; %bb.16836:                            ;   in Loop: Header=BB6_13186 Depth=3
	s_or_b64 exec, exec, s[34:35]
.LBB6_16837:                            ;   in Loop: Header=BB6_13186 Depth=3
	s_or_b64 exec, exec, s[30:31]
.LBB6_16838:                            ;   in Loop: Header=BB6_13186 Depth=3
	s_or_b64 exec, exec, s[28:29]
	v_add_f32_e32 v2, v3, v2
	v_and_b32_e32 v22, 0x7f800000, v2
	v_mov_b32_e32 v23, v33
	v_cmp_ne_u64_e32 vcc, s[76:77], v[22:23]
	v_and_b32_e32 v0, 0x7fffff, v2
	v_mov_b32_e32 v1, v33
                                        ; implicit-def: $vgpr47
	s_and_saveexec_b64 s[28:29], vcc
	s_xor_b64 s[30:31], exec, s[28:29]
	s_cbranch_execz .LBB6_16852
; %bb.16839:                            ;   in Loop: Header=BB6_13186 Depth=3
	v_and_b32_e32 v22, 0x7fffffff, v2
	v_mov_b32_e32 v23, v33
	v_cmp_gt_u64_e32 vcc, s[78:79], v[22:23]
	v_and_b32_sdwa v3, v2, s97 dst_sel:DWORD dst_unused:UNUSED_PAD src0_sel:BYTE_3 src1_sel:DWORD
                                        ; implicit-def: $vgpr47
	s_and_saveexec_b64 s[28:29], vcc
	s_xor_b64 s[34:35], exec, s[28:29]
	s_cbranch_execz .LBB6_16849
; %bb.16840:                            ;   in Loop: Header=BB6_13186 Depth=3
	v_mov_b32_e32 v47, 0
	v_cmp_ne_u32_e32 vcc, 0, v2
	s_and_saveexec_b64 s[36:37], vcc
	s_cbranch_execz .LBB6_16848
; %bb.16841:                            ;   in Loop: Header=BB6_13186 Depth=3
	v_bfe_u32 v5, v2, 23, 8
	v_cmp_gt_u32_e64 s[28:29], s47, v5
	v_sub_u32_e32 v2, 0x71, v5
	v_cmp_eq_u32_e32 vcc, 0, v5
	v_cndmask_b32_e64 v2, 0, v2, s[28:29]
	v_mov_b32_e32 v17, 0x70
	v_cndmask_b32_e32 v22, v2, v17, vcc
	v_add_u32_e32 v2, 21, v22
	v_or_b32_e32 v16, 0x800000, v0
	v_lshlrev_b64 v[31:32], v2, -1
	v_cndmask_b32_e32 v0, v16, v0, vcc
	v_add_u32_e32 v2, 20, v22
	v_bfi_b32 v31, v31, 0, v0
	v_lshlrev_b64 v[38:39], v2, 1
	v_lshrrev_b64 v[0:1], v22, v[0:1]
	v_bfi_b32 v32, v32, 0, 0
	v_cmp_eq_u64_e64 s[28:29], v[31:32], v[38:39]
	v_mov_b32_e32 v2, v1
	v_mov_b32_e32 v1, v0
	s_and_saveexec_b64 s[38:39], s[28:29]
; %bb.16842:                            ;   in Loop: Header=BB6_13186 Depth=3
	v_bfe_u32 v1, v0, 21, 1
	v_add_co_u32_e64 v1, s[28:29], v0, v1
	v_add_co_u32_e64 v1, s[28:29], -1, v1
; %bb.16843:                            ;   in Loop: Header=BB6_13186 Depth=3
	s_or_b64 exec, exec, s[38:39]
	v_add_u32_e32 v2, 0xffffff81, v5
	v_mov_b32_e32 v5, 0xffffff82
	v_cndmask_b32_e32 v2, v2, v5, vcc
	v_lshrrev_b32_e32 v5, 23, v0
	v_add3_u32 v22, v22, v2, v5
	v_add_u32_e32 v5, 14, v22
	v_and_b32_e32 v1, 0x1fffff, v1
	v_add_u32_e32 v0, v1, v0
	v_mov_b32_e32 v1, v33
	v_cmp_ne_u32_e32 vcc, 0, v5
                                        ; implicit-def: $vgpr2
	s_and_saveexec_b64 s[28:29], vcc
	s_xor_b64 s[28:29], exec, s[28:29]
; %bb.16844:                            ;   in Loop: Header=BB6_13186 Depth=3
	v_cmp_lt_u64_e32 vcc, s[88:89], v[0:1]
	v_add_u32_e32 v2, 15, v22
	v_cndmask_b32_e32 v2, v5, v2, vcc
	v_cndmask_b32_e64 v5, 0, 1, vcc
	v_lshrrev_b64 v[0:1], v5, v[0:1]
; %bb.16845:                            ;   in Loop: Header=BB6_13186 Depth=3
	s_andn2_saveexec_b64 s[28:29], s[28:29]
; %bb.16846:                            ;   in Loop: Header=BB6_13186 Depth=3
	v_bfe_u32 v2, v0, 23, 1
; %bb.16847:                            ;   in Loop: Header=BB6_13186 Depth=3
	s_or_b64 exec, exec, s[28:29]
	v_lshrrev_b64 v[0:1], 21, v[0:1]
	v_cmp_gt_i32_e32 vcc, 32, v2
	v_cndmask_b32_e32 v1, 0, v1, vcc
	v_cndmask_b32_e32 v0, 3, v0, vcc
	v_cmp_eq_u64_e64 s[28:29], 0, v[0:1]
	v_min_i32_e32 v1, 31, v2
	v_lshlrev_b32_e32 v1, 2, v1
	v_cmp_eq_u32_e32 vcc, 0, v2
	v_and_b32_e32 v1, 0xfc, v1
	v_and_or_b32 v0, v0, 3, v1
	s_and_b64 s[28:29], vcc, s[28:29]
	v_cndmask_b32_e64 v0, v0, 0, s[28:29]
	v_or_b32_e32 v47, v0, v3
.LBB6_16848:                            ;   in Loop: Header=BB6_13186 Depth=3
	s_or_b64 exec, exec, s[36:37]
                                        ; implicit-def: $vgpr3
.LBB6_16849:                            ;   in Loop: Header=BB6_13186 Depth=3
	s_andn2_saveexec_b64 s[28:29], s[34:35]
; %bb.16850:                            ;   in Loop: Header=BB6_13186 Depth=3
	v_or_b32_e32 v47, 0x7b, v3
; %bb.16851:                            ;   in Loop: Header=BB6_13186 Depth=3
	s_or_b64 exec, exec, s[28:29]
                                        ; implicit-def: $vgpr2
                                        ; implicit-def: $vgpr0_vgpr1
.LBB6_16852:                            ;   in Loop: Header=BB6_13186 Depth=3
	s_andn2_saveexec_b64 s[28:29], s[30:31]
	s_cbranch_execz .LBB6_16858
; %bb.16853:                            ;   in Loop: Header=BB6_13186 Depth=3
	v_cmp_ne_u64_e32 vcc, 0, v[0:1]
                                        ; implicit-def: $vgpr47
	s_and_saveexec_b64 s[62:63], vcc
	s_xor_b64 vcc, exec, s[62:63]
; %bb.16854:                            ;   in Loop: Header=BB6_13186 Depth=3
	v_or_b32_sdwa v47, v2, s44 dst_sel:DWORD dst_unused:UNUSED_PAD src0_sel:BYTE_3 src1_sel:DWORD
                                        ; implicit-def: $vgpr2
; %bb.16855:                            ;   in Loop: Header=BB6_13186 Depth=3
	s_andn2_saveexec_b64 s[30:31], vcc
; %bb.16856:                            ;   in Loop: Header=BB6_13186 Depth=3
	v_cmp_lt_i32_e32 vcc, -1, v2
	v_bfrev_b32_e32 v0, 0.5
	v_mov_b32_e32 v1, 0x7c
	v_cndmask_b32_e32 v47, v0, v1, vcc
; %bb.16857:                            ;   in Loop: Header=BB6_13186 Depth=3
	s_or_b64 exec, exec, s[30:31]
.LBB6_16858:                            ;   in Loop: Header=BB6_13186 Depth=3
	s_or_b64 exec, exec, s[28:29]
	buffer_load_dword v0, off, s[0:3], s33 offset:172 ; 4-byte Folded Reload
	buffer_load_dword v1, off, s[0:3], s33 offset:196 ; 4-byte Folded Reload
	v_lshl_or_b32 v22, v59, 8, v34
	v_cmp_ne_u32_e32 vcc, 0, v34
	v_mov_b32_e32 v2, 0
	v_mov_b32_e32 v3, 0
	s_waitcnt vmcnt(1)
	v_lshlrev_b32_e32 v0, 16, v0
	s_waitcnt vmcnt(0)
	v_lshlrev_b32_e32 v1, 24, v1
	v_or3_b32 v0, v0, v1, v22
	v_mov_b32_e32 v1, v33
	s_and_saveexec_b64 s[30:31], vcc
	s_cbranch_execz .LBB6_16866
; %bb.16859:                            ;   in Loop: Header=BB6_13186 Depth=3
	v_cmp_ne_u32_e32 vcc, s97, v34
	v_bfrev_b32_e32 v3, 1
	s_and_saveexec_b64 s[34:35], vcc
	s_cbranch_execz .LBB6_16865
; %bb.16860:                            ;   in Loop: Header=BB6_13186 Depth=3
	v_and_b32_e32 v3, 0x7c, v34
	v_and_b32_e32 v5, 3, v34
	v_cmp_ne_u32_e32 vcc, s86, v3
                                        ; implicit-def: $vgpr3
	s_and_saveexec_b64 s[28:29], vcc
	s_xor_b64 s[28:29], exec, s[28:29]
	s_cbranch_execz .LBB6_16862
; %bb.16861:                            ;   in Loop: Header=BB6_13186 Depth=3
	v_ffbh_u32_e32 v16, v5
	v_min_u32_e32 v16, 32, v16
	v_subrev_u32_e32 v17, 29, v16
	v_lshlrev_b64 v[31:32], v17, v[0:1]
	v_bfe_u32 v3, v34, 2, 5
	v_sub_u32_e32 v1, 30, v16
	v_and_b32_e32 v16, 3, v31
	v_cmp_eq_u32_e32 vcc, 0, v3
	v_cndmask_b32_e32 v1, v3, v1, vcc
	v_cndmask_b32_e32 v3, v5, v16, vcc
	v_lshlrev_b32_e32 v5, 24, v34
	v_and_b32_e32 v5, 0x80000000, v5
	v_lshl_add_u32 v1, v1, 23, v5
	v_lshl_or_b32 v1, v3, 21, v1
	v_add_u32_e32 v3, 0x38000000, v1
                                        ; implicit-def: $vgpr5
                                        ; implicit-def: $vgpr34
.LBB6_16862:                            ;   in Loop: Header=BB6_13186 Depth=3
	s_andn2_saveexec_b64 s[36:37], s[28:29]
; %bb.16863:                            ;   in Loop: Header=BB6_13186 Depth=3
	v_and_b32_e32 v1, 0x80, v34
	v_cmp_eq_u32_e64 s[28:29], 0, v1
	v_mov_b32_e32 v1, 0xff800000
	v_mov_b32_e32 v3, 0x7f800000
	v_cmp_eq_u32_e32 vcc, 0, v5
	v_cndmask_b32_e64 v1, v1, v3, s[28:29]
	v_mov_b32_e32 v3, 0x7f800001
	v_cndmask_b32_e32 v3, v3, v1, vcc
; %bb.16864:                            ;   in Loop: Header=BB6_13186 Depth=3
	s_or_b64 exec, exec, s[36:37]
.LBB6_16865:                            ;   in Loop: Header=BB6_13186 Depth=3
	s_or_b64 exec, exec, s[34:35]
.LBB6_16866:                            ;   in Loop: Header=BB6_13186 Depth=3
	s_or_b64 exec, exec, s[30:31]
	v_cmp_ne_u16_sdwa s[62:63], v9, v33 src0_sel:BYTE_0 src1_sel:DWORD
	s_and_saveexec_b64 s[28:29], s[62:63]
	s_cbranch_execz .LBB6_16874
; %bb.16867:                            ;   in Loop: Header=BB6_13186 Depth=3
	v_cmp_ne_u16_sdwa s[62:63], v9, s97 src0_sel:BYTE_0 src1_sel:DWORD
	v_bfrev_b32_e32 v2, 1
	s_and_saveexec_b64 s[30:31], s[62:63]
	s_cbranch_execz .LBB6_16873
; %bb.16868:                            ;   in Loop: Header=BB6_13186 Depth=3
	v_and_b32_e32 v2, 0x7c, v9
	v_and_b32_e32 v1, 3, v9
	v_cmp_ne_u32_e32 vcc, s86, v2
                                        ; implicit-def: $vgpr2
	s_and_saveexec_b64 s[62:63], vcc
	s_xor_b64 s[34:35], exec, s[62:63]
	s_cbranch_execz .LBB6_16870
; %bb.16869:                            ;   in Loop: Header=BB6_13186 Depth=3
	v_ffbh_u32_e32 v5, v1
	v_min_u32_e32 v5, 32, v5
	v_mov_b32_e32 v31, v9
	v_mov_b32_e32 v32, v33
	v_bfe_u32 v2, v9, 2, 5
	v_subrev_u32_e32 v16, 29, v5
	v_lshlrev_b64 v[31:32], v16, v[31:32]
	v_sub_u32_e32 v5, 30, v5
	v_cmp_eq_u32_e32 vcc, 0, v2
	v_cndmask_b32_e32 v2, v2, v5, vcc
	v_lshlrev_b32_e32 v5, 24, v9
	v_and_b32_e32 v16, 3, v31
	v_and_b32_e32 v5, 0x80000000, v5
	v_cndmask_b32_e32 v1, v1, v16, vcc
	v_lshl_add_u32 v2, v2, 23, v5
	v_lshl_or_b32 v1, v1, 21, v2
	v_add_u32_e32 v2, 0x38000000, v1
                                        ; implicit-def: $vgpr1
.LBB6_16870:                            ;   in Loop: Header=BB6_13186 Depth=3
	s_andn2_saveexec_b64 s[34:35], s[34:35]
; %bb.16871:                            ;   in Loop: Header=BB6_13186 Depth=3
	v_mov_b32_e32 v2, -1
	v_cmp_gt_i16_sdwa vcc, sext(v9), v2 src0_sel:BYTE_0 src1_sel:DWORD
	v_mov_b32_e32 v2, 0xff800000
	v_mov_b32_e32 v5, 0x7f800000
	v_cndmask_b32_e32 v2, v2, v5, vcc
	v_cmp_eq_u32_e32 vcc, 0, v1
	v_mov_b32_e32 v1, 0x7f800001
	v_cndmask_b32_e32 v2, v1, v2, vcc
; %bb.16872:                            ;   in Loop: Header=BB6_13186 Depth=3
	s_or_b64 exec, exec, s[34:35]
.LBB6_16873:                            ;   in Loop: Header=BB6_13186 Depth=3
	s_or_b64 exec, exec, s[30:31]
.LBB6_16874:                            ;   in Loop: Header=BB6_13186 Depth=3
	s_or_b64 exec, exec, s[28:29]
	v_add_f32_e32 v3, v3, v2
	v_and_b32_e32 v31, 0x7f800000, v3
	v_mov_b32_e32 v32, v33
	v_cmp_ne_u64_e32 vcc, s[76:77], v[31:32]
	v_and_b32_e32 v1, 0x7fffff, v3
	v_mov_b32_e32 v2, v33
                                        ; implicit-def: $vgpr34
	s_and_saveexec_b64 s[28:29], vcc
	s_xor_b64 s[30:31], exec, s[28:29]
	s_cbranch_execz .LBB6_16888
; %bb.16875:                            ;   in Loop: Header=BB6_13186 Depth=3
	v_and_b32_e32 v31, 0x7fffffff, v3
	v_mov_b32_e32 v32, v33
	v_cmp_gt_u64_e32 vcc, s[78:79], v[31:32]
	v_and_b32_sdwa v32, v3, s97 dst_sel:DWORD dst_unused:UNUSED_PAD src0_sel:BYTE_3 src1_sel:DWORD
                                        ; implicit-def: $vgpr34
	s_and_saveexec_b64 s[28:29], vcc
	s_xor_b64 s[34:35], exec, s[28:29]
	s_cbranch_execz .LBB6_16885
; %bb.16876:                            ;   in Loop: Header=BB6_13186 Depth=3
	v_mov_b32_e32 v34, 0
	v_cmp_ne_u32_e32 vcc, 0, v3
	s_and_saveexec_b64 s[36:37], vcc
	s_cbranch_execz .LBB6_16884
; %bb.16877:                            ;   in Loop: Header=BB6_13186 Depth=3
	buffer_load_dword v5, off, s[0:3], s33 offset:84 ; 4-byte Folded Reload
	s_waitcnt vmcnt(0)
	v_bfe_u32 v5, v3, 23, 8
	v_cmp_gt_u32_e64 s[28:29], s47, v5
	v_sub_u32_e32 v3, 0x71, v5
	v_cmp_eq_u32_e32 vcc, 0, v5
	v_cndmask_b32_e64 v3, 0, v3, s[28:29]
	v_mov_b32_e32 v17, 0x70
	v_cndmask_b32_e32 v23, v3, v17, vcc
	v_add_u32_e32 v3, 21, v23
	v_or_b32_e32 v16, 0x800000, v1
	v_lshlrev_b64 v[38:39], v3, -1
	v_cndmask_b32_e32 v1, v16, v1, vcc
	v_add_u32_e32 v3, 20, v23
	v_bfi_b32 v38, v38, 0, v1
	v_lshlrev_b64 v[34:35], v3, 1
	v_lshrrev_b64 v[1:2], v23, v[1:2]
	v_bfi_b32 v39, v39, 0, 0
	v_cmp_eq_u64_e64 s[28:29], v[38:39], v[34:35]
	v_mov_b32_e32 v3, v2
	v_mov_b32_e32 v2, v1
	s_and_saveexec_b64 s[38:39], s[28:29]
; %bb.16878:                            ;   in Loop: Header=BB6_13186 Depth=3
	v_bfe_u32 v2, v1, 21, 1
	v_add_co_u32_e64 v2, s[28:29], v1, v2
	v_add_co_u32_e64 v2, s[28:29], -1, v2
; %bb.16879:                            ;   in Loop: Header=BB6_13186 Depth=3
	s_or_b64 exec, exec, s[38:39]
	v_add_u32_e32 v3, 0xffffff81, v5
	v_mov_b32_e32 v5, 0xffffff82
	v_cndmask_b32_e32 v3, v3, v5, vcc
	v_lshrrev_b32_e32 v5, 23, v1
	v_add3_u32 v23, v23, v3, v5
	v_add_u32_e32 v5, 14, v23
	v_and_b32_e32 v2, 0x1fffff, v2
	v_add_u32_e32 v1, v2, v1
	v_mov_b32_e32 v2, v33
	v_cmp_ne_u32_e32 vcc, 0, v5
                                        ; implicit-def: $vgpr3
	s_and_saveexec_b64 s[28:29], vcc
	s_xor_b64 s[28:29], exec, s[28:29]
; %bb.16880:                            ;   in Loop: Header=BB6_13186 Depth=3
	v_cmp_lt_u64_e32 vcc, s[88:89], v[1:2]
	v_add_u32_e32 v3, 15, v23
	v_cndmask_b32_e32 v3, v5, v3, vcc
	v_cndmask_b32_e64 v5, 0, 1, vcc
	v_lshrrev_b64 v[1:2], v5, v[1:2]
; %bb.16881:                            ;   in Loop: Header=BB6_13186 Depth=3
	s_andn2_saveexec_b64 s[28:29], s[28:29]
; %bb.16882:                            ;   in Loop: Header=BB6_13186 Depth=3
	v_bfe_u32 v3, v1, 23, 1
; %bb.16883:                            ;   in Loop: Header=BB6_13186 Depth=3
	s_or_b64 exec, exec, s[28:29]
	v_lshrrev_b64 v[1:2], 21, v[1:2]
	v_cmp_gt_i32_e32 vcc, 32, v3
	v_cndmask_b32_e32 v2, 0, v2, vcc
	v_cndmask_b32_e32 v1, 3, v1, vcc
	v_cmp_eq_u64_e64 s[28:29], 0, v[1:2]
	v_min_i32_e32 v2, 31, v3
	v_lshlrev_b32_e32 v2, 2, v2
	v_cmp_eq_u32_e32 vcc, 0, v3
	v_and_b32_e32 v2, 0xfc, v2
	v_and_or_b32 v1, v1, 3, v2
	s_and_b64 s[28:29], vcc, s[28:29]
	v_cndmask_b32_e64 v1, v1, 0, s[28:29]
	v_or_b32_e32 v34, v1, v32
.LBB6_16884:                            ;   in Loop: Header=BB6_13186 Depth=3
	s_or_b64 exec, exec, s[36:37]
                                        ; implicit-def: $vgpr32
.LBB6_16885:                            ;   in Loop: Header=BB6_13186 Depth=3
	s_andn2_saveexec_b64 s[28:29], s[34:35]
; %bb.16886:                            ;   in Loop: Header=BB6_13186 Depth=3
	v_or_b32_e32 v34, 0x7b, v32
; %bb.16887:                            ;   in Loop: Header=BB6_13186 Depth=3
	s_or_b64 exec, exec, s[28:29]
                                        ; implicit-def: $vgpr3
                                        ; implicit-def: $vgpr1_vgpr2
.LBB6_16888:                            ;   in Loop: Header=BB6_13186 Depth=3
	s_andn2_saveexec_b64 s[28:29], s[30:31]
	s_cbranch_execz .LBB6_16894
; %bb.16889:                            ;   in Loop: Header=BB6_13186 Depth=3
	v_cmp_ne_u64_e32 vcc, 0, v[1:2]
                                        ; implicit-def: $vgpr34
	s_and_saveexec_b64 s[62:63], vcc
	s_xor_b64 vcc, exec, s[62:63]
; %bb.16890:                            ;   in Loop: Header=BB6_13186 Depth=3
	v_or_b32_sdwa v34, v3, s44 dst_sel:DWORD dst_unused:UNUSED_PAD src0_sel:BYTE_3 src1_sel:DWORD
                                        ; implicit-def: $vgpr3
; %bb.16891:                            ;   in Loop: Header=BB6_13186 Depth=3
	s_andn2_saveexec_b64 s[30:31], vcc
; %bb.16892:                            ;   in Loop: Header=BB6_13186 Depth=3
	v_cmp_lt_i32_e32 vcc, -1, v3
	v_bfrev_b32_e32 v1, 0.5
	v_mov_b32_e32 v2, 0x7c
	v_cndmask_b32_e32 v34, v1, v2, vcc
; %bb.16893:                            ;   in Loop: Header=BB6_13186 Depth=3
	s_or_b64 exec, exec, s[30:31]
.LBB6_16894:                            ;   in Loop: Header=BB6_13186 Depth=3
	s_or_b64 exec, exec, s[28:29]
	v_lshrrev_b16_e32 v1, 8, v22
	v_cmp_ne_u16_e32 vcc, 0, v1
	v_mov_b32_e32 v3, 0
	v_mov_b32_e32 v5, 0
	s_and_saveexec_b64 s[28:29], vcc
	s_cbranch_execz .LBB6_16902
; %bb.16895:                            ;   in Loop: Header=BB6_13186 Depth=3
	v_cmp_ne_u16_e32 vcc, s97, v1
	v_bfrev_b32_e32 v5, 1
	s_and_saveexec_b64 s[30:31], vcc
	s_cbranch_execz .LBB6_16901
; %bb.16896:                            ;   in Loop: Header=BB6_13186 Depth=3
	v_and_b32_e32 v2, 0x7c, v1
	v_and_b32_e32 v23, 3, v1
	v_cmp_ne_u32_e32 vcc, s86, v2
                                        ; implicit-def: $vgpr5
	s_and_saveexec_b64 s[62:63], vcc
	s_xor_b64 s[34:35], exec, s[62:63]
	s_cbranch_execz .LBB6_16898
; %bb.16897:                            ;   in Loop: Header=BB6_13186 Depth=3
	v_ffbh_u32_e32 v16, v23
	v_min_u32_e32 v16, 32, v16
	v_mov_b32_e32 v2, v33
	v_subrev_u32_e32 v17, 29, v16
	v_bfe_u32 v5, v1, 2, 5
	v_lshlrev_b64 v[1:2], v17, v[1:2]
	v_sub_u32_e32 v2, 30, v16
	v_cmp_eq_u32_e32 vcc, 0, v5
	v_cndmask_b32_e32 v2, v5, v2, vcc
	v_lshlrev_b32_e32 v5, 16, v22
	v_and_b32_e32 v1, 3, v1
	v_and_b32_e32 v5, 0x80000000, v5
	v_cndmask_b32_e32 v1, v23, v1, vcc
	v_lshl_add_u32 v2, v2, 23, v5
	v_lshl_or_b32 v1, v1, 21, v2
	v_add_u32_e32 v5, 0x38000000, v1
                                        ; implicit-def: $vgpr23
                                        ; implicit-def: $vgpr22
.LBB6_16898:                            ;   in Loop: Header=BB6_13186 Depth=3
	s_andn2_saveexec_b64 s[34:35], s[34:35]
; %bb.16899:                            ;   in Loop: Header=BB6_13186 Depth=3
	v_cmp_lt_i16_e32 vcc, -1, v22
	v_mov_b32_e32 v1, 0xff800000
	v_mov_b32_e32 v2, 0x7f800000
	v_cndmask_b32_e32 v1, v1, v2, vcc
	v_cmp_eq_u32_e32 vcc, 0, v23
	v_mov_b32_e32 v2, 0x7f800001
	v_cndmask_b32_e32 v5, v2, v1, vcc
; %bb.16900:                            ;   in Loop: Header=BB6_13186 Depth=3
	s_or_b64 exec, exec, s[34:35]
.LBB6_16901:                            ;   in Loop: Header=BB6_13186 Depth=3
	s_or_b64 exec, exec, s[30:31]
.LBB6_16902:                            ;   in Loop: Header=BB6_13186 Depth=3
	s_or_b64 exec, exec, s[28:29]
	v_lshrrev_b16_e32 v1, 8, v9
	v_cmp_ne_u16_e32 vcc, 0, v1
	s_and_saveexec_b64 s[28:29], vcc
	s_cbranch_execz .LBB6_16910
; %bb.16903:                            ;   in Loop: Header=BB6_13186 Depth=3
	v_cmp_ne_u16_e32 vcc, s97, v1
	v_bfrev_b32_e32 v3, 1
	s_and_saveexec_b64 s[30:31], vcc
	s_cbranch_execz .LBB6_16909
; %bb.16904:                            ;   in Loop: Header=BB6_13186 Depth=3
	v_and_b32_e32 v2, 0x7c, v1
	v_and_b32_e32 v22, 3, v1
	v_cmp_ne_u32_e32 vcc, s86, v2
                                        ; implicit-def: $vgpr3
	s_and_saveexec_b64 s[62:63], vcc
	s_xor_b64 s[34:35], exec, s[62:63]
	s_cbranch_execz .LBB6_16906
; %bb.16905:                            ;   in Loop: Header=BB6_13186 Depth=3
	v_ffbh_u32_e32 v16, v22
	v_min_u32_e32 v16, 32, v16
	v_mov_b32_e32 v2, v33
	v_subrev_u32_e32 v17, 29, v16
	v_bfe_u32 v3, v1, 2, 5
	v_lshlrev_b64 v[1:2], v17, v[1:2]
	v_sub_u32_e32 v2, 30, v16
	v_cmp_eq_u32_e32 vcc, 0, v3
	v_cndmask_b32_e32 v2, v3, v2, vcc
	v_lshlrev_b32_e32 v3, 16, v9
	v_and_b32_e32 v1, 3, v1
	v_and_b32_e32 v3, 0x80000000, v3
	v_cndmask_b32_e32 v1, v22, v1, vcc
	v_lshl_add_u32 v2, v2, 23, v3
	v_lshl_or_b32 v1, v1, 21, v2
	v_add_u32_e32 v3, 0x38000000, v1
                                        ; implicit-def: $vgpr22
.LBB6_16906:                            ;   in Loop: Header=BB6_13186 Depth=3
	s_andn2_saveexec_b64 s[34:35], s[34:35]
; %bb.16907:                            ;   in Loop: Header=BB6_13186 Depth=3
	v_cmp_lt_i16_e32 vcc, -1, v9
	v_mov_b32_e32 v1, 0xff800000
	v_mov_b32_e32 v2, 0x7f800000
	v_cndmask_b32_e32 v1, v1, v2, vcc
	v_cmp_eq_u32_e32 vcc, 0, v22
	v_mov_b32_e32 v2, 0x7f800001
	v_cndmask_b32_e32 v3, v2, v1, vcc
; %bb.16908:                            ;   in Loop: Header=BB6_13186 Depth=3
	s_or_b64 exec, exec, s[34:35]
.LBB6_16909:                            ;   in Loop: Header=BB6_13186 Depth=3
	s_or_b64 exec, exec, s[30:31]
.LBB6_16910:                            ;   in Loop: Header=BB6_13186 Depth=3
	s_or_b64 exec, exec, s[28:29]
	v_add_f32_e32 v3, v5, v3
	v_and_b32_e32 v22, 0x7f800000, v3
	v_mov_b32_e32 v23, v33
	v_cmp_ne_u64_e32 vcc, s[76:77], v[22:23]
	v_and_b32_e32 v1, 0x7fffff, v3
	v_mov_b32_e32 v2, v33
                                        ; implicit-def: $vgpr59
	s_and_saveexec_b64 s[28:29], vcc
	s_xor_b64 s[30:31], exec, s[28:29]
	s_cbranch_execz .LBB6_16924
; %bb.16911:                            ;   in Loop: Header=BB6_13186 Depth=3
	v_and_b32_e32 v22, 0x7fffffff, v3
	v_mov_b32_e32 v23, v33
	v_cmp_gt_u64_e32 vcc, s[78:79], v[22:23]
	v_and_b32_sdwa v22, v3, s97 dst_sel:DWORD dst_unused:UNUSED_PAD src0_sel:BYTE_3 src1_sel:DWORD
                                        ; implicit-def: $vgpr59
	s_and_saveexec_b64 s[28:29], vcc
	s_xor_b64 s[34:35], exec, s[28:29]
	s_cbranch_execz .LBB6_16921
; %bb.16912:                            ;   in Loop: Header=BB6_13186 Depth=3
	v_mov_b32_e32 v59, 0
	v_cmp_ne_u32_e32 vcc, 0, v3
	s_and_saveexec_b64 s[36:37], vcc
	s_cbranch_execz .LBB6_16920
; %bb.16913:                            ;   in Loop: Header=BB6_13186 Depth=3
	v_bfe_u32 v5, v3, 23, 8
	v_cmp_gt_u32_e64 s[28:29], s47, v5
	v_sub_u32_e32 v3, 0x71, v5
	v_cmp_eq_u32_e32 vcc, 0, v5
	v_cndmask_b32_e64 v3, 0, v3, s[28:29]
	v_mov_b32_e32 v17, 0x70
	v_cndmask_b32_e32 v23, v3, v17, vcc
	v_add_u32_e32 v3, 21, v23
	v_or_b32_e32 v16, 0x800000, v1
	v_lshlrev_b64 v[31:32], v3, -1
	v_cndmask_b32_e32 v1, v16, v1, vcc
	v_add_u32_e32 v3, 20, v23
	v_bfi_b32 v31, v31, 0, v1
	v_lshlrev_b64 v[38:39], v3, 1
	v_lshrrev_b64 v[1:2], v23, v[1:2]
	v_bfi_b32 v32, v32, 0, 0
	v_cmp_eq_u64_e64 s[28:29], v[31:32], v[38:39]
	v_mov_b32_e32 v3, v2
	v_mov_b32_e32 v2, v1
	s_and_saveexec_b64 s[38:39], s[28:29]
; %bb.16914:                            ;   in Loop: Header=BB6_13186 Depth=3
	v_bfe_u32 v2, v1, 21, 1
	v_add_co_u32_e64 v2, s[28:29], v1, v2
	v_add_co_u32_e64 v2, s[28:29], -1, v2
; %bb.16915:                            ;   in Loop: Header=BB6_13186 Depth=3
	s_or_b64 exec, exec, s[38:39]
	v_add_u32_e32 v3, 0xffffff81, v5
	v_mov_b32_e32 v5, 0xffffff82
	v_cndmask_b32_e32 v3, v3, v5, vcc
	v_lshrrev_b32_e32 v5, 23, v1
	v_add3_u32 v23, v23, v3, v5
	v_add_u32_e32 v5, 14, v23
	v_and_b32_e32 v2, 0x1fffff, v2
	v_add_u32_e32 v1, v2, v1
	v_mov_b32_e32 v2, v33
	v_cmp_ne_u32_e32 vcc, 0, v5
                                        ; implicit-def: $vgpr3
	s_and_saveexec_b64 s[28:29], vcc
	s_xor_b64 s[28:29], exec, s[28:29]
; %bb.16916:                            ;   in Loop: Header=BB6_13186 Depth=3
	v_cmp_lt_u64_e32 vcc, s[88:89], v[1:2]
	v_add_u32_e32 v3, 15, v23
	v_cndmask_b32_e32 v3, v5, v3, vcc
	v_cndmask_b32_e64 v5, 0, 1, vcc
	v_lshrrev_b64 v[1:2], v5, v[1:2]
; %bb.16917:                            ;   in Loop: Header=BB6_13186 Depth=3
	s_andn2_saveexec_b64 s[28:29], s[28:29]
; %bb.16918:                            ;   in Loop: Header=BB6_13186 Depth=3
	v_bfe_u32 v3, v1, 23, 1
; %bb.16919:                            ;   in Loop: Header=BB6_13186 Depth=3
	s_or_b64 exec, exec, s[28:29]
	v_lshrrev_b64 v[1:2], 21, v[1:2]
	v_cmp_gt_i32_e32 vcc, 32, v3
	v_cndmask_b32_e32 v2, 0, v2, vcc
	v_cndmask_b32_e32 v1, 3, v1, vcc
	v_cmp_eq_u64_e64 s[28:29], 0, v[1:2]
	v_min_i32_e32 v2, 31, v3
	v_lshlrev_b32_e32 v2, 2, v2
	v_cmp_eq_u32_e32 vcc, 0, v3
	v_and_b32_e32 v2, 0xfc, v2
	v_and_or_b32 v1, v1, 3, v2
	s_and_b64 s[28:29], vcc, s[28:29]
	v_cndmask_b32_e64 v1, v1, 0, s[28:29]
	v_or_b32_e32 v59, v1, v22
.LBB6_16920:                            ;   in Loop: Header=BB6_13186 Depth=3
	s_or_b64 exec, exec, s[36:37]
                                        ; implicit-def: $vgpr22
.LBB6_16921:                            ;   in Loop: Header=BB6_13186 Depth=3
	s_andn2_saveexec_b64 s[28:29], s[34:35]
; %bb.16922:                            ;   in Loop: Header=BB6_13186 Depth=3
	v_or_b32_e32 v59, 0x7b, v22
; %bb.16923:                            ;   in Loop: Header=BB6_13186 Depth=3
	s_or_b64 exec, exec, s[28:29]
                                        ; implicit-def: $vgpr3
                                        ; implicit-def: $vgpr1_vgpr2
.LBB6_16924:                            ;   in Loop: Header=BB6_13186 Depth=3
	s_andn2_saveexec_b64 s[28:29], s[30:31]
	s_cbranch_execz .LBB6_16930
; %bb.16925:                            ;   in Loop: Header=BB6_13186 Depth=3
	v_cmp_ne_u64_e32 vcc, 0, v[1:2]
                                        ; implicit-def: $vgpr59
	s_and_saveexec_b64 s[62:63], vcc
	s_xor_b64 vcc, exec, s[62:63]
; %bb.16926:                            ;   in Loop: Header=BB6_13186 Depth=3
	v_or_b32_sdwa v59, v3, s44 dst_sel:DWORD dst_unused:UNUSED_PAD src0_sel:BYTE_3 src1_sel:DWORD
                                        ; implicit-def: $vgpr3
; %bb.16927:                            ;   in Loop: Header=BB6_13186 Depth=3
	s_andn2_saveexec_b64 s[30:31], vcc
; %bb.16928:                            ;   in Loop: Header=BB6_13186 Depth=3
	v_cmp_lt_i32_e32 vcc, -1, v3
	v_bfrev_b32_e32 v1, 0.5
	v_mov_b32_e32 v2, 0x7c
	v_cndmask_b32_e32 v59, v1, v2, vcc
; %bb.16929:                            ;   in Loop: Header=BB6_13186 Depth=3
	s_or_b64 exec, exec, s[30:31]
.LBB6_16930:                            ;   in Loop: Header=BB6_13186 Depth=3
	s_or_b64 exec, exec, s[28:29]
	v_and_b32_sdwa v5, v0, s96 dst_sel:DWORD dst_unused:UNUSED_PAD src0_sel:WORD_1 src1_sel:DWORD
	v_lshrrev_b32_e32 v1, 16, v0
	v_cmp_ne_u16_e32 vcc, 0, v5
	v_mov_b32_e32 v2, 0
	v_mov_b32_e32 v3, 0
	s_and_saveexec_b64 s[28:29], vcc
	s_cbranch_execz .LBB6_16938
; %bb.16931:                            ;   in Loop: Header=BB6_13186 Depth=3
	v_cmp_ne_u16_e32 vcc, s97, v5
	v_bfrev_b32_e32 v3, 1
	s_and_saveexec_b64 s[30:31], vcc
	s_cbranch_execz .LBB6_16937
; %bb.16932:                            ;   in Loop: Header=BB6_13186 Depth=3
	v_and_b32_e32 v3, 0x7c0000, v0
	v_bfe_u32 v5, v0, 16, 2
	v_cmp_ne_u32_e32 vcc, s45, v3
                                        ; implicit-def: $vgpr3
	s_and_saveexec_b64 s[62:63], vcc
	s_xor_b64 s[34:35], exec, s[62:63]
	s_cbranch_execz .LBB6_16934
; %bb.16933:                            ;   in Loop: Header=BB6_13186 Depth=3
	v_ffbh_u32_e32 v16, v5
	v_min_u32_e32 v16, 32, v16
	v_subrev_u32_e32 v17, 29, v16
	v_lshlrev_b64 v[22:23], v17, v[1:2]
	v_bfe_u32 v3, v0, 18, 5
	v_sub_u32_e32 v1, 30, v16
	v_and_b32_e32 v16, 3, v22
	v_cmp_eq_u32_e32 vcc, 0, v3
	v_cndmask_b32_e32 v1, v3, v1, vcc
	v_cndmask_b32_e32 v3, v5, v16, vcc
	v_lshlrev_b32_e32 v5, 8, v0
	v_and_b32_e32 v5, 0x80000000, v5
	v_lshl_add_u32 v1, v1, 23, v5
	v_lshl_or_b32 v1, v3, 21, v1
	v_add_u32_e32 v3, 0x38000000, v1
                                        ; implicit-def: $vgpr5
                                        ; implicit-def: $vgpr1
.LBB6_16934:                            ;   in Loop: Header=BB6_13186 Depth=3
	s_andn2_saveexec_b64 s[34:35], s[34:35]
; %bb.16935:                            ;   in Loop: Header=BB6_13186 Depth=3
	v_mov_b32_e32 v3, -1
	v_cmp_gt_i16_sdwa vcc, sext(v1), v3 src0_sel:BYTE_0 src1_sel:DWORD
	v_mov_b32_e32 v1, 0xff800000
	v_mov_b32_e32 v3, 0x7f800000
	v_cndmask_b32_e32 v1, v1, v3, vcc
	v_cmp_eq_u32_e32 vcc, 0, v5
	v_mov_b32_e32 v3, 0x7f800001
	v_cndmask_b32_e32 v3, v3, v1, vcc
; %bb.16936:                            ;   in Loop: Header=BB6_13186 Depth=3
	s_or_b64 exec, exec, s[34:35]
.LBB6_16937:                            ;   in Loop: Header=BB6_13186 Depth=3
	s_or_b64 exec, exec, s[30:31]
.LBB6_16938:                            ;   in Loop: Header=BB6_13186 Depth=3
	s_or_b64 exec, exec, s[28:29]
	v_lshrrev_b32_e32 v1, 16, v9
	v_cmp_ne_u16_sdwa s[62:63], v1, v33 src0_sel:BYTE_0 src1_sel:DWORD
	s_and_saveexec_b64 s[28:29], s[62:63]
	s_cbranch_execz .LBB6_16946
; %bb.16939:                            ;   in Loop: Header=BB6_13186 Depth=3
	v_cmp_ne_u16_sdwa s[62:63], v1, s97 src0_sel:BYTE_0 src1_sel:DWORD
	v_bfrev_b32_e32 v2, 1
	s_and_saveexec_b64 s[30:31], s[62:63]
	s_cbranch_execz .LBB6_16945
; %bb.16940:                            ;   in Loop: Header=BB6_13186 Depth=3
	v_and_b32_e32 v2, 0x7c0000, v9
	v_bfe_u32 v5, v9, 16, 2
	v_cmp_ne_u32_e32 vcc, s45, v2
                                        ; implicit-def: $vgpr2
	s_and_saveexec_b64 s[62:63], vcc
	s_xor_b64 s[34:35], exec, s[62:63]
	s_cbranch_execz .LBB6_16942
; %bb.16941:                            ;   in Loop: Header=BB6_13186 Depth=3
	v_ffbh_u32_e32 v2, v5
	v_min_u32_e32 v17, 32, v2
	v_subrev_u32_e32 v2, 29, v17
	v_lshlrev_b64 v[1:2], v2, v[1:2]
	v_bfe_u32 v16, v9, 18, 5
	v_and_b32_e32 v1, 3, v1
	v_cmp_eq_u32_e32 vcc, 0, v16
	v_sub_u32_e32 v2, 30, v17
	v_cndmask_b32_e32 v1, v5, v1, vcc
	v_lshlrev_b32_e32 v5, 8, v9
	v_cndmask_b32_e32 v2, v16, v2, vcc
	v_and_b32_e32 v5, 0x80000000, v5
	v_lshl_add_u32 v2, v2, 23, v5
	v_lshl_or_b32 v1, v1, 21, v2
	v_add_u32_e32 v2, 0x38000000, v1
                                        ; implicit-def: $vgpr5
                                        ; implicit-def: $vgpr1
.LBB6_16942:                            ;   in Loop: Header=BB6_13186 Depth=3
	s_andn2_saveexec_b64 s[34:35], s[34:35]
; %bb.16943:                            ;   in Loop: Header=BB6_13186 Depth=3
	v_mov_b32_e32 v2, -1
	v_cmp_gt_i16_sdwa vcc, sext(v1), v2 src0_sel:BYTE_0 src1_sel:DWORD
	v_mov_b32_e32 v1, 0xff800000
	v_mov_b32_e32 v2, 0x7f800000
	v_cndmask_b32_e32 v1, v1, v2, vcc
	v_cmp_eq_u32_e32 vcc, 0, v5
	v_mov_b32_e32 v2, 0x7f800001
	v_cndmask_b32_e32 v2, v2, v1, vcc
; %bb.16944:                            ;   in Loop: Header=BB6_13186 Depth=3
	s_or_b64 exec, exec, s[34:35]
.LBB6_16945:                            ;   in Loop: Header=BB6_13186 Depth=3
	s_or_b64 exec, exec, s[30:31]
.LBB6_16946:                            ;   in Loop: Header=BB6_13186 Depth=3
	s_or_b64 exec, exec, s[28:29]
	v_add_f32_e32 v3, v3, v2
	v_and_b32_e32 v22, 0x7f800000, v3
	v_mov_b32_e32 v23, v33
	v_cmp_ne_u64_e32 vcc, s[76:77], v[22:23]
	v_and_b32_e32 v1, 0x7fffff, v3
	v_mov_b32_e32 v2, v33
                                        ; implicit-def: $vgpr32
	s_and_saveexec_b64 s[28:29], vcc
	s_xor_b64 s[30:31], exec, s[28:29]
	s_cbranch_execz .LBB6_16960
; %bb.16947:                            ;   in Loop: Header=BB6_13186 Depth=3
	v_and_b32_e32 v22, 0x7fffffff, v3
	v_mov_b32_e32 v23, v33
	v_cmp_gt_u64_e32 vcc, s[78:79], v[22:23]
	v_and_b32_sdwa v22, v3, s97 dst_sel:DWORD dst_unused:UNUSED_PAD src0_sel:BYTE_3 src1_sel:DWORD
                                        ; implicit-def: $vgpr32
	s_and_saveexec_b64 s[28:29], vcc
	s_xor_b64 s[34:35], exec, s[28:29]
	s_cbranch_execz .LBB6_16957
; %bb.16948:                            ;   in Loop: Header=BB6_13186 Depth=3
	v_mov_b32_e32 v32, 0
	v_cmp_ne_u32_e32 vcc, 0, v3
	s_and_saveexec_b64 s[36:37], vcc
	s_cbranch_execz .LBB6_16956
; %bb.16949:                            ;   in Loop: Header=BB6_13186 Depth=3
	v_bfe_u32 v5, v3, 23, 8
	v_cmp_gt_u32_e64 s[28:29], s47, v5
	v_sub_u32_e32 v3, 0x71, v5
	v_cmp_eq_u32_e32 vcc, 0, v5
	v_cndmask_b32_e64 v3, 0, v3, s[28:29]
	v_mov_b32_e32 v17, 0x70
	v_cndmask_b32_e32 v23, v3, v17, vcc
	v_add_u32_e32 v3, 21, v23
	v_or_b32_e32 v16, 0x800000, v1
	v_lshlrev_b64 v[31:32], v3, -1
	v_cndmask_b32_e32 v1, v16, v1, vcc
	v_add_u32_e32 v3, 20, v23
	v_bfi_b32 v31, v31, 0, v1
	v_lshlrev_b64 v[38:39], v3, 1
	v_lshrrev_b64 v[1:2], v23, v[1:2]
	v_bfi_b32 v32, v32, 0, 0
	v_cmp_eq_u64_e64 s[28:29], v[31:32], v[38:39]
	v_mov_b32_e32 v3, v2
	v_mov_b32_e32 v2, v1
	s_and_saveexec_b64 s[38:39], s[28:29]
; %bb.16950:                            ;   in Loop: Header=BB6_13186 Depth=3
	v_bfe_u32 v2, v1, 21, 1
	v_add_co_u32_e64 v2, s[28:29], v1, v2
	v_add_co_u32_e64 v2, s[28:29], -1, v2
; %bb.16951:                            ;   in Loop: Header=BB6_13186 Depth=3
	s_or_b64 exec, exec, s[38:39]
	v_add_u32_e32 v3, 0xffffff81, v5
	v_mov_b32_e32 v5, 0xffffff82
	v_cndmask_b32_e32 v3, v3, v5, vcc
	v_lshrrev_b32_e32 v5, 23, v1
	v_add3_u32 v23, v23, v3, v5
	v_add_u32_e32 v5, 14, v23
	v_and_b32_e32 v2, 0x1fffff, v2
	v_add_u32_e32 v1, v2, v1
	v_mov_b32_e32 v2, v33
	v_cmp_ne_u32_e32 vcc, 0, v5
                                        ; implicit-def: $vgpr3
	s_and_saveexec_b64 s[28:29], vcc
	s_xor_b64 s[28:29], exec, s[28:29]
; %bb.16952:                            ;   in Loop: Header=BB6_13186 Depth=3
	v_cmp_lt_u64_e32 vcc, s[88:89], v[1:2]
	v_add_u32_e32 v3, 15, v23
	v_cndmask_b32_e32 v3, v5, v3, vcc
	v_cndmask_b32_e64 v5, 0, 1, vcc
	v_lshrrev_b64 v[1:2], v5, v[1:2]
; %bb.16953:                            ;   in Loop: Header=BB6_13186 Depth=3
	s_andn2_saveexec_b64 s[28:29], s[28:29]
; %bb.16954:                            ;   in Loop: Header=BB6_13186 Depth=3
	v_bfe_u32 v3, v1, 23, 1
; %bb.16955:                            ;   in Loop: Header=BB6_13186 Depth=3
	s_or_b64 exec, exec, s[28:29]
	v_lshrrev_b64 v[1:2], 21, v[1:2]
	v_cmp_gt_i32_e32 vcc, 32, v3
	v_cndmask_b32_e32 v2, 0, v2, vcc
	v_cndmask_b32_e32 v1, 3, v1, vcc
	v_cmp_eq_u64_e64 s[28:29], 0, v[1:2]
	v_min_i32_e32 v2, 31, v3
	v_lshlrev_b32_e32 v2, 2, v2
	v_cmp_eq_u32_e32 vcc, 0, v3
	v_and_b32_e32 v2, 0xfc, v2
	v_and_or_b32 v1, v1, 3, v2
	s_and_b64 s[28:29], vcc, s[28:29]
	v_cndmask_b32_e64 v1, v1, 0, s[28:29]
	v_or_b32_e32 v32, v1, v22
.LBB6_16956:                            ;   in Loop: Header=BB6_13186 Depth=3
	s_or_b64 exec, exec, s[36:37]
                                        ; implicit-def: $vgpr22
.LBB6_16957:                            ;   in Loop: Header=BB6_13186 Depth=3
	s_andn2_saveexec_b64 s[28:29], s[34:35]
; %bb.16958:                            ;   in Loop: Header=BB6_13186 Depth=3
	v_or_b32_e32 v32, 0x7b, v22
; %bb.16959:                            ;   in Loop: Header=BB6_13186 Depth=3
	s_or_b64 exec, exec, s[28:29]
                                        ; implicit-def: $vgpr3
                                        ; implicit-def: $vgpr1_vgpr2
.LBB6_16960:                            ;   in Loop: Header=BB6_13186 Depth=3
	s_andn2_saveexec_b64 s[28:29], s[30:31]
	s_cbranch_execz .LBB6_16966
; %bb.16961:                            ;   in Loop: Header=BB6_13186 Depth=3
	v_cmp_ne_u64_e32 vcc, 0, v[1:2]
                                        ; implicit-def: $vgpr32
	s_and_saveexec_b64 s[62:63], vcc
	s_xor_b64 vcc, exec, s[62:63]
; %bb.16962:                            ;   in Loop: Header=BB6_13186 Depth=3
	v_or_b32_sdwa v32, v3, s44 dst_sel:DWORD dst_unused:UNUSED_PAD src0_sel:BYTE_3 src1_sel:DWORD
                                        ; implicit-def: $vgpr3
; %bb.16963:                            ;   in Loop: Header=BB6_13186 Depth=3
	s_andn2_saveexec_b64 s[30:31], vcc
; %bb.16964:                            ;   in Loop: Header=BB6_13186 Depth=3
	v_cmp_lt_i32_e32 vcc, -1, v3
	v_bfrev_b32_e32 v1, 0.5
	v_mov_b32_e32 v2, 0x7c
	v_cndmask_b32_e32 v32, v1, v2, vcc
; %bb.16965:                            ;   in Loop: Header=BB6_13186 Depth=3
	s_or_b64 exec, exec, s[30:31]
.LBB6_16966:                            ;   in Loop: Header=BB6_13186 Depth=3
	s_or_b64 exec, exec, s[28:29]
	v_cmp_lt_u32_e32 vcc, s57, v0
	v_mov_b32_e32 v2, 0
	v_mov_b32_e32 v3, 0
	s_and_saveexec_b64 s[28:29], vcc
	s_cbranch_execz .LBB6_16974
; %bb.16967:                            ;   in Loop: Header=BB6_13186 Depth=3
	v_lshrrev_b32_e32 v1, 24, v0
	v_cmp_ne_u32_e32 vcc, s97, v1
	v_bfrev_b32_e32 v3, 1
	s_and_saveexec_b64 s[30:31], vcc
	s_cbranch_execz .LBB6_16973
; %bb.16968:                            ;   in Loop: Header=BB6_13186 Depth=3
	v_and_b32_e32 v3, 0x7c000000, v0
	v_bfe_u32 v5, v0, 24, 2
	v_cmp_ne_u32_e32 vcc, s68, v3
                                        ; implicit-def: $vgpr3
	s_and_saveexec_b64 s[62:63], vcc
	s_xor_b64 s[34:35], exec, s[62:63]
	s_cbranch_execz .LBB6_16970
; %bb.16969:                            ;   in Loop: Header=BB6_13186 Depth=3
	v_ffbh_u32_e32 v16, v5
	v_min_u32_e32 v16, 32, v16
	v_subrev_u32_e32 v17, 29, v16
	v_bfe_u32 v3, v0, 26, 5
	v_lshlrev_b64 v[22:23], v17, v[1:2]
	v_sub_u32_e32 v1, 30, v16
	v_cmp_eq_u32_e32 vcc, 0, v3
	v_and_b32_e32 v16, 3, v22
	v_cndmask_b32_e32 v1, v3, v1, vcc
	v_and_b32_e32 v0, 0x80000000, v0
	v_cndmask_b32_e32 v3, v5, v16, vcc
	v_lshl_add_u32 v0, v1, 23, v0
	v_lshl_or_b32 v0, v3, 21, v0
	v_add_u32_e32 v3, 0x38000000, v0
                                        ; implicit-def: $vgpr5
                                        ; implicit-def: $vgpr0_vgpr1
.LBB6_16970:                            ;   in Loop: Header=BB6_13186 Depth=3
	s_andn2_saveexec_b64 s[34:35], s[34:35]
; %bb.16971:                            ;   in Loop: Header=BB6_13186 Depth=3
	v_cmp_lt_i32_e32 vcc, -1, v0
	v_mov_b32_e32 v0, 0xff800000
	v_mov_b32_e32 v1, 0x7f800000
	v_cndmask_b32_e32 v0, v0, v1, vcc
	v_cmp_eq_u32_e32 vcc, 0, v5
	v_mov_b32_e32 v1, 0x7f800001
	v_cndmask_b32_e32 v3, v1, v0, vcc
; %bb.16972:                            ;   in Loop: Header=BB6_13186 Depth=3
	s_or_b64 exec, exec, s[34:35]
.LBB6_16973:                            ;   in Loop: Header=BB6_13186 Depth=3
	s_or_b64 exec, exec, s[30:31]
.LBB6_16974:                            ;   in Loop: Header=BB6_13186 Depth=3
	s_or_b64 exec, exec, s[28:29]
	v_cmp_lt_u64_e32 vcc, s[56:57], v[8:9]
	s_and_saveexec_b64 s[28:29], vcc
	s_cbranch_execz .LBB6_16982
; %bb.16975:                            ;   in Loop: Header=BB6_13186 Depth=3
	v_lshrrev_b32_e32 v0, 24, v9
	v_cmp_ne_u32_e32 vcc, s97, v0
	v_bfrev_b32_e32 v2, 1
	s_and_saveexec_b64 s[30:31], vcc
	s_cbranch_execz .LBB6_16981
; %bb.16976:                            ;   in Loop: Header=BB6_13186 Depth=3
	v_and_b32_e32 v2, 0x7c000000, v9
	v_bfe_u32 v1, v9, 24, 2
	v_cmp_ne_u32_e32 vcc, s68, v2
                                        ; implicit-def: $vgpr2
	s_and_saveexec_b64 s[62:63], vcc
	s_xor_b64 s[34:35], exec, s[62:63]
	s_cbranch_execz .LBB6_16978
; %bb.16977:                            ;   in Loop: Header=BB6_13186 Depth=3
	v_ffbh_u32_e32 v5, v1
	v_min_u32_e32 v5, 32, v5
	v_subrev_u32_e32 v16, 29, v5
	v_bfe_u32 v2, v9, 26, 5
	v_lshlrev_b64 v[22:23], v16, v[0:1]
	v_sub_u32_e32 v0, 30, v5
	v_cmp_eq_u32_e32 vcc, 0, v2
	v_and_b32_e32 v5, 3, v22
	v_cndmask_b32_e32 v0, v2, v0, vcc
	v_and_b32_e32 v2, 0x80000000, v9
	v_cndmask_b32_e32 v1, v1, v5, vcc
	v_lshl_add_u32 v0, v0, 23, v2
	v_lshl_or_b32 v0, v1, 21, v0
	v_add_u32_e32 v2, 0x38000000, v0
                                        ; implicit-def: $vgpr1
.LBB6_16978:                            ;   in Loop: Header=BB6_13186 Depth=3
	s_andn2_saveexec_b64 s[34:35], s[34:35]
; %bb.16979:                            ;   in Loop: Header=BB6_13186 Depth=3
	v_cmp_lt_i64_e32 vcc, -1, v[8:9]
	v_mov_b32_e32 v0, 0xff800000
	v_mov_b32_e32 v2, 0x7f800000
	v_cndmask_b32_e32 v0, v0, v2, vcc
	v_cmp_eq_u32_e32 vcc, 0, v1
	v_mov_b32_e32 v1, 0x7f800001
	v_cndmask_b32_e32 v2, v1, v0, vcc
; %bb.16980:                            ;   in Loop: Header=BB6_13186 Depth=3
	s_or_b64 exec, exec, s[34:35]
.LBB6_16981:                            ;   in Loop: Header=BB6_13186 Depth=3
	s_or_b64 exec, exec, s[30:31]
.LBB6_16982:                            ;   in Loop: Header=BB6_13186 Depth=3
	s_or_b64 exec, exec, s[28:29]
	v_add_f32_e32 v2, v3, v2
	v_and_b32_e32 v8, 0x7f800000, v2
	v_mov_b32_e32 v9, v33
	v_cmp_ne_u64_e32 vcc, s[76:77], v[8:9]
	v_and_b32_e32 v0, 0x7fffff, v2
	v_mov_b32_e32 v1, v33
                                        ; implicit-def: $vgpr8
	s_and_saveexec_b64 s[28:29], vcc
	s_xor_b64 s[30:31], exec, s[28:29]
	s_cbranch_execz .LBB6_16996
; %bb.16983:                            ;   in Loop: Header=BB6_13186 Depth=3
	v_and_b32_e32 v8, 0x7fffffff, v2
	v_mov_b32_e32 v9, v33
	v_cmp_gt_u64_e32 vcc, s[78:79], v[8:9]
	v_and_b32_sdwa v3, v2, s97 dst_sel:DWORD dst_unused:UNUSED_PAD src0_sel:BYTE_3 src1_sel:DWORD
                                        ; implicit-def: $vgpr8
	s_and_saveexec_b64 s[28:29], vcc
	s_xor_b64 s[34:35], exec, s[28:29]
	s_cbranch_execz .LBB6_16993
; %bb.16984:                            ;   in Loop: Header=BB6_13186 Depth=3
	v_mov_b32_e32 v8, 0
	v_cmp_ne_u32_e32 vcc, 0, v2
	s_and_saveexec_b64 s[36:37], vcc
	s_cbranch_execz .LBB6_16992
; %bb.16985:                            ;   in Loop: Header=BB6_13186 Depth=3
	v_bfe_u32 v5, v2, 23, 8
	v_cmp_gt_u32_e64 s[28:29], s47, v5
	v_sub_u32_e32 v2, 0x71, v5
	v_cmp_eq_u32_e32 vcc, 0, v5
	v_cndmask_b32_e64 v2, 0, v2, s[28:29]
	v_mov_b32_e32 v8, 0x70
	v_cndmask_b32_e32 v8, v2, v8, vcc
	v_add_u32_e32 v2, 21, v8
	v_or_b32_e32 v9, 0x800000, v0
	v_lshlrev_b64 v[22:23], v2, -1
	v_cndmask_b32_e32 v0, v9, v0, vcc
	v_add_u32_e32 v2, 20, v8
	v_bfi_b32 v22, v22, 0, v0
	v_lshlrev_b64 v[38:39], v2, 1
	v_lshrrev_b64 v[0:1], v8, v[0:1]
	v_bfi_b32 v23, v23, 0, 0
	v_cmp_eq_u64_e64 s[28:29], v[22:23], v[38:39]
	v_mov_b32_e32 v2, v1
	v_mov_b32_e32 v1, v0
	s_and_saveexec_b64 s[38:39], s[28:29]
; %bb.16986:                            ;   in Loop: Header=BB6_13186 Depth=3
	v_bfe_u32 v1, v0, 21, 1
	v_add_co_u32_e64 v1, s[28:29], v0, v1
	v_add_co_u32_e64 v1, s[28:29], -1, v1
; %bb.16987:                            ;   in Loop: Header=BB6_13186 Depth=3
	s_or_b64 exec, exec, s[38:39]
	v_add_u32_e32 v2, 0xffffff81, v5
	v_mov_b32_e32 v5, 0xffffff82
	v_cndmask_b32_e32 v2, v2, v5, vcc
	v_lshrrev_b32_e32 v5, 23, v0
	v_add3_u32 v8, v8, v2, v5
	v_add_u32_e32 v5, 14, v8
	v_and_b32_e32 v1, 0x1fffff, v1
	v_add_u32_e32 v0, v1, v0
	v_mov_b32_e32 v1, v33
	v_cmp_ne_u32_e32 vcc, 0, v5
                                        ; implicit-def: $vgpr2
	s_and_saveexec_b64 s[28:29], vcc
	s_xor_b64 s[28:29], exec, s[28:29]
; %bb.16988:                            ;   in Loop: Header=BB6_13186 Depth=3
	v_cmp_lt_u64_e32 vcc, s[88:89], v[0:1]
	v_add_u32_e32 v2, 15, v8
	v_cndmask_b32_e32 v2, v5, v2, vcc
	v_cndmask_b32_e64 v5, 0, 1, vcc
	v_lshrrev_b64 v[0:1], v5, v[0:1]
; %bb.16989:                            ;   in Loop: Header=BB6_13186 Depth=3
	s_andn2_saveexec_b64 s[28:29], s[28:29]
; %bb.16990:                            ;   in Loop: Header=BB6_13186 Depth=3
	v_bfe_u32 v2, v0, 23, 1
; %bb.16991:                            ;   in Loop: Header=BB6_13186 Depth=3
	s_or_b64 exec, exec, s[28:29]
	v_lshrrev_b64 v[0:1], 21, v[0:1]
	v_cmp_gt_i32_e32 vcc, 32, v2
	v_cndmask_b32_e32 v1, 0, v1, vcc
	v_cndmask_b32_e32 v0, 3, v0, vcc
	v_cmp_eq_u64_e64 s[28:29], 0, v[0:1]
	v_min_i32_e32 v1, 31, v2
	v_lshlrev_b32_e32 v1, 2, v1
	v_cmp_eq_u32_e32 vcc, 0, v2
	v_and_b32_e32 v1, 0xfc, v1
	v_and_or_b32 v0, v0, 3, v1
	s_and_b64 s[28:29], vcc, s[28:29]
	v_cndmask_b32_e64 v0, v0, 0, s[28:29]
	v_or_b32_e32 v8, v0, v3
.LBB6_16992:                            ;   in Loop: Header=BB6_13186 Depth=3
	s_or_b64 exec, exec, s[36:37]
                                        ; implicit-def: $vgpr3
.LBB6_16993:                            ;   in Loop: Header=BB6_13186 Depth=3
	s_andn2_saveexec_b64 s[28:29], s[34:35]
; %bb.16994:                            ;   in Loop: Header=BB6_13186 Depth=3
	v_or_b32_e32 v8, 0x7b, v3
; %bb.16995:                            ;   in Loop: Header=BB6_13186 Depth=3
	s_or_b64 exec, exec, s[28:29]
                                        ; implicit-def: $vgpr2
                                        ; implicit-def: $vgpr0_vgpr1
.LBB6_16996:                            ;   in Loop: Header=BB6_13186 Depth=3
	s_andn2_saveexec_b64 s[28:29], s[30:31]
	s_cbranch_execz .LBB6_17002
; %bb.16997:                            ;   in Loop: Header=BB6_13186 Depth=3
	v_cmp_ne_u64_e32 vcc, 0, v[0:1]
                                        ; implicit-def: $vgpr8
	s_and_saveexec_b64 s[62:63], vcc
	s_xor_b64 vcc, exec, s[62:63]
; %bb.16998:                            ;   in Loop: Header=BB6_13186 Depth=3
	v_or_b32_sdwa v8, v2, s44 dst_sel:DWORD dst_unused:UNUSED_PAD src0_sel:BYTE_3 src1_sel:DWORD
                                        ; implicit-def: $vgpr2
; %bb.16999:                            ;   in Loop: Header=BB6_13186 Depth=3
	s_andn2_saveexec_b64 s[30:31], vcc
; %bb.17000:                            ;   in Loop: Header=BB6_13186 Depth=3
	v_cmp_lt_i32_e32 vcc, -1, v2
	v_bfrev_b32_e32 v0, 0.5
	v_mov_b32_e32 v1, 0x7c
	v_cndmask_b32_e32 v8, v0, v1, vcc
; %bb.17001:                            ;   in Loop: Header=BB6_13186 Depth=3
	s_or_b64 exec, exec, s[30:31]
.LBB6_17002:                            ;   in Loop: Header=BB6_13186 Depth=3
	s_or_b64 exec, exec, s[28:29]
	buffer_load_dword v0, off, s[0:3], s33 offset:132 ; 4-byte Folded Reload
	buffer_load_dword v1, off, s[0:3], s33 offset:164 ; 4-byte Folded Reload
	v_cmp_ne_u32_e32 vcc, 0, v30
	v_mov_b32_e32 v2, 0
	v_mov_b32_e32 v3, 0
	s_waitcnt vmcnt(1)
	v_lshl_or_b32 v22, v0, 8, v30
	buffer_load_dword v0, off, s[0:3], s33 offset:148 ; 4-byte Folded Reload
	s_waitcnt vmcnt(1)
	v_lshlrev_b32_e32 v1, 24, v1
	s_waitcnt vmcnt(0)
	v_lshlrev_b32_e32 v0, 16, v0
	v_or3_b32 v0, v0, v1, v22
	v_mov_b32_e32 v1, v33
	s_and_saveexec_b64 s[30:31], vcc
	s_cbranch_execz .LBB6_17010
; %bb.17003:                            ;   in Loop: Header=BB6_13186 Depth=3
	v_cmp_ne_u32_e32 vcc, s97, v30
	v_bfrev_b32_e32 v3, 1
	s_and_saveexec_b64 s[34:35], vcc
	s_cbranch_execz .LBB6_17009
; %bb.17004:                            ;   in Loop: Header=BB6_13186 Depth=3
	v_and_b32_e32 v3, 0x7c, v30
	v_and_b32_e32 v5, 3, v30
	v_cmp_ne_u32_e32 vcc, s86, v3
                                        ; implicit-def: $vgpr3
	s_and_saveexec_b64 s[28:29], vcc
	s_xor_b64 s[28:29], exec, s[28:29]
	s_cbranch_execz .LBB6_17006
; %bb.17005:                            ;   in Loop: Header=BB6_13186 Depth=3
	v_ffbh_u32_e32 v9, v5
	v_min_u32_e32 v9, 32, v9
	v_subrev_u32_e32 v16, 29, v9
	v_lshlrev_b64 v[38:39], v16, v[0:1]
	v_bfe_u32 v3, v30, 2, 5
	v_sub_u32_e32 v1, 30, v9
	v_and_b32_e32 v9, 3, v38
	v_cmp_eq_u32_e32 vcc, 0, v3
	v_cndmask_b32_e32 v1, v3, v1, vcc
	v_cndmask_b32_e32 v3, v5, v9, vcc
	v_lshlrev_b32_e32 v5, 24, v30
	v_and_b32_e32 v5, 0x80000000, v5
	v_lshl_add_u32 v1, v1, 23, v5
	v_lshl_or_b32 v1, v3, 21, v1
	v_add_u32_e32 v3, 0x38000000, v1
                                        ; implicit-def: $vgpr5
                                        ; implicit-def: $vgpr30
.LBB6_17006:                            ;   in Loop: Header=BB6_13186 Depth=3
	s_andn2_saveexec_b64 s[36:37], s[28:29]
; %bb.17007:                            ;   in Loop: Header=BB6_13186 Depth=3
	v_and_b32_e32 v1, 0x80, v30
	v_cmp_eq_u32_e64 s[28:29], 0, v1
	v_mov_b32_e32 v1, 0xff800000
	v_mov_b32_e32 v3, 0x7f800000
	v_cmp_eq_u32_e32 vcc, 0, v5
	v_cndmask_b32_e64 v1, v1, v3, s[28:29]
	v_mov_b32_e32 v3, 0x7f800001
	v_cndmask_b32_e32 v3, v3, v1, vcc
; %bb.17008:                            ;   in Loop: Header=BB6_13186 Depth=3
	s_or_b64 exec, exec, s[36:37]
.LBB6_17009:                            ;   in Loop: Header=BB6_13186 Depth=3
	s_or_b64 exec, exec, s[34:35]
.LBB6_17010:                            ;   in Loop: Header=BB6_13186 Depth=3
	s_or_b64 exec, exec, s[30:31]
	v_cmp_ne_u16_sdwa s[62:63], v10, v33 src0_sel:BYTE_0 src1_sel:DWORD
	s_and_saveexec_b64 s[28:29], s[62:63]
	s_cbranch_execz .LBB6_17018
; %bb.17011:                            ;   in Loop: Header=BB6_13186 Depth=3
	v_cmp_ne_u16_sdwa s[62:63], sext(v10), s46 src0_sel:BYTE_0 src1_sel:DWORD
	v_bfrev_b32_e32 v2, 1
	s_and_saveexec_b64 s[30:31], s[62:63]
	s_cbranch_execz .LBB6_17017
; %bb.17012:                            ;   in Loop: Header=BB6_13186 Depth=3
	v_and_b32_e32 v2, 0x7c, v10
	v_and_b32_e32 v1, 3, v10
	v_cmp_ne_u32_e32 vcc, s86, v2
                                        ; implicit-def: $vgpr2
	s_and_saveexec_b64 s[62:63], vcc
	s_xor_b64 s[34:35], exec, s[62:63]
	s_cbranch_execz .LBB6_17014
; %bb.17013:                            ;   in Loop: Header=BB6_13186 Depth=3
	v_ffbh_u32_e32 v5, v1
	v_min_u32_e32 v5, 32, v5
	v_bfe_u32 v2, v10, 2, 5
	v_subrev_u32_e32 v9, 29, v5
	v_lshlrev_b64 v[30:31], v9, v[10:11]
	v_sub_u32_e32 v5, 30, v5
	v_cmp_eq_u32_e32 vcc, 0, v2
	v_cndmask_b32_e32 v2, v2, v5, vcc
	v_lshlrev_b32_e32 v5, 24, v10
	v_and_b32_e32 v9, 3, v30
	v_and_b32_e32 v5, 0x80000000, v5
	v_cndmask_b32_e32 v1, v1, v9, vcc
	v_lshl_add_u32 v2, v2, 23, v5
	v_lshl_or_b32 v1, v1, 21, v2
	v_add_u32_e32 v2, 0x38000000, v1
                                        ; implicit-def: $vgpr1
.LBB6_17014:                            ;   in Loop: Header=BB6_13186 Depth=3
	s_andn2_saveexec_b64 s[34:35], s[34:35]
; %bb.17015:                            ;   in Loop: Header=BB6_13186 Depth=3
	v_mov_b32_e32 v2, -1
	v_cmp_gt_i16_sdwa vcc, sext(v10), v2 src0_sel:BYTE_0 src1_sel:DWORD
	v_mov_b32_e32 v2, 0xff800000
	v_mov_b32_e32 v5, 0x7f800000
	v_cndmask_b32_e32 v2, v2, v5, vcc
	v_cmp_eq_u32_e32 vcc, 0, v1
	v_mov_b32_e32 v1, 0x7f800001
	v_cndmask_b32_e32 v2, v1, v2, vcc
; %bb.17016:                            ;   in Loop: Header=BB6_13186 Depth=3
	s_or_b64 exec, exec, s[34:35]
.LBB6_17017:                            ;   in Loop: Header=BB6_13186 Depth=3
	s_or_b64 exec, exec, s[30:31]
.LBB6_17018:                            ;   in Loop: Header=BB6_13186 Depth=3
	s_or_b64 exec, exec, s[28:29]
	v_add_f32_e32 v3, v3, v2
	v_and_b32_e32 v30, 0x7f800000, v3
	v_mov_b32_e32 v31, v33
	v_cmp_ne_u64_e32 vcc, s[76:77], v[30:31]
	v_and_b32_e32 v1, 0x7fffff, v3
	v_mov_b32_e32 v2, v33
                                        ; implicit-def: $vgpr9
	s_and_saveexec_b64 s[28:29], vcc
	s_xor_b64 s[30:31], exec, s[28:29]
	s_cbranch_execz .LBB6_17032
; %bb.17019:                            ;   in Loop: Header=BB6_13186 Depth=3
	v_and_b32_e32 v30, 0x7fffffff, v3
	v_mov_b32_e32 v31, v33
	v_cmp_gt_u64_e32 vcc, s[78:79], v[30:31]
	v_and_b32_sdwa v30, v3, s97 dst_sel:DWORD dst_unused:UNUSED_PAD src0_sel:BYTE_3 src1_sel:DWORD
                                        ; implicit-def: $vgpr9
	s_and_saveexec_b64 s[28:29], vcc
	s_xor_b64 s[34:35], exec, s[28:29]
	s_cbranch_execz .LBB6_17029
; %bb.17020:                            ;   in Loop: Header=BB6_13186 Depth=3
	v_mov_b32_e32 v9, 0
	v_cmp_ne_u32_e32 vcc, 0, v3
	s_and_saveexec_b64 s[36:37], vcc
	s_cbranch_execz .LBB6_17028
; %bb.17021:                            ;   in Loop: Header=BB6_13186 Depth=3
	v_bfe_u32 v5, v3, 23, 8
	v_cmp_gt_u32_e64 s[28:29], s47, v5
	v_sub_u32_e32 v3, 0x71, v5
	v_cmp_eq_u32_e32 vcc, 0, v5
	v_cndmask_b32_e64 v3, 0, v3, s[28:29]
	v_mov_b32_e32 v9, 0x70
	v_cndmask_b32_e32 v9, v3, v9, vcc
	v_add_u32_e32 v3, 21, v9
	v_or_b32_e32 v16, 0x800000, v1
	v_lshlrev_b64 v[38:39], v3, -1
	v_cndmask_b32_e32 v1, v16, v1, vcc
	v_add_u32_e32 v3, 20, v9
	v_mov_b32_e32 v23, v49
	v_mov_b32_e32 v17, v48
	v_bfi_b32 v38, v38, 0, v1
	v_lshlrev_b64 v[48:49], v3, 1
	v_lshrrev_b64 v[1:2], v9, v[1:2]
	v_bfi_b32 v39, v39, 0, 0
	v_cmp_eq_u64_e64 s[28:29], v[38:39], v[48:49]
	v_mov_b32_e32 v3, v2
	v_mov_b32_e32 v2, v1
	s_and_saveexec_b64 s[38:39], s[28:29]
; %bb.17022:                            ;   in Loop: Header=BB6_13186 Depth=3
	v_bfe_u32 v2, v1, 21, 1
	v_add_co_u32_e64 v2, s[28:29], v1, v2
	v_add_co_u32_e64 v2, s[28:29], -1, v2
; %bb.17023:                            ;   in Loop: Header=BB6_13186 Depth=3
	s_or_b64 exec, exec, s[38:39]
	v_add_u32_e32 v3, 0xffffff81, v5
	v_mov_b32_e32 v5, 0xffffff82
	v_cndmask_b32_e32 v3, v3, v5, vcc
	v_lshrrev_b32_e32 v5, 23, v1
	v_add3_u32 v9, v9, v3, v5
	v_add_u32_e32 v5, 14, v9
	v_and_b32_e32 v2, 0x1fffff, v2
	v_add_u32_e32 v1, v2, v1
	v_mov_b32_e32 v2, v33
	v_cmp_ne_u32_e32 vcc, 0, v5
                                        ; implicit-def: $vgpr3
	s_and_saveexec_b64 s[28:29], vcc
	s_xor_b64 s[28:29], exec, s[28:29]
; %bb.17024:                            ;   in Loop: Header=BB6_13186 Depth=3
	v_cmp_lt_u64_e32 vcc, s[88:89], v[1:2]
	v_add_u32_e32 v3, 15, v9
	v_cndmask_b32_e32 v3, v5, v3, vcc
	v_cndmask_b32_e64 v5, 0, 1, vcc
	v_lshrrev_b64 v[1:2], v5, v[1:2]
; %bb.17025:                            ;   in Loop: Header=BB6_13186 Depth=3
	s_or_saveexec_b64 s[28:29], s[28:29]
	v_mov_b32_e32 v48, v17
	v_mov_b32_e32 v49, v23
	s_xor_b64 exec, exec, s[28:29]
; %bb.17026:                            ;   in Loop: Header=BB6_13186 Depth=3
	v_bfe_u32 v3, v1, 23, 1
; %bb.17027:                            ;   in Loop: Header=BB6_13186 Depth=3
	s_or_b64 exec, exec, s[28:29]
	v_lshrrev_b64 v[1:2], 21, v[1:2]
	v_cmp_gt_i32_e32 vcc, 32, v3
	v_cndmask_b32_e32 v2, 0, v2, vcc
	v_cndmask_b32_e32 v1, 3, v1, vcc
	v_cmp_eq_u64_e64 s[28:29], 0, v[1:2]
	v_min_i32_e32 v2, 31, v3
	v_lshlrev_b32_e32 v2, 2, v2
	v_cmp_eq_u32_e32 vcc, 0, v3
	v_and_b32_e32 v2, 0xfc, v2
	v_and_or_b32 v1, v1, 3, v2
	s_and_b64 s[28:29], vcc, s[28:29]
	v_cndmask_b32_e64 v1, v1, 0, s[28:29]
	v_or_b32_e32 v9, v1, v30
.LBB6_17028:                            ;   in Loop: Header=BB6_13186 Depth=3
	s_or_b64 exec, exec, s[36:37]
                                        ; implicit-def: $vgpr30
.LBB6_17029:                            ;   in Loop: Header=BB6_13186 Depth=3
	s_andn2_saveexec_b64 s[28:29], s[34:35]
; %bb.17030:                            ;   in Loop: Header=BB6_13186 Depth=3
	v_or_b32_e32 v9, 0x7b, v30
; %bb.17031:                            ;   in Loop: Header=BB6_13186 Depth=3
	s_or_b64 exec, exec, s[28:29]
                                        ; implicit-def: $vgpr3
                                        ; implicit-def: $vgpr1_vgpr2
.LBB6_17032:                            ;   in Loop: Header=BB6_13186 Depth=3
	s_andn2_saveexec_b64 s[28:29], s[30:31]
	s_cbranch_execz .LBB6_17038
; %bb.17033:                            ;   in Loop: Header=BB6_13186 Depth=3
	v_cmp_ne_u64_e32 vcc, 0, v[1:2]
                                        ; implicit-def: $vgpr9
	s_and_saveexec_b64 s[62:63], vcc
	s_xor_b64 vcc, exec, s[62:63]
; %bb.17034:                            ;   in Loop: Header=BB6_13186 Depth=3
	v_or_b32_sdwa v9, v3, s44 dst_sel:DWORD dst_unused:UNUSED_PAD src0_sel:BYTE_3 src1_sel:DWORD
                                        ; implicit-def: $vgpr3
; %bb.17035:                            ;   in Loop: Header=BB6_13186 Depth=3
	s_andn2_saveexec_b64 s[30:31], vcc
; %bb.17036:                            ;   in Loop: Header=BB6_13186 Depth=3
	v_cmp_lt_i32_e32 vcc, -1, v3
	v_bfrev_b32_e32 v1, 0.5
	v_mov_b32_e32 v2, 0x7c
	v_cndmask_b32_e32 v9, v1, v2, vcc
; %bb.17037:                            ;   in Loop: Header=BB6_13186 Depth=3
	s_or_b64 exec, exec, s[30:31]
.LBB6_17038:                            ;   in Loop: Header=BB6_13186 Depth=3
	s_or_b64 exec, exec, s[28:29]
	v_lshrrev_b16_e32 v1, 8, v22
	v_cmp_ne_u16_e32 vcc, 0, v1
	v_mov_b32_e32 v3, 0
	v_mov_b32_e32 v5, 0
	s_and_saveexec_b64 s[28:29], vcc
	s_cbranch_execz .LBB6_17046
; %bb.17039:                            ;   in Loop: Header=BB6_13186 Depth=3
	v_cmp_ne_u16_e32 vcc, s97, v1
	v_bfrev_b32_e32 v5, 1
	s_and_saveexec_b64 s[30:31], vcc
	s_cbranch_execz .LBB6_17045
; %bb.17040:                            ;   in Loop: Header=BB6_13186 Depth=3
	v_and_b32_e32 v2, 0x7c, v1
	v_and_b32_e32 v23, 3, v1
	v_cmp_ne_u32_e32 vcc, s86, v2
                                        ; implicit-def: $vgpr5
	s_and_saveexec_b64 s[62:63], vcc
	s_xor_b64 s[34:35], exec, s[62:63]
	s_cbranch_execz .LBB6_17042
; %bb.17041:                            ;   in Loop: Header=BB6_13186 Depth=3
	v_ffbh_u32_e32 v16, v23
	v_min_u32_e32 v16, 32, v16
	v_mov_b32_e32 v2, v33
	v_subrev_u32_e32 v17, 29, v16
	v_bfe_u32 v5, v1, 2, 5
	v_lshlrev_b64 v[1:2], v17, v[1:2]
	v_sub_u32_e32 v2, 30, v16
	v_cmp_eq_u32_e32 vcc, 0, v5
	v_cndmask_b32_e32 v2, v5, v2, vcc
	v_lshlrev_b32_e32 v5, 16, v22
	v_and_b32_e32 v1, 3, v1
	v_and_b32_e32 v5, 0x80000000, v5
	v_cndmask_b32_e32 v1, v23, v1, vcc
	v_lshl_add_u32 v2, v2, 23, v5
	v_lshl_or_b32 v1, v1, 21, v2
	v_add_u32_e32 v5, 0x38000000, v1
                                        ; implicit-def: $vgpr23
                                        ; implicit-def: $vgpr22
.LBB6_17042:                            ;   in Loop: Header=BB6_13186 Depth=3
	s_andn2_saveexec_b64 s[34:35], s[34:35]
; %bb.17043:                            ;   in Loop: Header=BB6_13186 Depth=3
	v_cmp_lt_i16_e32 vcc, -1, v22
	v_mov_b32_e32 v1, 0xff800000
	v_mov_b32_e32 v2, 0x7f800000
	v_cndmask_b32_e32 v1, v1, v2, vcc
	v_cmp_eq_u32_e32 vcc, 0, v23
	v_mov_b32_e32 v2, 0x7f800001
	v_cndmask_b32_e32 v5, v2, v1, vcc
; %bb.17044:                            ;   in Loop: Header=BB6_13186 Depth=3
	s_or_b64 exec, exec, s[34:35]
.LBB6_17045:                            ;   in Loop: Header=BB6_13186 Depth=3
	s_or_b64 exec, exec, s[30:31]
.LBB6_17046:                            ;   in Loop: Header=BB6_13186 Depth=3
	s_or_b64 exec, exec, s[28:29]
	v_lshrrev_b16_e32 v1, 8, v10
	v_cmp_ne_u16_e32 vcc, 0, v1
	s_and_saveexec_b64 s[28:29], vcc
	s_cbranch_execz .LBB6_17054
; %bb.17047:                            ;   in Loop: Header=BB6_13186 Depth=3
	v_cmp_ne_u16_e32 vcc, s97, v1
	v_bfrev_b32_e32 v3, 1
	s_and_saveexec_b64 s[30:31], vcc
	s_cbranch_execz .LBB6_17053
; %bb.17048:                            ;   in Loop: Header=BB6_13186 Depth=3
	v_and_b32_e32 v2, 0x7c, v1
	v_and_b32_e32 v22, 3, v1
	v_cmp_ne_u32_e32 vcc, s86, v2
                                        ; implicit-def: $vgpr3
	s_and_saveexec_b64 s[62:63], vcc
	s_xor_b64 s[34:35], exec, s[62:63]
	s_cbranch_execz .LBB6_17050
; %bb.17049:                            ;   in Loop: Header=BB6_13186 Depth=3
	v_ffbh_u32_e32 v16, v22
	v_min_u32_e32 v16, 32, v16
	v_mov_b32_e32 v2, v33
	v_subrev_u32_e32 v17, 29, v16
	v_bfe_u32 v3, v1, 2, 5
	v_lshlrev_b64 v[1:2], v17, v[1:2]
	v_sub_u32_e32 v2, 30, v16
	v_cmp_eq_u32_e32 vcc, 0, v3
	v_cndmask_b32_e32 v2, v3, v2, vcc
	v_lshlrev_b32_e32 v3, 16, v10
	v_and_b32_e32 v1, 3, v1
	v_and_b32_e32 v3, 0x80000000, v3
	v_cndmask_b32_e32 v1, v22, v1, vcc
	v_lshl_add_u32 v2, v2, 23, v3
	v_lshl_or_b32 v1, v1, 21, v2
	v_add_u32_e32 v3, 0x38000000, v1
                                        ; implicit-def: $vgpr22
.LBB6_17050:                            ;   in Loop: Header=BB6_13186 Depth=3
	s_andn2_saveexec_b64 s[34:35], s[34:35]
; %bb.17051:                            ;   in Loop: Header=BB6_13186 Depth=3
	v_cmp_lt_i16_e32 vcc, -1, v10
	v_mov_b32_e32 v1, 0xff800000
	v_mov_b32_e32 v2, 0x7f800000
	v_cndmask_b32_e32 v1, v1, v2, vcc
	v_cmp_eq_u32_e32 vcc, 0, v22
	v_mov_b32_e32 v2, 0x7f800001
	v_cndmask_b32_e32 v3, v2, v1, vcc
; %bb.17052:                            ;   in Loop: Header=BB6_13186 Depth=3
	s_or_b64 exec, exec, s[34:35]
.LBB6_17053:                            ;   in Loop: Header=BB6_13186 Depth=3
	s_or_b64 exec, exec, s[30:31]
.LBB6_17054:                            ;   in Loop: Header=BB6_13186 Depth=3
	s_or_b64 exec, exec, s[28:29]
	v_add_f32_e32 v3, v5, v3
	v_and_b32_e32 v22, 0x7f800000, v3
	v_mov_b32_e32 v23, v33
	v_cmp_ne_u64_e32 vcc, s[76:77], v[22:23]
	v_and_b32_e32 v1, 0x7fffff, v3
	v_mov_b32_e32 v2, v33
                                        ; implicit-def: $vgpr30
	s_and_saveexec_b64 s[28:29], vcc
	s_xor_b64 s[30:31], exec, s[28:29]
	s_cbranch_execz .LBB6_17068
; %bb.17055:                            ;   in Loop: Header=BB6_13186 Depth=3
	v_and_b32_e32 v22, 0x7fffffff, v3
	v_mov_b32_e32 v23, v33
	v_cmp_gt_u64_e32 vcc, s[78:79], v[22:23]
	v_and_b32_sdwa v22, v3, s97 dst_sel:DWORD dst_unused:UNUSED_PAD src0_sel:BYTE_3 src1_sel:DWORD
                                        ; implicit-def: $vgpr30
	s_and_saveexec_b64 s[28:29], vcc
	s_xor_b64 s[34:35], exec, s[28:29]
	s_cbranch_execz .LBB6_17065
; %bb.17056:                            ;   in Loop: Header=BB6_13186 Depth=3
	v_mov_b32_e32 v30, 0
	v_cmp_ne_u32_e32 vcc, 0, v3
	s_and_saveexec_b64 s[36:37], vcc
	s_cbranch_execz .LBB6_17064
; %bb.17057:                            ;   in Loop: Header=BB6_13186 Depth=3
	v_bfe_u32 v5, v3, 23, 8
	v_cmp_gt_u32_e64 s[28:29], s47, v5
	v_sub_u32_e32 v3, 0x71, v5
	v_cmp_eq_u32_e32 vcc, 0, v5
	v_cndmask_b32_e64 v3, 0, v3, s[28:29]
	v_mov_b32_e32 v17, 0x70
	v_cndmask_b32_e32 v23, v3, v17, vcc
	v_add_u32_e32 v3, 21, v23
	v_or_b32_e32 v16, 0x800000, v1
	v_lshlrev_b64 v[30:31], v3, -1
	v_cndmask_b32_e32 v1, v16, v1, vcc
	v_add_u32_e32 v3, 20, v23
	v_bfi_b32 v30, v30, 0, v1
	v_lshlrev_b64 v[38:39], v3, 1
	v_lshrrev_b64 v[1:2], v23, v[1:2]
	v_bfi_b32 v31, v31, 0, 0
	v_cmp_eq_u64_e64 s[28:29], v[30:31], v[38:39]
	v_mov_b32_e32 v3, v2
	v_mov_b32_e32 v2, v1
	s_and_saveexec_b64 s[38:39], s[28:29]
; %bb.17058:                            ;   in Loop: Header=BB6_13186 Depth=3
	v_bfe_u32 v2, v1, 21, 1
	v_add_co_u32_e64 v2, s[28:29], v1, v2
	v_add_co_u32_e64 v2, s[28:29], -1, v2
; %bb.17059:                            ;   in Loop: Header=BB6_13186 Depth=3
	s_or_b64 exec, exec, s[38:39]
	v_add_u32_e32 v3, 0xffffff81, v5
	v_mov_b32_e32 v5, 0xffffff82
	v_cndmask_b32_e32 v3, v3, v5, vcc
	v_lshrrev_b32_e32 v5, 23, v1
	v_add3_u32 v23, v23, v3, v5
	v_add_u32_e32 v5, 14, v23
	v_and_b32_e32 v2, 0x1fffff, v2
	v_add_u32_e32 v1, v2, v1
	v_mov_b32_e32 v2, v33
	v_cmp_ne_u32_e32 vcc, 0, v5
                                        ; implicit-def: $vgpr3
	s_and_saveexec_b64 s[28:29], vcc
	s_xor_b64 s[28:29], exec, s[28:29]
; %bb.17060:                            ;   in Loop: Header=BB6_13186 Depth=3
	v_cmp_lt_u64_e32 vcc, s[88:89], v[1:2]
	v_add_u32_e32 v3, 15, v23
	v_cndmask_b32_e32 v3, v5, v3, vcc
	v_cndmask_b32_e64 v5, 0, 1, vcc
	v_lshrrev_b64 v[1:2], v5, v[1:2]
; %bb.17061:                            ;   in Loop: Header=BB6_13186 Depth=3
	s_andn2_saveexec_b64 s[28:29], s[28:29]
; %bb.17062:                            ;   in Loop: Header=BB6_13186 Depth=3
	v_bfe_u32 v3, v1, 23, 1
; %bb.17063:                            ;   in Loop: Header=BB6_13186 Depth=3
	s_or_b64 exec, exec, s[28:29]
	v_lshrrev_b64 v[1:2], 21, v[1:2]
	v_cmp_gt_i32_e32 vcc, 32, v3
	v_cndmask_b32_e32 v2, 0, v2, vcc
	v_cndmask_b32_e32 v1, 3, v1, vcc
	v_cmp_eq_u64_e64 s[28:29], 0, v[1:2]
	v_min_i32_e32 v2, 31, v3
	v_lshlrev_b32_e32 v2, 2, v2
	v_cmp_eq_u32_e32 vcc, 0, v3
	v_and_b32_e32 v2, 0xfc, v2
	v_and_or_b32 v1, v1, 3, v2
	s_and_b64 s[28:29], vcc, s[28:29]
	v_cndmask_b32_e64 v1, v1, 0, s[28:29]
	v_or_b32_e32 v30, v1, v22
.LBB6_17064:                            ;   in Loop: Header=BB6_13186 Depth=3
	s_or_b64 exec, exec, s[36:37]
                                        ; implicit-def: $vgpr22
.LBB6_17065:                            ;   in Loop: Header=BB6_13186 Depth=3
	s_andn2_saveexec_b64 s[28:29], s[34:35]
; %bb.17066:                            ;   in Loop: Header=BB6_13186 Depth=3
	v_or_b32_e32 v30, 0x7b, v22
; %bb.17067:                            ;   in Loop: Header=BB6_13186 Depth=3
	s_or_b64 exec, exec, s[28:29]
                                        ; implicit-def: $vgpr3
                                        ; implicit-def: $vgpr1_vgpr2
.LBB6_17068:                            ;   in Loop: Header=BB6_13186 Depth=3
	s_andn2_saveexec_b64 s[28:29], s[30:31]
	s_cbranch_execz .LBB6_17074
; %bb.17069:                            ;   in Loop: Header=BB6_13186 Depth=3
	v_cmp_ne_u64_e32 vcc, 0, v[1:2]
                                        ; implicit-def: $vgpr30
	s_and_saveexec_b64 s[62:63], vcc
	s_xor_b64 vcc, exec, s[62:63]
; %bb.17070:                            ;   in Loop: Header=BB6_13186 Depth=3
	v_or_b32_sdwa v30, v3, s44 dst_sel:DWORD dst_unused:UNUSED_PAD src0_sel:BYTE_3 src1_sel:DWORD
                                        ; implicit-def: $vgpr3
; %bb.17071:                            ;   in Loop: Header=BB6_13186 Depth=3
	s_andn2_saveexec_b64 s[30:31], vcc
; %bb.17072:                            ;   in Loop: Header=BB6_13186 Depth=3
	v_cmp_lt_i32_e32 vcc, -1, v3
	v_bfrev_b32_e32 v1, 0.5
	v_mov_b32_e32 v2, 0x7c
	v_cndmask_b32_e32 v30, v1, v2, vcc
; %bb.17073:                            ;   in Loop: Header=BB6_13186 Depth=3
	s_or_b64 exec, exec, s[30:31]
.LBB6_17074:                            ;   in Loop: Header=BB6_13186 Depth=3
	s_or_b64 exec, exec, s[28:29]
	v_and_b32_sdwa v5, v0, s96 dst_sel:DWORD dst_unused:UNUSED_PAD src0_sel:WORD_1 src1_sel:DWORD
	v_lshrrev_b32_e32 v1, 16, v0
	v_cmp_ne_u16_e32 vcc, 0, v5
	v_mov_b32_e32 v2, 0
	v_mov_b32_e32 v3, 0
	s_and_saveexec_b64 s[28:29], vcc
	s_cbranch_execz .LBB6_17082
; %bb.17075:                            ;   in Loop: Header=BB6_13186 Depth=3
	v_cmp_ne_u16_e32 vcc, s97, v5
	v_bfrev_b32_e32 v3, 1
	s_and_saveexec_b64 s[30:31], vcc
	s_cbranch_execz .LBB6_17081
; %bb.17076:                            ;   in Loop: Header=BB6_13186 Depth=3
	v_and_b32_e32 v3, 0x7c0000, v0
	v_bfe_u32 v5, v0, 16, 2
	v_cmp_ne_u32_e32 vcc, s45, v3
                                        ; implicit-def: $vgpr3
	s_and_saveexec_b64 s[62:63], vcc
	s_xor_b64 s[34:35], exec, s[62:63]
	s_cbranch_execz .LBB6_17078
; %bb.17077:                            ;   in Loop: Header=BB6_13186 Depth=3
	v_ffbh_u32_e32 v16, v5
	v_min_u32_e32 v16, 32, v16
	v_subrev_u32_e32 v17, 29, v16
	v_lshlrev_b64 v[22:23], v17, v[1:2]
	v_bfe_u32 v3, v0, 18, 5
	v_sub_u32_e32 v1, 30, v16
	v_and_b32_e32 v16, 3, v22
	v_cmp_eq_u32_e32 vcc, 0, v3
	v_cndmask_b32_e32 v1, v3, v1, vcc
	v_cndmask_b32_e32 v3, v5, v16, vcc
	v_lshlrev_b32_e32 v5, 8, v0
	v_and_b32_e32 v5, 0x80000000, v5
	v_lshl_add_u32 v1, v1, 23, v5
	v_lshl_or_b32 v1, v3, 21, v1
	v_add_u32_e32 v3, 0x38000000, v1
                                        ; implicit-def: $vgpr5
                                        ; implicit-def: $vgpr1
.LBB6_17078:                            ;   in Loop: Header=BB6_13186 Depth=3
	s_andn2_saveexec_b64 s[34:35], s[34:35]
; %bb.17079:                            ;   in Loop: Header=BB6_13186 Depth=3
	v_mov_b32_e32 v3, -1
	v_cmp_gt_i16_sdwa vcc, sext(v1), v3 src0_sel:BYTE_0 src1_sel:DWORD
	v_mov_b32_e32 v1, 0xff800000
	v_mov_b32_e32 v3, 0x7f800000
	v_cndmask_b32_e32 v1, v1, v3, vcc
	v_cmp_eq_u32_e32 vcc, 0, v5
	v_mov_b32_e32 v3, 0x7f800001
	v_cndmask_b32_e32 v3, v3, v1, vcc
; %bb.17080:                            ;   in Loop: Header=BB6_13186 Depth=3
	s_or_b64 exec, exec, s[34:35]
.LBB6_17081:                            ;   in Loop: Header=BB6_13186 Depth=3
	s_or_b64 exec, exec, s[30:31]
.LBB6_17082:                            ;   in Loop: Header=BB6_13186 Depth=3
	s_or_b64 exec, exec, s[28:29]
	v_lshrrev_b32_e32 v1, 16, v10
	v_cmp_ne_u16_sdwa s[62:63], v1, v33 src0_sel:BYTE_0 src1_sel:DWORD
	s_and_saveexec_b64 s[28:29], s[62:63]
	s_cbranch_execz .LBB6_17090
; %bb.17083:                            ;   in Loop: Header=BB6_13186 Depth=3
	v_cmp_ne_u16_sdwa s[62:63], v1, s97 src0_sel:BYTE_0 src1_sel:DWORD
	v_bfrev_b32_e32 v2, 1
	s_and_saveexec_b64 s[30:31], s[62:63]
	s_cbranch_execz .LBB6_17089
; %bb.17084:                            ;   in Loop: Header=BB6_13186 Depth=3
	v_and_b32_e32 v2, 0x7c0000, v10
	v_bfe_u32 v5, v10, 16, 2
	v_cmp_ne_u32_e32 vcc, s45, v2
                                        ; implicit-def: $vgpr2
	s_and_saveexec_b64 s[62:63], vcc
	s_xor_b64 s[34:35], exec, s[62:63]
	s_cbranch_execz .LBB6_17086
; %bb.17085:                            ;   in Loop: Header=BB6_13186 Depth=3
	v_ffbh_u32_e32 v2, v5
	v_min_u32_e32 v17, 32, v2
	v_subrev_u32_e32 v2, 29, v17
	v_lshlrev_b64 v[1:2], v2, v[1:2]
	v_bfe_u32 v16, v10, 18, 5
	v_and_b32_e32 v1, 3, v1
	v_cmp_eq_u32_e32 vcc, 0, v16
	v_sub_u32_e32 v2, 30, v17
	v_cndmask_b32_e32 v1, v5, v1, vcc
	v_lshlrev_b32_e32 v5, 8, v10
	v_cndmask_b32_e32 v2, v16, v2, vcc
	v_and_b32_e32 v5, 0x80000000, v5
	v_lshl_add_u32 v2, v2, 23, v5
	v_lshl_or_b32 v1, v1, 21, v2
	v_add_u32_e32 v2, 0x38000000, v1
                                        ; implicit-def: $vgpr5
                                        ; implicit-def: $vgpr1
.LBB6_17086:                            ;   in Loop: Header=BB6_13186 Depth=3
	s_andn2_saveexec_b64 s[34:35], s[34:35]
; %bb.17087:                            ;   in Loop: Header=BB6_13186 Depth=3
	v_mov_b32_e32 v2, -1
	v_cmp_gt_i16_sdwa vcc, sext(v1), v2 src0_sel:BYTE_0 src1_sel:DWORD
	v_mov_b32_e32 v1, 0xff800000
	v_mov_b32_e32 v2, 0x7f800000
	v_cndmask_b32_e32 v1, v1, v2, vcc
	v_cmp_eq_u32_e32 vcc, 0, v5
	v_mov_b32_e32 v2, 0x7f800001
	v_cndmask_b32_e32 v2, v2, v1, vcc
; %bb.17088:                            ;   in Loop: Header=BB6_13186 Depth=3
	s_or_b64 exec, exec, s[34:35]
.LBB6_17089:                            ;   in Loop: Header=BB6_13186 Depth=3
	s_or_b64 exec, exec, s[30:31]
.LBB6_17090:                            ;   in Loop: Header=BB6_13186 Depth=3
	s_or_b64 exec, exec, s[28:29]
	v_add_f32_e32 v3, v3, v2
	v_and_b32_e32 v22, 0x7f800000, v3
	v_mov_b32_e32 v23, v33
	v_cmp_ne_u64_e32 vcc, s[76:77], v[22:23]
	v_and_b32_e32 v1, 0x7fffff, v3
	v_mov_b32_e32 v2, v33
                                        ; implicit-def: $vgpr38
	s_and_saveexec_b64 s[28:29], vcc
	s_xor_b64 s[30:31], exec, s[28:29]
	s_cbranch_execz .LBB6_17104
; %bb.17091:                            ;   in Loop: Header=BB6_13186 Depth=3
	v_and_b32_e32 v22, 0x7fffffff, v3
	v_mov_b32_e32 v23, v33
	v_cmp_gt_u64_e32 vcc, s[78:79], v[22:23]
	v_and_b32_sdwa v22, v3, s97 dst_sel:DWORD dst_unused:UNUSED_PAD src0_sel:BYTE_3 src1_sel:DWORD
                                        ; implicit-def: $vgpr38
	s_and_saveexec_b64 s[28:29], vcc
	s_xor_b64 s[34:35], exec, s[28:29]
	s_cbranch_execz .LBB6_17101
; %bb.17092:                            ;   in Loop: Header=BB6_13186 Depth=3
	v_mov_b32_e32 v38, 0
	v_cmp_ne_u32_e32 vcc, 0, v3
	s_and_saveexec_b64 s[36:37], vcc
	s_cbranch_execz .LBB6_17100
; %bb.17093:                            ;   in Loop: Header=BB6_13186 Depth=3
	v_bfe_u32 v5, v3, 23, 8
	v_cmp_gt_u32_e64 s[28:29], s47, v5
	v_sub_u32_e32 v3, 0x71, v5
	v_cmp_eq_u32_e32 vcc, 0, v5
	v_cndmask_b32_e64 v3, 0, v3, s[28:29]
	v_mov_b32_e32 v17, 0x70
	v_cndmask_b32_e32 v23, v3, v17, vcc
	v_add_u32_e32 v3, 21, v23
	v_or_b32_e32 v16, 0x800000, v1
	v_lshlrev_b64 v[38:39], v3, -1
	v_cndmask_b32_e32 v1, v16, v1, vcc
	v_add_u32_e32 v3, 20, v23
	v_mov_b32_e32 v35, v49
	v_mov_b32_e32 v31, v48
	v_bfi_b32 v38, v38, 0, v1
	v_lshlrev_b64 v[48:49], v3, 1
	v_lshrrev_b64 v[1:2], v23, v[1:2]
	v_bfi_b32 v39, v39, 0, 0
	v_cmp_eq_u64_e64 s[28:29], v[38:39], v[48:49]
	v_mov_b32_e32 v3, v2
	v_mov_b32_e32 v2, v1
	s_and_saveexec_b64 s[38:39], s[28:29]
; %bb.17094:                            ;   in Loop: Header=BB6_13186 Depth=3
	v_bfe_u32 v2, v1, 21, 1
	v_add_co_u32_e64 v2, s[28:29], v1, v2
	v_add_co_u32_e64 v2, s[28:29], -1, v2
; %bb.17095:                            ;   in Loop: Header=BB6_13186 Depth=3
	s_or_b64 exec, exec, s[38:39]
	v_add_u32_e32 v3, 0xffffff81, v5
	v_mov_b32_e32 v5, 0xffffff82
	v_cndmask_b32_e32 v3, v3, v5, vcc
	v_lshrrev_b32_e32 v5, 23, v1
	v_add3_u32 v23, v23, v3, v5
	v_add_u32_e32 v5, 14, v23
	v_and_b32_e32 v2, 0x1fffff, v2
	v_add_u32_e32 v1, v2, v1
	v_mov_b32_e32 v2, v33
	v_cmp_ne_u32_e32 vcc, 0, v5
                                        ; implicit-def: $vgpr3
	s_and_saveexec_b64 s[28:29], vcc
	s_xor_b64 s[28:29], exec, s[28:29]
; %bb.17096:                            ;   in Loop: Header=BB6_13186 Depth=3
	v_cmp_lt_u64_e32 vcc, s[88:89], v[1:2]
	v_add_u32_e32 v3, 15, v23
	v_cndmask_b32_e32 v3, v5, v3, vcc
	v_cndmask_b32_e64 v5, 0, 1, vcc
	v_lshrrev_b64 v[1:2], v5, v[1:2]
; %bb.17097:                            ;   in Loop: Header=BB6_13186 Depth=3
	s_or_saveexec_b64 s[28:29], s[28:29]
	v_mov_b32_e32 v48, v31
	v_mov_b32_e32 v49, v35
	s_xor_b64 exec, exec, s[28:29]
; %bb.17098:                            ;   in Loop: Header=BB6_13186 Depth=3
	v_bfe_u32 v3, v1, 23, 1
; %bb.17099:                            ;   in Loop: Header=BB6_13186 Depth=3
	s_or_b64 exec, exec, s[28:29]
	v_lshrrev_b64 v[1:2], 21, v[1:2]
	v_cmp_gt_i32_e32 vcc, 32, v3
	v_cndmask_b32_e32 v2, 0, v2, vcc
	v_cndmask_b32_e32 v1, 3, v1, vcc
	v_cmp_eq_u64_e64 s[28:29], 0, v[1:2]
	v_min_i32_e32 v2, 31, v3
	v_lshlrev_b32_e32 v2, 2, v2
	v_cmp_eq_u32_e32 vcc, 0, v3
	v_and_b32_e32 v2, 0xfc, v2
	v_and_or_b32 v1, v1, 3, v2
	s_and_b64 s[28:29], vcc, s[28:29]
	v_cndmask_b32_e64 v1, v1, 0, s[28:29]
	v_or_b32_e32 v38, v1, v22
.LBB6_17100:                            ;   in Loop: Header=BB6_13186 Depth=3
	s_or_b64 exec, exec, s[36:37]
                                        ; implicit-def: $vgpr22
.LBB6_17101:                            ;   in Loop: Header=BB6_13186 Depth=3
	s_andn2_saveexec_b64 s[28:29], s[34:35]
; %bb.17102:                            ;   in Loop: Header=BB6_13186 Depth=3
	v_or_b32_e32 v38, 0x7b, v22
; %bb.17103:                            ;   in Loop: Header=BB6_13186 Depth=3
	s_or_b64 exec, exec, s[28:29]
                                        ; implicit-def: $vgpr3
                                        ; implicit-def: $vgpr1_vgpr2
.LBB6_17104:                            ;   in Loop: Header=BB6_13186 Depth=3
	s_andn2_saveexec_b64 s[28:29], s[30:31]
	s_cbranch_execz .LBB6_17110
; %bb.17105:                            ;   in Loop: Header=BB6_13186 Depth=3
	v_cmp_ne_u64_e32 vcc, 0, v[1:2]
                                        ; implicit-def: $vgpr38
	s_and_saveexec_b64 s[62:63], vcc
	s_xor_b64 vcc, exec, s[62:63]
; %bb.17106:                            ;   in Loop: Header=BB6_13186 Depth=3
	v_or_b32_sdwa v38, v3, s44 dst_sel:DWORD dst_unused:UNUSED_PAD src0_sel:BYTE_3 src1_sel:DWORD
                                        ; implicit-def: $vgpr3
; %bb.17107:                            ;   in Loop: Header=BB6_13186 Depth=3
	s_andn2_saveexec_b64 s[30:31], vcc
; %bb.17108:                            ;   in Loop: Header=BB6_13186 Depth=3
	v_cmp_lt_i32_e32 vcc, -1, v3
	v_bfrev_b32_e32 v1, 0.5
	v_mov_b32_e32 v2, 0x7c
	v_cndmask_b32_e32 v38, v1, v2, vcc
; %bb.17109:                            ;   in Loop: Header=BB6_13186 Depth=3
	s_or_b64 exec, exec, s[30:31]
.LBB6_17110:                            ;   in Loop: Header=BB6_13186 Depth=3
	s_or_b64 exec, exec, s[28:29]
	v_cmp_lt_u32_e32 vcc, s57, v0
	v_mov_b32_e32 v2, 0
	v_mov_b32_e32 v3, 0
	s_and_saveexec_b64 s[28:29], vcc
	s_cbranch_execz .LBB6_17118
; %bb.17111:                            ;   in Loop: Header=BB6_13186 Depth=3
	v_lshrrev_b32_e32 v1, 24, v0
	v_cmp_ne_u32_e32 vcc, s97, v1
	v_bfrev_b32_e32 v3, 1
	s_and_saveexec_b64 s[30:31], vcc
	s_cbranch_execz .LBB6_17117
; %bb.17112:                            ;   in Loop: Header=BB6_13186 Depth=3
	v_and_b32_e32 v3, 0x7c000000, v0
	v_bfe_u32 v5, v0, 24, 2
	v_cmp_ne_u32_e32 vcc, s68, v3
                                        ; implicit-def: $vgpr3
	s_and_saveexec_b64 s[62:63], vcc
	s_xor_b64 s[34:35], exec, s[62:63]
	s_cbranch_execz .LBB6_17114
; %bb.17113:                            ;   in Loop: Header=BB6_13186 Depth=3
	v_ffbh_u32_e32 v16, v5
	v_min_u32_e32 v16, 32, v16
	v_subrev_u32_e32 v17, 29, v16
	v_bfe_u32 v3, v0, 26, 5
	v_lshlrev_b64 v[22:23], v17, v[1:2]
	v_sub_u32_e32 v1, 30, v16
	v_cmp_eq_u32_e32 vcc, 0, v3
	v_and_b32_e32 v16, 3, v22
	v_cndmask_b32_e32 v1, v3, v1, vcc
	v_and_b32_e32 v0, 0x80000000, v0
	v_cndmask_b32_e32 v3, v5, v16, vcc
	v_lshl_add_u32 v0, v1, 23, v0
	v_lshl_or_b32 v0, v3, 21, v0
	v_add_u32_e32 v3, 0x38000000, v0
                                        ; implicit-def: $vgpr5
                                        ; implicit-def: $vgpr0_vgpr1
.LBB6_17114:                            ;   in Loop: Header=BB6_13186 Depth=3
	s_andn2_saveexec_b64 s[34:35], s[34:35]
; %bb.17115:                            ;   in Loop: Header=BB6_13186 Depth=3
	v_cmp_lt_i32_e32 vcc, -1, v0
	v_mov_b32_e32 v0, 0xff800000
	v_mov_b32_e32 v1, 0x7f800000
	v_cndmask_b32_e32 v0, v0, v1, vcc
	v_cmp_eq_u32_e32 vcc, 0, v5
	v_mov_b32_e32 v1, 0x7f800001
	v_cndmask_b32_e32 v3, v1, v0, vcc
; %bb.17116:                            ;   in Loop: Header=BB6_13186 Depth=3
	s_or_b64 exec, exec, s[34:35]
.LBB6_17117:                            ;   in Loop: Header=BB6_13186 Depth=3
	s_or_b64 exec, exec, s[30:31]
.LBB6_17118:                            ;   in Loop: Header=BB6_13186 Depth=3
	s_or_b64 exec, exec, s[28:29]
	v_cmp_lt_u32_e32 vcc, s57, v10
	s_and_saveexec_b64 s[28:29], vcc
	s_cbranch_execz .LBB6_17126
; %bb.17119:                            ;   in Loop: Header=BB6_13186 Depth=3
	v_lshrrev_b32_e32 v0, 24, v10
	v_cmp_ne_u32_e32 vcc, s97, v0
	v_bfrev_b32_e32 v2, 1
	s_and_saveexec_b64 s[30:31], vcc
	s_cbranch_execz .LBB6_17125
; %bb.17120:                            ;   in Loop: Header=BB6_13186 Depth=3
	v_and_b32_e32 v2, 0x7c000000, v10
	v_bfe_u32 v1, v10, 24, 2
	v_cmp_ne_u32_e32 vcc, s68, v2
                                        ; implicit-def: $vgpr2
	s_and_saveexec_b64 s[62:63], vcc
	s_xor_b64 s[34:35], exec, s[62:63]
	s_cbranch_execz .LBB6_17122
; %bb.17121:                            ;   in Loop: Header=BB6_13186 Depth=3
	v_ffbh_u32_e32 v5, v1
	v_min_u32_e32 v5, 32, v5
	v_subrev_u32_e32 v16, 29, v5
	v_bfe_u32 v2, v10, 26, 5
	v_lshlrev_b64 v[22:23], v16, v[0:1]
	v_sub_u32_e32 v0, 30, v5
	v_cmp_eq_u32_e32 vcc, 0, v2
	v_and_b32_e32 v5, 3, v22
	v_cndmask_b32_e32 v0, v2, v0, vcc
	v_and_b32_e32 v2, 0x80000000, v10
	v_cndmask_b32_e32 v1, v1, v5, vcc
	v_lshl_add_u32 v0, v0, 23, v2
	v_lshl_or_b32 v0, v1, 21, v0
	v_add_u32_e32 v2, 0x38000000, v0
                                        ; implicit-def: $vgpr1
.LBB6_17122:                            ;   in Loop: Header=BB6_13186 Depth=3
	s_andn2_saveexec_b64 s[34:35], s[34:35]
; %bb.17123:                            ;   in Loop: Header=BB6_13186 Depth=3
	v_cmp_lt_i32_e32 vcc, -1, v10
	v_mov_b32_e32 v0, 0xff800000
	v_mov_b32_e32 v2, 0x7f800000
	v_cndmask_b32_e32 v0, v0, v2, vcc
	v_cmp_eq_u32_e32 vcc, 0, v1
	v_mov_b32_e32 v1, 0x7f800001
	v_cndmask_b32_e32 v2, v1, v0, vcc
; %bb.17124:                            ;   in Loop: Header=BB6_13186 Depth=3
	s_or_b64 exec, exec, s[34:35]
.LBB6_17125:                            ;   in Loop: Header=BB6_13186 Depth=3
	s_or_b64 exec, exec, s[30:31]
.LBB6_17126:                            ;   in Loop: Header=BB6_13186 Depth=3
	s_or_b64 exec, exec, s[28:29]
	v_add_f32_e32 v2, v3, v2
	v_and_b32_e32 v22, 0x7f800000, v2
	v_mov_b32_e32 v23, v33
	v_cmp_ne_u64_e32 vcc, s[76:77], v[22:23]
	v_and_b32_e32 v0, 0x7fffff, v2
	v_mov_b32_e32 v1, v33
                                        ; implicit-def: $vgpr39
	s_and_saveexec_b64 s[28:29], vcc
	s_xor_b64 s[30:31], exec, s[28:29]
	s_cbranch_execz .LBB6_17140
; %bb.17127:                            ;   in Loop: Header=BB6_13186 Depth=3
	v_and_b32_e32 v22, 0x7fffffff, v2
	v_mov_b32_e32 v23, v33
	v_cmp_gt_u64_e32 vcc, s[78:79], v[22:23]
	v_and_b32_sdwa v3, v2, s97 dst_sel:DWORD dst_unused:UNUSED_PAD src0_sel:BYTE_3 src1_sel:DWORD
                                        ; implicit-def: $vgpr39
	s_and_saveexec_b64 s[28:29], vcc
	s_xor_b64 s[34:35], exec, s[28:29]
	s_cbranch_execz .LBB6_17137
; %bb.17128:                            ;   in Loop: Header=BB6_13186 Depth=3
	v_mov_b32_e32 v39, 0
	v_cmp_ne_u32_e32 vcc, 0, v2
	s_and_saveexec_b64 s[36:37], vcc
	s_cbranch_execz .LBB6_17136
; %bb.17129:                            ;   in Loop: Header=BB6_13186 Depth=3
	v_bfe_u32 v5, v2, 23, 8
	v_cmp_gt_u32_e64 s[28:29], s47, v5
	v_sub_u32_e32 v2, 0x71, v5
	v_cmp_eq_u32_e32 vcc, 0, v5
	v_cndmask_b32_e64 v2, 0, v2, s[28:29]
	v_mov_b32_e32 v17, 0x70
	v_cndmask_b32_e32 v22, v2, v17, vcc
	v_add_u32_e32 v2, 21, v22
	v_mov_b32_e32 v31, v49
	v_mov_b32_e32 v23, v48
	v_or_b32_e32 v16, 0x800000, v0
	v_lshlrev_b64 v[48:49], v2, -1
	v_cndmask_b32_e32 v0, v16, v0, vcc
	v_add_u32_e32 v2, 20, v22
	v_bfi_b32 v48, v48, 0, v0
	v_lshlrev_b64 v[16:17], v2, 1
	v_lshrrev_b64 v[0:1], v22, v[0:1]
	v_bfi_b32 v49, v49, 0, 0
	v_cmp_eq_u64_e64 s[28:29], v[48:49], v[16:17]
	v_mov_b32_e32 v2, v1
	v_mov_b32_e32 v1, v0
	s_and_saveexec_b64 s[38:39], s[28:29]
; %bb.17130:                            ;   in Loop: Header=BB6_13186 Depth=3
	v_bfe_u32 v1, v0, 21, 1
	v_add_co_u32_e64 v1, s[28:29], v0, v1
	v_add_co_u32_e64 v1, s[28:29], -1, v1
; %bb.17131:                            ;   in Loop: Header=BB6_13186 Depth=3
	s_or_b64 exec, exec, s[38:39]
	v_add_u32_e32 v2, 0xffffff81, v5
	v_mov_b32_e32 v5, 0xffffff82
	v_cndmask_b32_e32 v2, v2, v5, vcc
	v_lshrrev_b32_e32 v5, 23, v0
	v_add3_u32 v22, v22, v2, v5
	v_add_u32_e32 v5, 14, v22
	v_and_b32_e32 v1, 0x1fffff, v1
	v_add_u32_e32 v0, v1, v0
	v_mov_b32_e32 v1, v33
	v_cmp_ne_u32_e32 vcc, 0, v5
                                        ; implicit-def: $vgpr2
	s_and_saveexec_b64 s[28:29], vcc
	s_xor_b64 s[28:29], exec, s[28:29]
; %bb.17132:                            ;   in Loop: Header=BB6_13186 Depth=3
	v_cmp_lt_u64_e32 vcc, s[88:89], v[0:1]
	v_add_u32_e32 v2, 15, v22
	v_cndmask_b32_e32 v2, v5, v2, vcc
	v_cndmask_b32_e64 v5, 0, 1, vcc
	v_lshrrev_b64 v[0:1], v5, v[0:1]
; %bb.17133:                            ;   in Loop: Header=BB6_13186 Depth=3
	s_or_saveexec_b64 s[28:29], s[28:29]
	v_mov_b32_e32 v48, v23
	v_mov_b32_e32 v49, v31
	s_xor_b64 exec, exec, s[28:29]
; %bb.17134:                            ;   in Loop: Header=BB6_13186 Depth=3
	v_bfe_u32 v2, v0, 23, 1
; %bb.17135:                            ;   in Loop: Header=BB6_13186 Depth=3
	s_or_b64 exec, exec, s[28:29]
	v_lshrrev_b64 v[0:1], 21, v[0:1]
	v_cmp_gt_i32_e32 vcc, 32, v2
	v_cndmask_b32_e32 v1, 0, v1, vcc
	v_cndmask_b32_e32 v0, 3, v0, vcc
	v_cmp_eq_u64_e64 s[28:29], 0, v[0:1]
	v_min_i32_e32 v1, 31, v2
	v_lshlrev_b32_e32 v1, 2, v1
	v_cmp_eq_u32_e32 vcc, 0, v2
	v_and_b32_e32 v1, 0xfc, v1
	v_and_or_b32 v0, v0, 3, v1
	s_and_b64 s[28:29], vcc, s[28:29]
	v_cndmask_b32_e64 v0, v0, 0, s[28:29]
	v_or_b32_e32 v39, v0, v3
.LBB6_17136:                            ;   in Loop: Header=BB6_13186 Depth=3
	s_or_b64 exec, exec, s[36:37]
                                        ; implicit-def: $vgpr3
.LBB6_17137:                            ;   in Loop: Header=BB6_13186 Depth=3
	s_andn2_saveexec_b64 s[28:29], s[34:35]
; %bb.17138:                            ;   in Loop: Header=BB6_13186 Depth=3
	v_or_b32_e32 v39, 0x7b, v3
; %bb.17139:                            ;   in Loop: Header=BB6_13186 Depth=3
	s_or_b64 exec, exec, s[28:29]
                                        ; implicit-def: $vgpr2
                                        ; implicit-def: $vgpr0_vgpr1
.LBB6_17140:                            ;   in Loop: Header=BB6_13186 Depth=3
	s_andn2_saveexec_b64 s[28:29], s[30:31]
	s_cbranch_execz .LBB6_17146
; %bb.17141:                            ;   in Loop: Header=BB6_13186 Depth=3
	v_cmp_ne_u64_e32 vcc, 0, v[0:1]
                                        ; implicit-def: $vgpr39
	s_and_saveexec_b64 s[62:63], vcc
	s_xor_b64 vcc, exec, s[62:63]
; %bb.17142:                            ;   in Loop: Header=BB6_13186 Depth=3
	v_or_b32_sdwa v39, v2, s44 dst_sel:DWORD dst_unused:UNUSED_PAD src0_sel:BYTE_3 src1_sel:DWORD
                                        ; implicit-def: $vgpr2
; %bb.17143:                            ;   in Loop: Header=BB6_13186 Depth=3
	s_andn2_saveexec_b64 s[30:31], vcc
; %bb.17144:                            ;   in Loop: Header=BB6_13186 Depth=3
	v_cmp_lt_i32_e32 vcc, -1, v2
	v_bfrev_b32_e32 v0, 0.5
	v_mov_b32_e32 v1, 0x7c
	v_cndmask_b32_e32 v39, v0, v1, vcc
; %bb.17145:                            ;   in Loop: Header=BB6_13186 Depth=3
	s_or_b64 exec, exec, s[30:31]
.LBB6_17146:                            ;   in Loop: Header=BB6_13186 Depth=3
	s_or_b64 exec, exec, s[28:29]
	buffer_load_dword v0, off, s[0:3], s33 offset:156 ; 4-byte Folded Reload
	buffer_load_dword v1, off, s[0:3], s33 offset:124 ; 4-byte Folded Reload
	;; [unrolled: 1-line block ×3, first 2 shown]
	v_cmp_ne_u32_e32 vcc, 0, v24
	v_mov_b32_e32 v3, 0
	s_waitcnt vmcnt(2)
	v_lshlrev_b32_e32 v0, 24, v0
	s_waitcnt vmcnt(1)
	v_lshlrev_b32_e32 v1, 16, v1
	s_waitcnt vmcnt(0)
	v_lshl_or_b32 v22, v2, 8, v24
	v_or3_b32 v0, v1, v0, v22
	v_mov_b32_e32 v1, v33
	v_mov_b32_e32 v2, 0
	s_and_saveexec_b64 s[30:31], vcc
	s_cbranch_execz .LBB6_17154
; %bb.17147:                            ;   in Loop: Header=BB6_13186 Depth=3
	v_cmp_ne_u32_e32 vcc, s97, v24
	v_bfrev_b32_e32 v3, 1
	s_and_saveexec_b64 s[34:35], vcc
	s_cbranch_execz .LBB6_17153
; %bb.17148:                            ;   in Loop: Header=BB6_13186 Depth=3
	v_and_b32_e32 v3, 0x7c, v24
	v_and_b32_e32 v5, 3, v24
	v_cmp_ne_u32_e32 vcc, s86, v3
                                        ; implicit-def: $vgpr3
	s_and_saveexec_b64 s[28:29], vcc
	s_xor_b64 s[28:29], exec, s[28:29]
	s_cbranch_execz .LBB6_17150
; %bb.17149:                            ;   in Loop: Header=BB6_13186 Depth=3
	v_ffbh_u32_e32 v16, v5
	v_min_u32_e32 v23, 32, v16
	v_subrev_u32_e32 v16, 29, v23
	v_lshlrev_b64 v[16:17], v16, v[0:1]
	v_bfe_u32 v3, v24, 2, 5
	v_sub_u32_e32 v1, 30, v23
	v_and_b32_e32 v16, 3, v16
	v_cmp_eq_u32_e32 vcc, 0, v3
	v_cndmask_b32_e32 v1, v3, v1, vcc
	v_cndmask_b32_e32 v3, v5, v16, vcc
	v_lshlrev_b32_e32 v5, 24, v24
	v_and_b32_e32 v5, 0x80000000, v5
	v_lshl_add_u32 v1, v1, 23, v5
	v_lshl_or_b32 v1, v3, 21, v1
	v_add_u32_e32 v3, 0x38000000, v1
                                        ; implicit-def: $vgpr5
                                        ; implicit-def: $vgpr24
.LBB6_17150:                            ;   in Loop: Header=BB6_13186 Depth=3
	s_andn2_saveexec_b64 s[36:37], s[28:29]
; %bb.17151:                            ;   in Loop: Header=BB6_13186 Depth=3
	v_and_b32_e32 v1, 0x80, v24
	v_cmp_eq_u32_e64 s[28:29], 0, v1
	v_mov_b32_e32 v1, 0xff800000
	v_mov_b32_e32 v3, 0x7f800000
	v_cmp_eq_u32_e32 vcc, 0, v5
	v_cndmask_b32_e64 v1, v1, v3, s[28:29]
	v_mov_b32_e32 v3, 0x7f800001
	v_cndmask_b32_e32 v3, v3, v1, vcc
; %bb.17152:                            ;   in Loop: Header=BB6_13186 Depth=3
	s_or_b64 exec, exec, s[36:37]
.LBB6_17153:                            ;   in Loop: Header=BB6_13186 Depth=3
	s_or_b64 exec, exec, s[34:35]
.LBB6_17154:                            ;   in Loop: Header=BB6_13186 Depth=3
	s_or_b64 exec, exec, s[30:31]
	v_cmp_ne_u16_sdwa s[62:63], v11, v33 src0_sel:BYTE_0 src1_sel:DWORD
	s_and_saveexec_b64 s[28:29], s[62:63]
	s_cbranch_execz .LBB6_17162
; %bb.17155:                            ;   in Loop: Header=BB6_13186 Depth=3
	v_cmp_ne_u16_sdwa s[62:63], v11, s97 src0_sel:BYTE_0 src1_sel:DWORD
	v_bfrev_b32_e32 v2, 1
	s_and_saveexec_b64 s[30:31], s[62:63]
	s_cbranch_execz .LBB6_17161
; %bb.17156:                            ;   in Loop: Header=BB6_13186 Depth=3
	v_and_b32_e32 v2, 0x7c, v11
	v_and_b32_e32 v1, 3, v11
	v_cmp_ne_u32_e32 vcc, s86, v2
                                        ; implicit-def: $vgpr2
	s_and_saveexec_b64 s[62:63], vcc
	s_xor_b64 s[34:35], exec, s[62:63]
	s_cbranch_execz .LBB6_17158
; %bb.17157:                            ;   in Loop: Header=BB6_13186 Depth=3
	v_ffbh_u32_e32 v5, v1
	v_min_u32_e32 v5, 32, v5
	v_mov_b32_e32 v16, v11
	v_mov_b32_e32 v17, v33
	v_bfe_u32 v2, v11, 2, 5
	v_subrev_u32_e32 v23, 29, v5
	v_lshlrev_b64 v[16:17], v23, v[16:17]
	v_sub_u32_e32 v5, 30, v5
	v_cmp_eq_u32_e32 vcc, 0, v2
	v_cndmask_b32_e32 v2, v2, v5, vcc
	v_lshlrev_b32_e32 v5, 24, v11
	v_and_b32_e32 v16, 3, v16
	v_and_b32_e32 v5, 0x80000000, v5
	v_cndmask_b32_e32 v1, v1, v16, vcc
	v_lshl_add_u32 v2, v2, 23, v5
	v_lshl_or_b32 v1, v1, 21, v2
	v_add_u32_e32 v2, 0x38000000, v1
                                        ; implicit-def: $vgpr1
.LBB6_17158:                            ;   in Loop: Header=BB6_13186 Depth=3
	s_andn2_saveexec_b64 s[34:35], s[34:35]
; %bb.17159:                            ;   in Loop: Header=BB6_13186 Depth=3
	v_mov_b32_e32 v2, -1
	v_cmp_gt_i16_sdwa vcc, sext(v11), v2 src0_sel:BYTE_0 src1_sel:DWORD
	v_mov_b32_e32 v2, 0xff800000
	v_mov_b32_e32 v5, 0x7f800000
	v_cndmask_b32_e32 v2, v2, v5, vcc
	v_cmp_eq_u32_e32 vcc, 0, v1
	v_mov_b32_e32 v1, 0x7f800001
	v_cndmask_b32_e32 v2, v1, v2, vcc
; %bb.17160:                            ;   in Loop: Header=BB6_13186 Depth=3
	s_or_b64 exec, exec, s[34:35]
.LBB6_17161:                            ;   in Loop: Header=BB6_13186 Depth=3
	s_or_b64 exec, exec, s[30:31]
.LBB6_17162:                            ;   in Loop: Header=BB6_13186 Depth=3
	s_or_b64 exec, exec, s[28:29]
	v_add_f32_e32 v3, v3, v2
	v_and_b32_e32 v16, 0x7f800000, v3
	v_mov_b32_e32 v17, v33
	v_cmp_ne_u64_e32 vcc, s[76:77], v[16:17]
	v_and_b32_e32 v1, 0x7fffff, v3
	v_mov_b32_e32 v2, v33
                                        ; implicit-def: $vgpr24
	s_and_saveexec_b64 s[28:29], vcc
	s_xor_b64 s[30:31], exec, s[28:29]
	s_cbranch_execz .LBB6_17176
; %bb.17163:                            ;   in Loop: Header=BB6_13186 Depth=3
	v_and_b32_e32 v16, 0x7fffffff, v3
	v_mov_b32_e32 v17, v33
	v_cmp_gt_u64_e32 vcc, s[78:79], v[16:17]
	v_and_b32_sdwa v5, v3, s97 dst_sel:DWORD dst_unused:UNUSED_PAD src0_sel:BYTE_3 src1_sel:DWORD
                                        ; implicit-def: $vgpr24
	s_and_saveexec_b64 s[28:29], vcc
	s_xor_b64 s[34:35], exec, s[28:29]
	s_cbranch_execz .LBB6_17173
; %bb.17164:                            ;   in Loop: Header=BB6_13186 Depth=3
	v_mov_b32_e32 v24, 0
	v_cmp_ne_u32_e32 vcc, 0, v3
	s_and_saveexec_b64 s[36:37], vcc
	s_cbranch_execz .LBB6_17172
; %bb.17165:                            ;   in Loop: Header=BB6_13186 Depth=3
	v_bfe_u32 v23, v3, 23, 8
	v_cmp_gt_u32_e64 s[28:29], s47, v23
	v_sub_u32_e32 v3, 0x71, v23
	v_cmp_eq_u32_e32 vcc, 0, v23
	v_cndmask_b32_e64 v3, 0, v3, s[28:29]
	v_mov_b32_e32 v17, 0x70
	v_cndmask_b32_e32 v24, v3, v17, vcc
	v_or_b32_e32 v16, 0x800000, v1
	v_add_u32_e32 v3, 21, v24
	v_cndmask_b32_e32 v1, v16, v1, vcc
	v_lshlrev_b64 v[16:17], v3, -1
	v_add_u32_e32 v3, 20, v24
	v_mov_b32_e32 v35, v49
	v_mov_b32_e32 v31, v48
	v_bfi_b32 v16, v16, 0, v1
	v_lshlrev_b64 v[48:49], v3, 1
	v_lshrrev_b64 v[1:2], v24, v[1:2]
	v_bfi_b32 v17, v17, 0, 0
	v_cmp_eq_u64_e64 s[28:29], v[16:17], v[48:49]
	v_mov_b32_e32 v3, v2
	v_mov_b32_e32 v2, v1
	s_and_saveexec_b64 s[38:39], s[28:29]
; %bb.17166:                            ;   in Loop: Header=BB6_13186 Depth=3
	v_bfe_u32 v2, v1, 21, 1
	v_add_co_u32_e64 v2, s[28:29], v1, v2
	v_add_co_u32_e64 v2, s[28:29], -1, v2
; %bb.17167:                            ;   in Loop: Header=BB6_13186 Depth=3
	s_or_b64 exec, exec, s[38:39]
	v_add_u32_e32 v3, 0xffffff81, v23
	v_mov_b32_e32 v16, 0xffffff82
	v_cndmask_b32_e32 v3, v3, v16, vcc
	v_lshrrev_b32_e32 v16, 23, v1
	v_add3_u32 v24, v24, v3, v16
	v_add_u32_e32 v23, 14, v24
	v_and_b32_e32 v2, 0x1fffff, v2
	v_add_u32_e32 v1, v2, v1
	v_mov_b32_e32 v2, v33
	v_cmp_ne_u32_e32 vcc, 0, v23
                                        ; implicit-def: $vgpr3
	s_and_saveexec_b64 s[28:29], vcc
	s_xor_b64 s[28:29], exec, s[28:29]
; %bb.17168:                            ;   in Loop: Header=BB6_13186 Depth=3
	v_cmp_lt_u64_e32 vcc, s[88:89], v[1:2]
	v_add_u32_e32 v3, 15, v24
	v_cndmask_b32_e64 v16, 0, 1, vcc
	v_lshrrev_b64 v[1:2], v16, v[1:2]
	v_cndmask_b32_e32 v3, v23, v3, vcc
; %bb.17169:                            ;   in Loop: Header=BB6_13186 Depth=3
	s_or_saveexec_b64 s[28:29], s[28:29]
	v_mov_b32_e32 v48, v31
	v_mov_b32_e32 v49, v35
	s_xor_b64 exec, exec, s[28:29]
; %bb.17170:                            ;   in Loop: Header=BB6_13186 Depth=3
	v_bfe_u32 v3, v1, 23, 1
; %bb.17171:                            ;   in Loop: Header=BB6_13186 Depth=3
	s_or_b64 exec, exec, s[28:29]
	v_lshrrev_b64 v[1:2], 21, v[1:2]
	v_cmp_gt_i32_e32 vcc, 32, v3
	v_cndmask_b32_e32 v2, 0, v2, vcc
	v_cndmask_b32_e32 v1, 3, v1, vcc
	v_cmp_eq_u64_e64 s[28:29], 0, v[1:2]
	v_min_i32_e32 v2, 31, v3
	v_lshlrev_b32_e32 v2, 2, v2
	v_cmp_eq_u32_e32 vcc, 0, v3
	v_and_b32_e32 v2, 0xfc, v2
	v_and_or_b32 v1, v1, 3, v2
	s_and_b64 s[28:29], vcc, s[28:29]
	v_cndmask_b32_e64 v1, v1, 0, s[28:29]
	v_or_b32_e32 v24, v1, v5
.LBB6_17172:                            ;   in Loop: Header=BB6_13186 Depth=3
	s_or_b64 exec, exec, s[36:37]
                                        ; implicit-def: $vgpr5
.LBB6_17173:                            ;   in Loop: Header=BB6_13186 Depth=3
	s_andn2_saveexec_b64 s[28:29], s[34:35]
; %bb.17174:                            ;   in Loop: Header=BB6_13186 Depth=3
	v_or_b32_e32 v24, 0x7b, v5
; %bb.17175:                            ;   in Loop: Header=BB6_13186 Depth=3
	s_or_b64 exec, exec, s[28:29]
                                        ; implicit-def: $vgpr3
                                        ; implicit-def: $vgpr1_vgpr2
.LBB6_17176:                            ;   in Loop: Header=BB6_13186 Depth=3
	s_andn2_saveexec_b64 s[28:29], s[30:31]
	s_cbranch_execz .LBB6_17182
; %bb.17177:                            ;   in Loop: Header=BB6_13186 Depth=3
	v_cmp_ne_u64_e32 vcc, 0, v[1:2]
                                        ; implicit-def: $vgpr24
	s_and_saveexec_b64 s[62:63], vcc
	s_xor_b64 vcc, exec, s[62:63]
; %bb.17178:                            ;   in Loop: Header=BB6_13186 Depth=3
	v_or_b32_sdwa v24, v3, s44 dst_sel:DWORD dst_unused:UNUSED_PAD src0_sel:BYTE_3 src1_sel:DWORD
                                        ; implicit-def: $vgpr3
; %bb.17179:                            ;   in Loop: Header=BB6_13186 Depth=3
	s_andn2_saveexec_b64 s[30:31], vcc
; %bb.17180:                            ;   in Loop: Header=BB6_13186 Depth=3
	v_cmp_lt_i32_e32 vcc, -1, v3
	v_bfrev_b32_e32 v1, 0.5
	v_mov_b32_e32 v2, 0x7c
	v_cndmask_b32_e32 v24, v1, v2, vcc
; %bb.17181:                            ;   in Loop: Header=BB6_13186 Depth=3
	s_or_b64 exec, exec, s[30:31]
.LBB6_17182:                            ;   in Loop: Header=BB6_13186 Depth=3
	s_or_b64 exec, exec, s[28:29]
	v_lshrrev_b16_e32 v1, 8, v22
	v_cmp_ne_u16_e32 vcc, 0, v1
	v_mov_b32_e32 v3, 0
	v_mov_b32_e32 v5, 0
	s_and_saveexec_b64 s[28:29], vcc
	s_cbranch_execz .LBB6_17190
; %bb.17183:                            ;   in Loop: Header=BB6_13186 Depth=3
	v_cmp_ne_u16_e32 vcc, s97, v1
	v_bfrev_b32_e32 v5, 1
	s_and_saveexec_b64 s[30:31], vcc
	s_cbranch_execz .LBB6_17189
; %bb.17184:                            ;   in Loop: Header=BB6_13186 Depth=3
	v_and_b32_e32 v2, 0x7c, v1
	v_and_b32_e32 v23, 3, v1
	v_cmp_ne_u32_e32 vcc, s86, v2
                                        ; implicit-def: $vgpr5
	s_and_saveexec_b64 s[62:63], vcc
	s_xor_b64 s[34:35], exec, s[62:63]
	s_cbranch_execz .LBB6_17186
; %bb.17185:                            ;   in Loop: Header=BB6_13186 Depth=3
	v_ffbh_u32_e32 v16, v23
	v_min_u32_e32 v16, 32, v16
	v_mov_b32_e32 v2, v33
	v_subrev_u32_e32 v17, 29, v16
	v_bfe_u32 v5, v1, 2, 5
	v_lshlrev_b64 v[1:2], v17, v[1:2]
	v_sub_u32_e32 v2, 30, v16
	v_cmp_eq_u32_e32 vcc, 0, v5
	v_cndmask_b32_e32 v2, v5, v2, vcc
	v_lshlrev_b32_e32 v5, 16, v22
	v_and_b32_e32 v1, 3, v1
	v_and_b32_e32 v5, 0x80000000, v5
	v_cndmask_b32_e32 v1, v23, v1, vcc
	v_lshl_add_u32 v2, v2, 23, v5
	v_lshl_or_b32 v1, v1, 21, v2
	v_add_u32_e32 v5, 0x38000000, v1
                                        ; implicit-def: $vgpr23
                                        ; implicit-def: $vgpr22
.LBB6_17186:                            ;   in Loop: Header=BB6_13186 Depth=3
	s_andn2_saveexec_b64 s[34:35], s[34:35]
; %bb.17187:                            ;   in Loop: Header=BB6_13186 Depth=3
	v_cmp_lt_i16_e32 vcc, -1, v22
	v_mov_b32_e32 v1, 0xff800000
	v_mov_b32_e32 v2, 0x7f800000
	v_cndmask_b32_e32 v1, v1, v2, vcc
	v_cmp_eq_u32_e32 vcc, 0, v23
	v_mov_b32_e32 v2, 0x7f800001
	v_cndmask_b32_e32 v5, v2, v1, vcc
; %bb.17188:                            ;   in Loop: Header=BB6_13186 Depth=3
	s_or_b64 exec, exec, s[34:35]
.LBB6_17189:                            ;   in Loop: Header=BB6_13186 Depth=3
	s_or_b64 exec, exec, s[30:31]
.LBB6_17190:                            ;   in Loop: Header=BB6_13186 Depth=3
	s_or_b64 exec, exec, s[28:29]
	v_lshrrev_b16_e32 v1, 8, v11
	v_cmp_ne_u16_e32 vcc, 0, v1
	s_and_saveexec_b64 s[28:29], vcc
	s_cbranch_execz .LBB6_17198
; %bb.17191:                            ;   in Loop: Header=BB6_13186 Depth=3
	v_cmp_ne_u16_e32 vcc, s97, v1
	v_bfrev_b32_e32 v3, 1
	s_and_saveexec_b64 s[30:31], vcc
	s_cbranch_execz .LBB6_17197
; %bb.17192:                            ;   in Loop: Header=BB6_13186 Depth=3
	v_and_b32_e32 v2, 0x7c, v1
	v_and_b32_e32 v22, 3, v1
	v_cmp_ne_u32_e32 vcc, s86, v2
                                        ; implicit-def: $vgpr3
	s_and_saveexec_b64 s[62:63], vcc
	s_xor_b64 s[34:35], exec, s[62:63]
	s_cbranch_execz .LBB6_17194
; %bb.17193:                            ;   in Loop: Header=BB6_13186 Depth=3
	v_ffbh_u32_e32 v16, v22
	v_min_u32_e32 v16, 32, v16
	v_mov_b32_e32 v2, v33
	v_subrev_u32_e32 v17, 29, v16
	v_bfe_u32 v3, v1, 2, 5
	v_lshlrev_b64 v[1:2], v17, v[1:2]
	v_sub_u32_e32 v2, 30, v16
	v_cmp_eq_u32_e32 vcc, 0, v3
	v_cndmask_b32_e32 v2, v3, v2, vcc
	v_lshlrev_b32_e32 v3, 16, v11
	v_and_b32_e32 v1, 3, v1
	v_and_b32_e32 v3, 0x80000000, v3
	v_cndmask_b32_e32 v1, v22, v1, vcc
	v_lshl_add_u32 v2, v2, 23, v3
	v_lshl_or_b32 v1, v1, 21, v2
	v_add_u32_e32 v3, 0x38000000, v1
                                        ; implicit-def: $vgpr22
.LBB6_17194:                            ;   in Loop: Header=BB6_13186 Depth=3
	s_andn2_saveexec_b64 s[34:35], s[34:35]
; %bb.17195:                            ;   in Loop: Header=BB6_13186 Depth=3
	v_cmp_lt_i16_e32 vcc, -1, v11
	v_mov_b32_e32 v1, 0xff800000
	v_mov_b32_e32 v2, 0x7f800000
	v_cndmask_b32_e32 v1, v1, v2, vcc
	v_cmp_eq_u32_e32 vcc, 0, v22
	v_mov_b32_e32 v2, 0x7f800001
	v_cndmask_b32_e32 v3, v2, v1, vcc
; %bb.17196:                            ;   in Loop: Header=BB6_13186 Depth=3
	s_or_b64 exec, exec, s[34:35]
.LBB6_17197:                            ;   in Loop: Header=BB6_13186 Depth=3
	s_or_b64 exec, exec, s[30:31]
.LBB6_17198:                            ;   in Loop: Header=BB6_13186 Depth=3
	s_or_b64 exec, exec, s[28:29]
	v_add_f32_e32 v3, v5, v3
	v_and_b32_e32 v16, 0x7f800000, v3
	v_mov_b32_e32 v17, v33
	v_cmp_ne_u64_e32 vcc, s[76:77], v[16:17]
	v_and_b32_e32 v1, 0x7fffff, v3
	v_mov_b32_e32 v2, v33
                                        ; implicit-def: $vgpr22
	s_and_saveexec_b64 s[28:29], vcc
	s_xor_b64 s[30:31], exec, s[28:29]
	s_cbranch_execz .LBB6_17212
; %bb.17199:                            ;   in Loop: Header=BB6_13186 Depth=3
	v_and_b32_e32 v16, 0x7fffffff, v3
	v_mov_b32_e32 v17, v33
	v_cmp_gt_u64_e32 vcc, s[78:79], v[16:17]
	v_and_b32_sdwa v5, v3, s97 dst_sel:DWORD dst_unused:UNUSED_PAD src0_sel:BYTE_3 src1_sel:DWORD
                                        ; implicit-def: $vgpr22
	s_and_saveexec_b64 s[28:29], vcc
	s_xor_b64 s[34:35], exec, s[28:29]
	s_cbranch_execz .LBB6_17209
; %bb.17200:                            ;   in Loop: Header=BB6_13186 Depth=3
	v_mov_b32_e32 v22, 0
	v_cmp_ne_u32_e32 vcc, 0, v3
	s_and_saveexec_b64 s[36:37], vcc
	s_cbranch_execz .LBB6_17208
; %bb.17201:                            ;   in Loop: Header=BB6_13186 Depth=3
	v_bfe_u32 v22, v3, 23, 8
	v_cmp_gt_u32_e64 s[28:29], s47, v22
	v_sub_u32_e32 v3, 0x71, v22
	v_cmp_eq_u32_e32 vcc, 0, v22
	v_cndmask_b32_e64 v3, 0, v3, s[28:29]
	v_mov_b32_e32 v17, 0x70
	v_cndmask_b32_e32 v23, v3, v17, vcc
	v_or_b32_e32 v16, 0x800000, v1
	v_add_u32_e32 v3, 21, v23
	v_cndmask_b32_e32 v1, v16, v1, vcc
	v_lshlrev_b64 v[16:17], v3, -1
	v_add_u32_e32 v3, 20, v23
	v_mov_b32_e32 v35, v49
	v_mov_b32_e32 v31, v48
	v_bfi_b32 v16, v16, 0, v1
	v_lshlrev_b64 v[48:49], v3, 1
	v_lshrrev_b64 v[1:2], v23, v[1:2]
	v_bfi_b32 v17, v17, 0, 0
	v_cmp_eq_u64_e64 s[28:29], v[16:17], v[48:49]
	v_mov_b32_e32 v3, v2
	v_mov_b32_e32 v2, v1
	s_and_saveexec_b64 s[38:39], s[28:29]
; %bb.17202:                            ;   in Loop: Header=BB6_13186 Depth=3
	v_bfe_u32 v2, v1, 21, 1
	v_add_co_u32_e64 v2, s[28:29], v1, v2
	v_add_co_u32_e64 v2, s[28:29], -1, v2
; %bb.17203:                            ;   in Loop: Header=BB6_13186 Depth=3
	s_or_b64 exec, exec, s[38:39]
	v_add_u32_e32 v3, 0xffffff81, v22
	v_mov_b32_e32 v16, 0xffffff82
	v_cndmask_b32_e32 v3, v3, v16, vcc
	v_lshrrev_b32_e32 v16, 23, v1
	v_add3_u32 v23, v23, v3, v16
	v_add_u32_e32 v22, 14, v23
	v_and_b32_e32 v2, 0x1fffff, v2
	v_add_u32_e32 v1, v2, v1
	v_mov_b32_e32 v2, v33
	v_cmp_ne_u32_e32 vcc, 0, v22
                                        ; implicit-def: $vgpr3
	s_and_saveexec_b64 s[28:29], vcc
	s_xor_b64 s[28:29], exec, s[28:29]
; %bb.17204:                            ;   in Loop: Header=BB6_13186 Depth=3
	v_cmp_lt_u64_e32 vcc, s[88:89], v[1:2]
	v_add_u32_e32 v3, 15, v23
	v_cndmask_b32_e64 v16, 0, 1, vcc
	v_lshrrev_b64 v[1:2], v16, v[1:2]
	v_cndmask_b32_e32 v3, v22, v3, vcc
; %bb.17205:                            ;   in Loop: Header=BB6_13186 Depth=3
	s_or_saveexec_b64 s[28:29], s[28:29]
	v_mov_b32_e32 v48, v31
	v_mov_b32_e32 v49, v35
	s_xor_b64 exec, exec, s[28:29]
; %bb.17206:                            ;   in Loop: Header=BB6_13186 Depth=3
	v_bfe_u32 v3, v1, 23, 1
; %bb.17207:                            ;   in Loop: Header=BB6_13186 Depth=3
	s_or_b64 exec, exec, s[28:29]
	v_lshrrev_b64 v[1:2], 21, v[1:2]
	v_cmp_gt_i32_e32 vcc, 32, v3
	v_cndmask_b32_e32 v2, 0, v2, vcc
	v_cndmask_b32_e32 v1, 3, v1, vcc
	v_cmp_eq_u64_e64 s[28:29], 0, v[1:2]
	v_min_i32_e32 v2, 31, v3
	v_lshlrev_b32_e32 v2, 2, v2
	v_cmp_eq_u32_e32 vcc, 0, v3
	v_and_b32_e32 v2, 0xfc, v2
	v_and_or_b32 v1, v1, 3, v2
	s_and_b64 s[28:29], vcc, s[28:29]
	v_cndmask_b32_e64 v1, v1, 0, s[28:29]
	v_or_b32_e32 v22, v1, v5
.LBB6_17208:                            ;   in Loop: Header=BB6_13186 Depth=3
	s_or_b64 exec, exec, s[36:37]
                                        ; implicit-def: $vgpr5
.LBB6_17209:                            ;   in Loop: Header=BB6_13186 Depth=3
	s_andn2_saveexec_b64 s[28:29], s[34:35]
; %bb.17210:                            ;   in Loop: Header=BB6_13186 Depth=3
	v_or_b32_e32 v22, 0x7b, v5
; %bb.17211:                            ;   in Loop: Header=BB6_13186 Depth=3
	s_or_b64 exec, exec, s[28:29]
                                        ; implicit-def: $vgpr3
                                        ; implicit-def: $vgpr1_vgpr2
.LBB6_17212:                            ;   in Loop: Header=BB6_13186 Depth=3
	s_andn2_saveexec_b64 s[28:29], s[30:31]
	s_cbranch_execz .LBB6_17218
; %bb.17213:                            ;   in Loop: Header=BB6_13186 Depth=3
	v_cmp_ne_u64_e32 vcc, 0, v[1:2]
                                        ; implicit-def: $vgpr22
	s_and_saveexec_b64 s[62:63], vcc
	s_xor_b64 vcc, exec, s[62:63]
; %bb.17214:                            ;   in Loop: Header=BB6_13186 Depth=3
	v_or_b32_sdwa v22, v3, s44 dst_sel:DWORD dst_unused:UNUSED_PAD src0_sel:BYTE_3 src1_sel:DWORD
                                        ; implicit-def: $vgpr3
; %bb.17215:                            ;   in Loop: Header=BB6_13186 Depth=3
	s_andn2_saveexec_b64 s[30:31], vcc
; %bb.17216:                            ;   in Loop: Header=BB6_13186 Depth=3
	v_cmp_lt_i32_e32 vcc, -1, v3
	v_bfrev_b32_e32 v1, 0.5
	v_mov_b32_e32 v2, 0x7c
	v_cndmask_b32_e32 v22, v1, v2, vcc
; %bb.17217:                            ;   in Loop: Header=BB6_13186 Depth=3
	s_or_b64 exec, exec, s[30:31]
.LBB6_17218:                            ;   in Loop: Header=BB6_13186 Depth=3
	s_or_b64 exec, exec, s[28:29]
	v_and_b32_sdwa v5, v0, s96 dst_sel:DWORD dst_unused:UNUSED_PAD src0_sel:WORD_1 src1_sel:DWORD
	v_lshrrev_b32_e32 v1, 16, v0
	v_cmp_ne_u16_e32 vcc, 0, v5
	v_mov_b32_e32 v2, 0
	v_mov_b32_e32 v3, 0
	s_and_saveexec_b64 s[28:29], vcc
	s_cbranch_execz .LBB6_17226
; %bb.17219:                            ;   in Loop: Header=BB6_13186 Depth=3
	v_cmp_ne_u16_e32 vcc, s97, v5
	v_bfrev_b32_e32 v3, 1
	s_and_saveexec_b64 s[30:31], vcc
	s_cbranch_execz .LBB6_17225
; %bb.17220:                            ;   in Loop: Header=BB6_13186 Depth=3
	v_and_b32_e32 v3, 0x7c0000, v0
	v_bfe_u32 v5, v0, 16, 2
	v_cmp_ne_u32_e32 vcc, s45, v3
                                        ; implicit-def: $vgpr3
	s_and_saveexec_b64 s[62:63], vcc
	s_xor_b64 s[34:35], exec, s[62:63]
	s_cbranch_execz .LBB6_17222
; %bb.17221:                            ;   in Loop: Header=BB6_13186 Depth=3
	v_ffbh_u32_e32 v16, v5
	v_min_u32_e32 v23, 32, v16
	v_subrev_u32_e32 v16, 29, v23
	v_lshlrev_b64 v[16:17], v16, v[1:2]
	v_bfe_u32 v3, v0, 18, 5
	v_sub_u32_e32 v1, 30, v23
	v_and_b32_e32 v16, 3, v16
	v_cmp_eq_u32_e32 vcc, 0, v3
	v_cndmask_b32_e32 v1, v3, v1, vcc
	v_cndmask_b32_e32 v3, v5, v16, vcc
	v_lshlrev_b32_e32 v5, 8, v0
	v_and_b32_e32 v5, 0x80000000, v5
	v_lshl_add_u32 v1, v1, 23, v5
	v_lshl_or_b32 v1, v3, 21, v1
	v_add_u32_e32 v3, 0x38000000, v1
                                        ; implicit-def: $vgpr5
                                        ; implicit-def: $vgpr1
.LBB6_17222:                            ;   in Loop: Header=BB6_13186 Depth=3
	s_andn2_saveexec_b64 s[34:35], s[34:35]
; %bb.17223:                            ;   in Loop: Header=BB6_13186 Depth=3
	v_mov_b32_e32 v3, -1
	v_cmp_gt_i16_sdwa vcc, sext(v1), v3 src0_sel:BYTE_0 src1_sel:DWORD
	v_mov_b32_e32 v1, 0xff800000
	v_mov_b32_e32 v3, 0x7f800000
	v_cndmask_b32_e32 v1, v1, v3, vcc
	v_cmp_eq_u32_e32 vcc, 0, v5
	v_mov_b32_e32 v3, 0x7f800001
	v_cndmask_b32_e32 v3, v3, v1, vcc
; %bb.17224:                            ;   in Loop: Header=BB6_13186 Depth=3
	s_or_b64 exec, exec, s[34:35]
.LBB6_17225:                            ;   in Loop: Header=BB6_13186 Depth=3
	s_or_b64 exec, exec, s[30:31]
.LBB6_17226:                            ;   in Loop: Header=BB6_13186 Depth=3
	s_or_b64 exec, exec, s[28:29]
	v_lshrrev_b32_e32 v1, 16, v11
	v_cmp_ne_u16_sdwa s[62:63], v1, v33 src0_sel:BYTE_0 src1_sel:DWORD
	s_and_saveexec_b64 s[28:29], s[62:63]
	s_cbranch_execz .LBB6_17234
; %bb.17227:                            ;   in Loop: Header=BB6_13186 Depth=3
	v_cmp_ne_u16_sdwa s[62:63], v1, s97 src0_sel:BYTE_0 src1_sel:DWORD
	v_bfrev_b32_e32 v2, 1
	s_and_saveexec_b64 s[30:31], s[62:63]
	s_cbranch_execz .LBB6_17233
; %bb.17228:                            ;   in Loop: Header=BB6_13186 Depth=3
	v_and_b32_e32 v2, 0x7c0000, v11
	v_bfe_u32 v5, v11, 16, 2
	v_cmp_ne_u32_e32 vcc, s45, v2
                                        ; implicit-def: $vgpr2
	s_and_saveexec_b64 s[62:63], vcc
	s_xor_b64 s[34:35], exec, s[62:63]
	s_cbranch_execz .LBB6_17230
; %bb.17229:                            ;   in Loop: Header=BB6_13186 Depth=3
	v_ffbh_u32_e32 v2, v5
	v_min_u32_e32 v17, 32, v2
	v_subrev_u32_e32 v2, 29, v17
	v_lshlrev_b64 v[1:2], v2, v[1:2]
	v_bfe_u32 v16, v11, 18, 5
	v_and_b32_e32 v1, 3, v1
	v_cmp_eq_u32_e32 vcc, 0, v16
	v_sub_u32_e32 v2, 30, v17
	v_cndmask_b32_e32 v1, v5, v1, vcc
	v_lshlrev_b32_e32 v5, 8, v11
	v_cndmask_b32_e32 v2, v16, v2, vcc
	v_and_b32_e32 v5, 0x80000000, v5
	v_lshl_add_u32 v2, v2, 23, v5
	v_lshl_or_b32 v1, v1, 21, v2
	v_add_u32_e32 v2, 0x38000000, v1
                                        ; implicit-def: $vgpr5
                                        ; implicit-def: $vgpr1
.LBB6_17230:                            ;   in Loop: Header=BB6_13186 Depth=3
	s_andn2_saveexec_b64 s[34:35], s[34:35]
; %bb.17231:                            ;   in Loop: Header=BB6_13186 Depth=3
	v_mov_b32_e32 v2, -1
	v_cmp_gt_i16_sdwa vcc, sext(v1), v2 src0_sel:BYTE_0 src1_sel:DWORD
	v_mov_b32_e32 v1, 0xff800000
	v_mov_b32_e32 v2, 0x7f800000
	v_cndmask_b32_e32 v1, v1, v2, vcc
	v_cmp_eq_u32_e32 vcc, 0, v5
	v_mov_b32_e32 v2, 0x7f800001
	v_cndmask_b32_e32 v2, v2, v1, vcc
; %bb.17232:                            ;   in Loop: Header=BB6_13186 Depth=3
	s_or_b64 exec, exec, s[34:35]
.LBB6_17233:                            ;   in Loop: Header=BB6_13186 Depth=3
	s_or_b64 exec, exec, s[30:31]
.LBB6_17234:                            ;   in Loop: Header=BB6_13186 Depth=3
	s_or_b64 exec, exec, s[28:29]
	v_add_f32_e32 v23, v3, v2
	v_and_b32_e32 v2, 0x7f800000, v23
	v_mov_b32_e32 v3, v33
	v_cmp_ne_u64_e32 vcc, s[76:77], v[2:3]
	v_and_b32_e32 v1, 0x7fffff, v23
	v_mov_b32_e32 v2, v33
                                        ; implicit-def: $vgpr3
	s_and_saveexec_b64 s[28:29], vcc
	s_xor_b64 s[30:31], exec, s[28:29]
	s_cbranch_execz .LBB6_17248
; %bb.17235:                            ;   in Loop: Header=BB6_13186 Depth=3
	v_and_b32_e32 v16, 0x7fffffff, v23
	v_mov_b32_e32 v17, v33
	v_cmp_gt_u64_e32 vcc, s[78:79], v[16:17]
	v_and_b32_sdwa v5, v23, s97 dst_sel:DWORD dst_unused:UNUSED_PAD src0_sel:BYTE_3 src1_sel:DWORD
                                        ; implicit-def: $vgpr3
	s_and_saveexec_b64 s[28:29], vcc
	s_xor_b64 s[34:35], exec, s[28:29]
	s_cbranch_execz .LBB6_17245
; %bb.17236:                            ;   in Loop: Header=BB6_13186 Depth=3
	v_mov_b32_e32 v3, 0
	v_cmp_ne_u32_e32 vcc, 0, v23
	s_and_saveexec_b64 s[36:37], vcc
	s_cbranch_execz .LBB6_17244
; %bb.17237:                            ;   in Loop: Header=BB6_13186 Depth=3
	v_bfe_u32 v23, v23, 23, 8
	v_cmp_gt_u32_e64 s[28:29], s47, v23
	v_sub_u32_e32 v3, 0x71, v23
	v_cmp_eq_u32_e32 vcc, 0, v23
	v_cndmask_b32_e64 v3, 0, v3, s[28:29]
	v_mov_b32_e32 v17, 0x70
	v_cndmask_b32_e32 v31, v3, v17, vcc
	v_or_b32_e32 v16, 0x800000, v1
	v_add_u32_e32 v3, 21, v31
	v_cndmask_b32_e32 v1, v16, v1, vcc
	v_lshlrev_b64 v[16:17], v3, -1
	v_add_u32_e32 v3, 20, v31
	v_mov_b32_e32 v7, v49
	v_mov_b32_e32 v35, v48
	v_bfi_b32 v16, v16, 0, v1
	v_lshlrev_b64 v[48:49], v3, 1
	v_lshrrev_b64 v[1:2], v31, v[1:2]
	v_bfi_b32 v17, v17, 0, 0
	v_cmp_eq_u64_e64 s[28:29], v[16:17], v[48:49]
	v_mov_b32_e32 v3, v2
	v_mov_b32_e32 v2, v1
	s_and_saveexec_b64 s[38:39], s[28:29]
; %bb.17238:                            ;   in Loop: Header=BB6_13186 Depth=3
	v_bfe_u32 v2, v1, 21, 1
	v_add_co_u32_e64 v2, s[28:29], v1, v2
	v_add_co_u32_e64 v2, s[28:29], -1, v2
; %bb.17239:                            ;   in Loop: Header=BB6_13186 Depth=3
	s_or_b64 exec, exec, s[38:39]
	v_add_u32_e32 v3, 0xffffff81, v23
	v_mov_b32_e32 v16, 0xffffff82
	v_cndmask_b32_e32 v3, v3, v16, vcc
	v_lshrrev_b32_e32 v16, 23, v1
	v_add3_u32 v31, v31, v3, v16
	v_add_u32_e32 v23, 14, v31
	v_and_b32_e32 v2, 0x1fffff, v2
	v_add_u32_e32 v1, v2, v1
	v_mov_b32_e32 v2, v33
	v_cmp_ne_u32_e32 vcc, 0, v23
                                        ; implicit-def: $vgpr3
	s_and_saveexec_b64 s[28:29], vcc
	s_xor_b64 s[28:29], exec, s[28:29]
; %bb.17240:                            ;   in Loop: Header=BB6_13186 Depth=3
	v_cmp_lt_u64_e32 vcc, s[88:89], v[1:2]
	v_add_u32_e32 v3, 15, v31
	v_cndmask_b32_e64 v16, 0, 1, vcc
	v_lshrrev_b64 v[1:2], v16, v[1:2]
	v_cndmask_b32_e32 v3, v23, v3, vcc
; %bb.17241:                            ;   in Loop: Header=BB6_13186 Depth=3
	s_or_saveexec_b64 s[28:29], s[28:29]
	v_mov_b32_e32 v48, v35
	v_mov_b32_e32 v49, v7
	s_xor_b64 exec, exec, s[28:29]
; %bb.17242:                            ;   in Loop: Header=BB6_13186 Depth=3
	v_bfe_u32 v3, v1, 23, 1
; %bb.17243:                            ;   in Loop: Header=BB6_13186 Depth=3
	s_or_b64 exec, exec, s[28:29]
	v_lshrrev_b64 v[1:2], 21, v[1:2]
	v_cmp_gt_i32_e32 vcc, 32, v3
	v_cndmask_b32_e32 v2, 0, v2, vcc
	v_cndmask_b32_e32 v1, 3, v1, vcc
	v_cmp_eq_u64_e64 s[28:29], 0, v[1:2]
	v_min_i32_e32 v2, 31, v3
	v_lshlrev_b32_e32 v2, 2, v2
	v_cmp_eq_u32_e32 vcc, 0, v3
	v_and_b32_e32 v2, 0xfc, v2
	v_and_or_b32 v1, v1, 3, v2
	s_and_b64 s[28:29], vcc, s[28:29]
	v_cndmask_b32_e64 v1, v1, 0, s[28:29]
	v_or_b32_e32 v3, v1, v5
.LBB6_17244:                            ;   in Loop: Header=BB6_13186 Depth=3
	s_or_b64 exec, exec, s[36:37]
                                        ; implicit-def: $vgpr5
.LBB6_17245:                            ;   in Loop: Header=BB6_13186 Depth=3
	s_andn2_saveexec_b64 s[28:29], s[34:35]
; %bb.17246:                            ;   in Loop: Header=BB6_13186 Depth=3
	v_or_b32_e32 v3, 0x7b, v5
; %bb.17247:                            ;   in Loop: Header=BB6_13186 Depth=3
	s_or_b64 exec, exec, s[28:29]
                                        ; implicit-def: $vgpr23
                                        ; implicit-def: $vgpr1_vgpr2
.LBB6_17248:                            ;   in Loop: Header=BB6_13186 Depth=3
	s_andn2_saveexec_b64 s[28:29], s[30:31]
	s_cbranch_execz .LBB6_17254
; %bb.17249:                            ;   in Loop: Header=BB6_13186 Depth=3
	v_cmp_ne_u64_e32 vcc, 0, v[1:2]
                                        ; implicit-def: $vgpr3
	s_and_saveexec_b64 s[62:63], vcc
	s_xor_b64 vcc, exec, s[62:63]
; %bb.17250:                            ;   in Loop: Header=BB6_13186 Depth=3
	v_or_b32_sdwa v3, v23, s44 dst_sel:DWORD dst_unused:UNUSED_PAD src0_sel:BYTE_3 src1_sel:DWORD
                                        ; implicit-def: $vgpr23
; %bb.17251:                            ;   in Loop: Header=BB6_13186 Depth=3
	s_andn2_saveexec_b64 s[30:31], vcc
; %bb.17252:                            ;   in Loop: Header=BB6_13186 Depth=3
	v_cmp_lt_i32_e32 vcc, -1, v23
	v_bfrev_b32_e32 v1, 0.5
	v_mov_b32_e32 v2, 0x7c
	v_cndmask_b32_e32 v3, v1, v2, vcc
; %bb.17253:                            ;   in Loop: Header=BB6_13186 Depth=3
	s_or_b64 exec, exec, s[30:31]
.LBB6_17254:                            ;   in Loop: Header=BB6_13186 Depth=3
	s_or_b64 exec, exec, s[28:29]
	v_cmp_lt_u32_e32 vcc, s57, v0
	v_mov_b32_e32 v2, 0
	v_mov_b32_e32 v5, 0
	s_and_saveexec_b64 s[28:29], vcc
	s_cbranch_execz .LBB6_17262
; %bb.17255:                            ;   in Loop: Header=BB6_13186 Depth=3
	v_lshrrev_b32_e32 v1, 24, v0
	v_cmp_ne_u32_e32 vcc, s97, v1
	v_bfrev_b32_e32 v5, 1
	s_and_saveexec_b64 s[30:31], vcc
	s_cbranch_execz .LBB6_17261
; %bb.17256:                            ;   in Loop: Header=BB6_13186 Depth=3
	v_and_b32_e32 v5, 0x7c000000, v0
	v_bfe_u32 v23, v0, 24, 2
	v_cmp_ne_u32_e32 vcc, s68, v5
                                        ; implicit-def: $vgpr5
	s_and_saveexec_b64 s[62:63], vcc
	s_xor_b64 s[34:35], exec, s[62:63]
	s_cbranch_execz .LBB6_17258
; %bb.17257:                            ;   in Loop: Header=BB6_13186 Depth=3
	v_ffbh_u32_e32 v16, v23
	v_min_u32_e32 v31, 32, v16
	v_subrev_u32_e32 v16, 29, v31
	v_bfe_u32 v5, v0, 26, 5
	v_lshlrev_b64 v[16:17], v16, v[1:2]
	v_sub_u32_e32 v1, 30, v31
	v_cmp_eq_u32_e32 vcc, 0, v5
	v_and_b32_e32 v16, 3, v16
	v_cndmask_b32_e32 v1, v5, v1, vcc
	v_and_b32_e32 v0, 0x80000000, v0
	v_cndmask_b32_e32 v5, v23, v16, vcc
	v_lshl_add_u32 v0, v1, 23, v0
	v_lshl_or_b32 v0, v5, 21, v0
	v_add_u32_e32 v5, 0x38000000, v0
                                        ; implicit-def: $vgpr23
                                        ; implicit-def: $vgpr0_vgpr1
.LBB6_17258:                            ;   in Loop: Header=BB6_13186 Depth=3
	s_andn2_saveexec_b64 s[34:35], s[34:35]
; %bb.17259:                            ;   in Loop: Header=BB6_13186 Depth=3
	v_cmp_lt_i32_e32 vcc, -1, v0
	v_mov_b32_e32 v0, 0xff800000
	v_mov_b32_e32 v1, 0x7f800000
	v_cndmask_b32_e32 v0, v0, v1, vcc
	v_cmp_eq_u32_e32 vcc, 0, v23
	v_mov_b32_e32 v1, 0x7f800001
	v_cndmask_b32_e32 v5, v1, v0, vcc
; %bb.17260:                            ;   in Loop: Header=BB6_13186 Depth=3
	s_or_b64 exec, exec, s[34:35]
.LBB6_17261:                            ;   in Loop: Header=BB6_13186 Depth=3
	s_or_b64 exec, exec, s[30:31]
.LBB6_17262:                            ;   in Loop: Header=BB6_13186 Depth=3
	s_or_b64 exec, exec, s[28:29]
	v_cmp_lt_u64_e32 vcc, s[56:57], v[10:11]
	s_and_saveexec_b64 s[28:29], vcc
	s_cbranch_execz .LBB6_17270
; %bb.17263:                            ;   in Loop: Header=BB6_13186 Depth=3
	v_lshrrev_b32_e32 v0, 24, v11
	v_cmp_ne_u32_e32 vcc, s97, v0
	v_bfrev_b32_e32 v2, 1
	s_and_saveexec_b64 s[30:31], vcc
	s_cbranch_execz .LBB6_17269
; %bb.17264:                            ;   in Loop: Header=BB6_13186 Depth=3
	v_and_b32_e32 v2, 0x7c000000, v11
	v_bfe_u32 v1, v11, 24, 2
	v_cmp_ne_u32_e32 vcc, s68, v2
                                        ; implicit-def: $vgpr2
	s_and_saveexec_b64 s[62:63], vcc
	s_xor_b64 s[34:35], exec, s[62:63]
	s_cbranch_execz .LBB6_17266
; %bb.17265:                            ;   in Loop: Header=BB6_13186 Depth=3
	v_ffbh_u32_e32 v10, v1
	v_min_u32_e32 v10, 32, v10
	v_subrev_u32_e32 v16, 29, v10
	v_bfe_u32 v2, v11, 26, 5
	v_lshlrev_b64 v[16:17], v16, v[0:1]
	v_sub_u32_e32 v0, 30, v10
	v_cmp_eq_u32_e32 vcc, 0, v2
	v_and_b32_e32 v10, 3, v16
	v_cndmask_b32_e32 v0, v2, v0, vcc
	v_and_b32_e32 v2, 0x80000000, v11
	v_cndmask_b32_e32 v1, v1, v10, vcc
	v_lshl_add_u32 v0, v0, 23, v2
	v_lshl_or_b32 v0, v1, 21, v0
	v_add_u32_e32 v2, 0x38000000, v0
                                        ; implicit-def: $vgpr1
                                        ; implicit-def: $vgpr10_vgpr11
.LBB6_17266:                            ;   in Loop: Header=BB6_13186 Depth=3
	s_andn2_saveexec_b64 s[34:35], s[34:35]
; %bb.17267:                            ;   in Loop: Header=BB6_13186 Depth=3
	v_cmp_lt_i64_e32 vcc, -1, v[10:11]
	v_mov_b32_e32 v0, 0xff800000
	v_mov_b32_e32 v2, 0x7f800000
	v_cndmask_b32_e32 v0, v0, v2, vcc
	v_cmp_eq_u32_e32 vcc, 0, v1
	v_mov_b32_e32 v1, 0x7f800001
	v_cndmask_b32_e32 v2, v1, v0, vcc
; %bb.17268:                            ;   in Loop: Header=BB6_13186 Depth=3
	s_or_b64 exec, exec, s[34:35]
.LBB6_17269:                            ;   in Loop: Header=BB6_13186 Depth=3
	s_or_b64 exec, exec, s[30:31]
.LBB6_17270:                            ;   in Loop: Header=BB6_13186 Depth=3
	s_or_b64 exec, exec, s[28:29]
	v_add_f32_e32 v10, v5, v2
	v_and_b32_e32 v1, 0x7f800000, v10
	v_mov_b32_e32 v2, v33
	v_cmp_ne_u64_e32 vcc, s[76:77], v[1:2]
	v_and_b32_e32 v0, 0x7fffff, v10
	v_mov_b32_e32 v1, v33
                                        ; implicit-def: $vgpr2
	s_and_saveexec_b64 s[28:29], vcc
	s_xor_b64 s[30:31], exec, s[28:29]
	s_cbranch_execz .LBB6_17284
; %bb.17271:                            ;   in Loop: Header=BB6_13186 Depth=3
	v_and_b32_e32 v16, 0x7fffffff, v10
	v_mov_b32_e32 v17, v33
	v_cmp_gt_u64_e32 vcc, s[78:79], v[16:17]
	v_and_b32_sdwa v5, v10, s97 dst_sel:DWORD dst_unused:UNUSED_PAD src0_sel:BYTE_3 src1_sel:DWORD
                                        ; implicit-def: $vgpr2
	s_and_saveexec_b64 s[28:29], vcc
	s_xor_b64 s[34:35], exec, s[28:29]
	s_cbranch_execz .LBB6_17281
; %bb.17272:                            ;   in Loop: Header=BB6_13186 Depth=3
	v_mov_b32_e32 v2, 0
	v_cmp_ne_u32_e32 vcc, 0, v10
	s_and_saveexec_b64 s[36:37], vcc
	s_cbranch_execz .LBB6_17280
; %bb.17273:                            ;   in Loop: Header=BB6_13186 Depth=3
	v_bfe_u32 v10, v10, 23, 8
	v_cmp_gt_u32_e64 s[28:29], s47, v10
	v_sub_u32_e32 v2, 0x71, v10
	v_cmp_eq_u32_e32 vcc, 0, v10
	v_cndmask_b32_e64 v2, 0, v2, s[28:29]
	v_mov_b32_e32 v11, 0x70
	v_cndmask_b32_e32 v11, v2, v11, vcc
	v_or_b32_e32 v16, 0x800000, v0
	v_add_u32_e32 v2, 21, v11
	v_cndmask_b32_e32 v0, v16, v0, vcc
	v_lshlrev_b64 v[16:17], v2, -1
	v_add_u32_e32 v2, 20, v11
	v_mov_b32_e32 v7, v49
	v_mov_b32_e32 v23, v48
	v_bfi_b32 v16, v16, 0, v0
	v_lshlrev_b64 v[48:49], v2, 1
	v_lshrrev_b64 v[0:1], v11, v[0:1]
	v_bfi_b32 v17, v17, 0, 0
	v_cmp_eq_u64_e64 s[28:29], v[16:17], v[48:49]
	v_mov_b32_e32 v2, v1
	v_mov_b32_e32 v1, v0
	s_and_saveexec_b64 s[38:39], s[28:29]
; %bb.17274:                            ;   in Loop: Header=BB6_13186 Depth=3
	v_bfe_u32 v1, v0, 21, 1
	v_add_co_u32_e64 v1, s[28:29], v0, v1
	v_add_co_u32_e64 v1, s[28:29], -1, v1
; %bb.17275:                            ;   in Loop: Header=BB6_13186 Depth=3
	s_or_b64 exec, exec, s[38:39]
	v_add_u32_e32 v2, 0xffffff81, v10
	v_mov_b32_e32 v10, 0xffffff82
	v_cndmask_b32_e32 v2, v2, v10, vcc
	v_lshrrev_b32_e32 v10, 23, v0
	v_add3_u32 v11, v11, v2, v10
	v_add_u32_e32 v10, 14, v11
	v_and_b32_e32 v1, 0x1fffff, v1
	v_add_u32_e32 v0, v1, v0
	v_mov_b32_e32 v1, v33
	v_cmp_ne_u32_e32 vcc, 0, v10
                                        ; implicit-def: $vgpr2
	s_and_saveexec_b64 s[28:29], vcc
	s_xor_b64 s[28:29], exec, s[28:29]
; %bb.17276:                            ;   in Loop: Header=BB6_13186 Depth=3
	v_cmp_lt_u64_e32 vcc, s[88:89], v[0:1]
	v_add_u32_e32 v2, 15, v11
	v_cndmask_b32_e32 v2, v10, v2, vcc
	v_cndmask_b32_e64 v10, 0, 1, vcc
	v_lshrrev_b64 v[0:1], v10, v[0:1]
; %bb.17277:                            ;   in Loop: Header=BB6_13186 Depth=3
	s_or_saveexec_b64 s[28:29], s[28:29]
	v_mov_b32_e32 v48, v23
	v_mov_b32_e32 v49, v7
	s_xor_b64 exec, exec, s[28:29]
; %bb.17278:                            ;   in Loop: Header=BB6_13186 Depth=3
	v_bfe_u32 v2, v0, 23, 1
; %bb.17279:                            ;   in Loop: Header=BB6_13186 Depth=3
	s_or_b64 exec, exec, s[28:29]
	v_lshrrev_b64 v[0:1], 21, v[0:1]
	v_cmp_gt_i32_e32 vcc, 32, v2
	v_cndmask_b32_e32 v1, 0, v1, vcc
	v_cndmask_b32_e32 v0, 3, v0, vcc
	v_cmp_eq_u64_e64 s[28:29], 0, v[0:1]
	v_min_i32_e32 v1, 31, v2
	v_lshlrev_b32_e32 v1, 2, v1
	v_cmp_eq_u32_e32 vcc, 0, v2
	v_and_b32_e32 v1, 0xfc, v1
	v_and_or_b32 v0, v0, 3, v1
	s_and_b64 s[28:29], vcc, s[28:29]
	v_cndmask_b32_e64 v0, v0, 0, s[28:29]
	v_or_b32_e32 v2, v0, v5
.LBB6_17280:                            ;   in Loop: Header=BB6_13186 Depth=3
	s_or_b64 exec, exec, s[36:37]
                                        ; implicit-def: $vgpr5
.LBB6_17281:                            ;   in Loop: Header=BB6_13186 Depth=3
	s_andn2_saveexec_b64 s[28:29], s[34:35]
; %bb.17282:                            ;   in Loop: Header=BB6_13186 Depth=3
	v_or_b32_e32 v2, 0x7b, v5
; %bb.17283:                            ;   in Loop: Header=BB6_13186 Depth=3
	s_or_b64 exec, exec, s[28:29]
                                        ; implicit-def: $vgpr10
                                        ; implicit-def: $vgpr0_vgpr1
.LBB6_17284:                            ;   in Loop: Header=BB6_13186 Depth=3
	s_andn2_saveexec_b64 s[28:29], s[30:31]
	s_cbranch_execz .LBB6_13185
; %bb.17285:                            ;   in Loop: Header=BB6_13186 Depth=3
	v_cmp_ne_u64_e32 vcc, 0, v[0:1]
                                        ; implicit-def: $vgpr2
	s_and_saveexec_b64 s[62:63], vcc
	s_xor_b64 vcc, exec, s[62:63]
; %bb.17286:                            ;   in Loop: Header=BB6_13186 Depth=3
	v_or_b32_sdwa v2, v10, s44 dst_sel:DWORD dst_unused:UNUSED_PAD src0_sel:BYTE_3 src1_sel:DWORD
                                        ; implicit-def: $vgpr10
; %bb.17287:                            ;   in Loop: Header=BB6_13186 Depth=3
	s_andn2_saveexec_b64 s[30:31], vcc
	s_cbranch_execz .LBB6_13184
; %bb.17288:                            ;   in Loop: Header=BB6_13186 Depth=3
	v_cmp_lt_i32_e32 vcc, -1, v10
	v_bfrev_b32_e32 v0, 0.5
	v_mov_b32_e32 v1, 0x7c
	v_cndmask_b32_e32 v2, v0, v1, vcc
	s_branch .LBB6_13184
.LBB6_17289:                            ;   in Loop: Header=BB6_13101 Depth=2
	s_or_b64 exec, exec, s[40:41]
	buffer_load_dword v40, off, s[0:3], s33 offset:564 ; 4-byte Folded Reload
	buffer_load_dword v41, off, s[0:3], s33 offset:568 ; 4-byte Folded Reload
	;; [unrolled: 1-line block ×3, first 2 shown]
.LBB6_17290:                            ;   in Loop: Header=BB6_13101 Depth=2
	s_or_b64 exec, exec, s[42:43]
	buffer_load_dword v0, off, s[0:3], s33 offset:452 ; 4-byte Folded Reload
	s_waitcnt vmcnt(1)
	v_lshlrev_b32_e32 v15, 12, v1
	s_mov_b64 s[28:29], 0
	v_mov_b32_e32 v5, 0
                                        ; implicit-def: $vgpr3
                                        ; implicit-def: $vgpr2
	s_waitcnt vmcnt(0)
	v_cmp_ne_u32_e32 vcc, v0, v15
	s_and_saveexec_b64 s[30:31], vcc
	s_cbranch_execz .LBB6_18298
; %bb.17291:                            ;   in Loop: Header=BB6_13101 Depth=2
	buffer_load_dword v0, off, s[0:3], s33 offset:452 ; 4-byte Folded Reload
	buffer_load_dword v2, off, s[0:3], s33 offset:688 ; 4-byte Folded Reload
	s_waitcnt vmcnt(1)
	v_sub_u32_e32 v1, v0, v15
	v_lshlrev_b32_e32 v0, 6, v4
	s_waitcnt vmcnt(0)
	v_sub_u32_e32 v0, v2, v0
	v_ashrrev_i32_e32 v2, 31, v0
	v_lshrrev_b32_e32 v2, 26, v2
	v_add_u32_e32 v2, v0, v2
	v_ashrrev_i32_e32 v3, 6, v2
	v_and_b32_e32 v2, 0xffffffc0, v2
	v_sub_u32_e32 v16, v0, v2
	v_ashrrev_i32_e32 v2, 31, v1
	v_lshrrev_b32_e32 v2, 22, v2
	v_add_u32_e32 v2, v1, v2
	v_and_b32_e32 v17, 0xfffffc00, v2
	v_lshlrev_b32_e32 v0, 4, v16
	v_sub_u32_e32 v18, v1, v17
	v_lshl_add_u32 v0, v3, 10, v0
	v_ashrrev_i32_e32 v4, 10, v2
	v_cmp_lt_i32_e64 s[28:29], 15, v18
	v_sub_u32_e32 v20, v1, v0
	v_addc_co_u32_e64 v1, vcc, 0, v4, s[28:29]
	v_sub_u32_e32 v19, v1, v3
	v_cmp_lt_i32_e32 vcc, 15, v20
	s_and_saveexec_b64 s[34:35], vcc
	s_cbranch_execz .LBB6_18297
; %bb.17292:                            ;   in Loop: Header=BB6_13101 Depth=2
	v_add_u32_e32 v4, v0, v15
	buffer_load_dword v0, off, s[0:3], s33 offset:508 ; 4-byte Folded Reload
	buffer_load_dword v1, off, s[0:3], s33 offset:512 ; 4-byte Folded Reload
	v_ashrrev_i32_e32 v5, 31, v4
	s_trap 2
	v_mov_b32_e32 v6, 0x7f800000
	s_mov_b64 s[36:37], 0
	s_waitcnt vmcnt(1)
	v_add_co_u32_e32 v21, vcc, v4, v0
	s_waitcnt vmcnt(0)
	v_addc_co_u32_e32 v22, vcc, v5, v1, vcc
	ds_read_b64 v[0:1], v0
	buffer_load_dword v2, off, s[0:3], s33 offset:516 ; 4-byte Folded Reload
	buffer_load_dword v3, off, s[0:3], s33 offset:520 ; 4-byte Folded Reload
	v_add_co_u32_e32 v23, vcc, v4, v40
	v_addc_co_u32_e32 v24, vcc, v5, v41, vcc
	s_waitcnt lgkmcnt(0)
	v_readfirstlane_b32 s42, v0
	s_bfe_i32 s62, s42, 0x80000
	s_and_b32 s43, s42, 3
	s_bfe_u32 s40, s42, 0x50002
	s_and_b32 s41, s42, 0x7c
	s_cmpk_eq_i32 s41, 0x7c
	s_flbit_i32_b32 s41, s43
	s_waitcnt vmcnt(1)
	v_add_co_u32_e32 v2, vcc, v4, v2
	s_waitcnt vmcnt(0)
	v_addc_co_u32_e32 v3, vcc, v5, v3, vcc
	v_add_co_u32_e32 v4, vcc, v0, v4
	v_addc_co_u32_e32 v5, vcc, v1, v5, vcc
	s_cselect_b64 vcc, -1, 0
	s_min_u32 s41, s41, 32
	s_sub_i32 s63, s41, 29
	v_lshlrev_b64 v[0:1], s63, v[0:1]
	s_sub_i32 s41, 30, s41
	s_cmp_eq_u32 s40, 0
	v_and_b32_e32 v0, 3, v0
	s_cselect_b32 s63, s41, s40
	v_mov_b32_e32 v1, s43
	s_cselect_b64 s[40:41], -1, 0
	v_cndmask_b32_e64 v0, v1, v0, s[40:41]
	s_lshl_b32 s40, s42, 24
	s_and_b32 s40, s40, 0x80000000
	s_lshl_b32 s41, s63, 23
	s_add_i32 s41, s41, s40
	v_lshlrev_b32_e32 v0, 21, v0
	s_cmp_eq_u32 s43, 0
	s_sext_i32_i8 s42, s42
	v_or_b32_e32 v0, s41, v0
	s_cselect_b64 s[40:41], -1, 0
	s_cmp_gt_i32 s42, -1
	s_cselect_b64 s[42:43], -1, 0
	v_mov_b32_e32 v1, 0xff800000
	v_cndmask_b32_e64 v1, v1, v6, s[42:43]
	v_mov_b32_e32 v6, 0x7f800001
	v_add_u32_e32 v0, 0x38000000, v0
	v_cndmask_b32_e64 v1, v6, v1, s[40:41]
	v_cndmask_b32_e32 v25, v0, v1, vcc
	s_and_b32 s52, s62, 0xff
.LBB6_17293:                            ;   Parent Loop BB6_47 Depth=1
                                        ;     Parent Loop BB6_13101 Depth=2
                                        ; =>    This Loop Header: Depth=3
                                        ;         Child Loop BB6_18274 Depth 4
	s_cmpk_lt_i32 s52, 0x80
	s_cbranch_scc1 .LBB6_17297
; %bb.17294:                            ;   in Loop: Header=BB6_17293 Depth=3
	s_and_b32 s42, 0xffff, s52
	s_mov_b64 s[40:41], -1
	s_cmpk_eq_i32 s42, 0x80
	s_cbranch_scc0 .LBB6_17296
; %bb.17295:                            ;   in Loop: Header=BB6_17293 Depth=3
	s_mov_b64 s[40:41], 0
.LBB6_17296:                            ;   in Loop: Header=BB6_17293 Depth=3
	s_brev_b32 s62, 1
	s_branch .LBB6_17299
.LBB6_17297:                            ;   in Loop: Header=BB6_17293 Depth=3
	s_mov_b64 s[40:41], 0
	s_brev_b32 s62, 1
	s_cbranch_execz .LBB6_17299
; %bb.17298:                            ;   in Loop: Header=BB6_17293 Depth=3
	s_and_b32 s40, 0xffff, s52
	s_cmp_lg_u32 s40, 0
	s_mov_b32 s62, 0
	s_cselect_b64 s[40:41], -1, 0
.LBB6_17299:                            ;   in Loop: Header=BB6_17293 Depth=3
	s_andn2_b64 vcc, exec, s[40:41]
	v_mov_b32_e32 v28, s62
	s_cbranch_vccnz .LBB6_17301
; %bb.17300:                            ;   in Loop: Header=BB6_17293 Depth=3
	v_mov_b32_e32 v28, v25
.LBB6_17301:                            ;   in Loop: Header=BB6_17293 Depth=3
	global_load_dwordx4 v[8:11], v[2:3], off glc slc
	v_mov_b32_e32 v0, 0
	s_waitcnt vmcnt(0)
	v_cmp_ne_u16_sdwa s[42:43], v8, v33 src0_sel:BYTE_0 src1_sel:DWORD
	s_and_saveexec_b64 s[40:41], s[42:43]
	s_cbranch_execz .LBB6_17309
; %bb.17302:                            ;   in Loop: Header=BB6_17293 Depth=3
	v_cmp_ne_u16_sdwa s[62:63], sext(v8), s46 src0_sel:BYTE_0 src1_sel:DWORD
	v_bfrev_b32_e32 v0, 1
	s_and_saveexec_b64 s[42:43], s[62:63]
	s_cbranch_execz .LBB6_17308
; %bb.17303:                            ;   in Loop: Header=BB6_17293 Depth=3
	v_and_b32_e32 v0, 0x7c, v8
	v_and_b32_e32 v1, 3, v8
	v_cmp_ne_u32_e32 vcc, s86, v0
                                        ; implicit-def: $vgpr0
	s_and_saveexec_b64 s[62:63], vcc
	s_xor_b64 s[38:39], exec, s[62:63]
	s_cbranch_execz .LBB6_17305
; %bb.17304:                            ;   in Loop: Header=BB6_17293 Depth=3
	v_ffbh_u32_e32 v6, v1
	v_min_u32_e32 v12, 32, v6
	v_subrev_u32_e32 v6, 29, v12
	v_lshlrev_b64 v[6:7], v6, v[8:9]
	v_bfe_u32 v0, v8, 2, 5
	v_and_b32_e32 v6, 3, v6
	v_cmp_eq_u32_e32 vcc, 0, v0
	v_sub_u32_e32 v7, 30, v12
	v_cndmask_b32_e32 v1, v1, v6, vcc
	v_lshlrev_b32_e32 v6, 24, v8
	v_cndmask_b32_e32 v0, v0, v7, vcc
	v_and_b32_e32 v6, 0x80000000, v6
	v_lshl_add_u32 v0, v0, 23, v6
	v_lshl_or_b32 v0, v1, 21, v0
	v_add_u32_e32 v0, 0x38000000, v0
                                        ; implicit-def: $vgpr1
.LBB6_17305:                            ;   in Loop: Header=BB6_17293 Depth=3
	s_andn2_saveexec_b64 s[38:39], s[38:39]
; %bb.17306:                            ;   in Loop: Header=BB6_17293 Depth=3
	v_mov_b32_e32 v0, -1
	v_cmp_gt_i16_sdwa vcc, sext(v8), v0 src0_sel:BYTE_0 src1_sel:DWORD
	v_mov_b32_e32 v0, 0xff800000
	v_mov_b32_e32 v6, 0x7f800000
	v_cndmask_b32_e32 v0, v0, v6, vcc
	v_cmp_eq_u32_e32 vcc, 0, v1
	v_mov_b32_e32 v1, 0x7f800001
	v_cndmask_b32_e32 v0, v1, v0, vcc
; %bb.17307:                            ;   in Loop: Header=BB6_17293 Depth=3
	s_or_b64 exec, exec, s[38:39]
.LBB6_17308:                            ;   in Loop: Header=BB6_17293 Depth=3
	s_or_b64 exec, exec, s[42:43]
.LBB6_17309:                            ;   in Loop: Header=BB6_17293 Depth=3
	s_or_b64 exec, exec, s[40:41]
	v_mul_f32_e32 v6, v28, v0
	v_and_b32_e32 v12, 0x7f800000, v6
	v_mov_b32_e32 v13, v33
	v_cmp_ne_u64_e32 vcc, s[76:77], v[12:13]
	v_and_b32_e32 v0, 0x7fffff, v6
	v_mov_b32_e32 v1, v33
                                        ; implicit-def: $vgpr26
	s_and_saveexec_b64 s[40:41], vcc
	s_xor_b64 s[42:43], exec, s[40:41]
	s_cbranch_execz .LBB6_17323
; %bb.17310:                            ;   in Loop: Header=BB6_17293 Depth=3
	v_and_b32_e32 v12, 0x7fffffff, v6
	v_mov_b32_e32 v13, v33
	v_cmp_gt_u64_e32 vcc, s[78:79], v[12:13]
	v_and_b32_sdwa v12, v6, s97 dst_sel:DWORD dst_unused:UNUSED_PAD src0_sel:BYTE_3 src1_sel:DWORD
                                        ; implicit-def: $vgpr26
	s_and_saveexec_b64 s[40:41], vcc
	s_xor_b64 s[38:39], exec, s[40:41]
	s_cbranch_execz .LBB6_17320
; %bb.17311:                            ;   in Loop: Header=BB6_17293 Depth=3
	v_mov_b32_e32 v26, 0
	v_cmp_ne_u32_e32 vcc, 0, v6
	s_and_saveexec_b64 s[48:49], vcc
	s_cbranch_execz .LBB6_17319
; %bb.17312:                            ;   in Loop: Header=BB6_17293 Depth=3
	v_bfe_u32 v13, v6, 23, 8
	v_cmp_gt_u32_e64 s[40:41], s47, v13
	v_sub_u32_e32 v6, 0x71, v13
	v_cmp_eq_u32_e32 vcc, 0, v13
	v_cndmask_b32_e64 v6, 0, v6, s[40:41]
	v_mov_b32_e32 v14, 0x70
	v_cndmask_b32_e32 v14, v6, v14, vcc
	v_or_b32_e32 v7, 0x800000, v0
	v_add_u32_e32 v6, 21, v14
	v_cndmask_b32_e32 v0, v7, v0, vcc
	v_lshlrev_b64 v[6:7], v6, -1
	v_add_u32_e32 v26, 20, v14
	v_bfi_b32 v6, v6, 0, v0
	v_lshlrev_b64 v[26:27], v26, 1
	v_lshrrev_b64 v[0:1], v14, v[0:1]
	v_bfi_b32 v7, v7, 0, 0
	v_cmp_eq_u64_e64 s[40:41], v[6:7], v[26:27]
	v_mov_b32_e32 v7, v1
	v_mov_b32_e32 v6, v0
	s_and_saveexec_b64 s[50:51], s[40:41]
; %bb.17313:                            ;   in Loop: Header=BB6_17293 Depth=3
	v_bfe_u32 v1, v0, 21, 1
	v_add_co_u32_e64 v1, s[40:41], v0, v1
	v_add_co_u32_e64 v6, s[40:41], -1, v1
; %bb.17314:                            ;   in Loop: Header=BB6_17293 Depth=3
	s_or_b64 exec, exec, s[50:51]
	v_add_u32_e32 v1, 0xffffff81, v13
	v_mov_b32_e32 v7, 0xffffff82
	v_cndmask_b32_e32 v1, v1, v7, vcc
	v_lshrrev_b32_e32 v7, 23, v0
	v_add3_u32 v13, v14, v1, v7
	v_add_u32_e32 v7, 14, v13
	v_and_b32_e32 v1, 0x1fffff, v6
	v_add_u32_e32 v0, v1, v0
	v_mov_b32_e32 v1, v33
	v_cmp_ne_u32_e32 vcc, 0, v7
                                        ; implicit-def: $vgpr6
	s_and_saveexec_b64 s[40:41], vcc
	s_xor_b64 s[40:41], exec, s[40:41]
; %bb.17315:                            ;   in Loop: Header=BB6_17293 Depth=3
	v_cmp_lt_u64_e32 vcc, s[88:89], v[0:1]
	v_add_u32_e32 v6, 15, v13
	v_cndmask_b32_e32 v6, v7, v6, vcc
	v_cndmask_b32_e64 v7, 0, 1, vcc
	v_lshrrev_b64 v[0:1], v7, v[0:1]
; %bb.17316:                            ;   in Loop: Header=BB6_17293 Depth=3
	s_andn2_saveexec_b64 s[40:41], s[40:41]
; %bb.17317:                            ;   in Loop: Header=BB6_17293 Depth=3
	v_bfe_u32 v6, v0, 23, 1
; %bb.17318:                            ;   in Loop: Header=BB6_17293 Depth=3
	s_or_b64 exec, exec, s[40:41]
	v_lshrrev_b64 v[0:1], 21, v[0:1]
	v_cmp_gt_i32_e32 vcc, 32, v6
	v_cndmask_b32_e32 v1, 0, v1, vcc
	v_cndmask_b32_e32 v0, 3, v0, vcc
	v_cmp_eq_u64_e64 s[40:41], 0, v[0:1]
	v_min_i32_e32 v1, 31, v6
	v_lshlrev_b32_e32 v1, 2, v1
	v_cmp_eq_u32_e32 vcc, 0, v6
	v_and_b32_e32 v1, 0xfc, v1
	v_and_or_b32 v0, v0, 3, v1
	s_and_b64 s[40:41], vcc, s[40:41]
	v_cndmask_b32_e64 v0, v0, 0, s[40:41]
	v_or_b32_e32 v26, v0, v12
.LBB6_17319:                            ;   in Loop: Header=BB6_17293 Depth=3
	s_or_b64 exec, exec, s[48:49]
                                        ; implicit-def: $vgpr12
.LBB6_17320:                            ;   in Loop: Header=BB6_17293 Depth=3
	s_andn2_saveexec_b64 s[40:41], s[38:39]
; %bb.17321:                            ;   in Loop: Header=BB6_17293 Depth=3
	v_or_b32_e32 v26, 0x7b, v12
; %bb.17322:                            ;   in Loop: Header=BB6_17293 Depth=3
	s_or_b64 exec, exec, s[40:41]
                                        ; implicit-def: $vgpr6
                                        ; implicit-def: $vgpr0_vgpr1
.LBB6_17323:                            ;   in Loop: Header=BB6_17293 Depth=3
	s_andn2_saveexec_b64 s[40:41], s[42:43]
	s_cbranch_execz .LBB6_17329
; %bb.17324:                            ;   in Loop: Header=BB6_17293 Depth=3
	v_cmp_ne_u64_e32 vcc, 0, v[0:1]
                                        ; implicit-def: $vgpr26
	s_and_saveexec_b64 s[42:43], vcc
	s_xor_b64 s[42:43], exec, s[42:43]
; %bb.17325:                            ;   in Loop: Header=BB6_17293 Depth=3
	v_or_b32_sdwa v26, v6, s44 dst_sel:DWORD dst_unused:UNUSED_PAD src0_sel:BYTE_3 src1_sel:DWORD
                                        ; implicit-def: $vgpr6
; %bb.17326:                            ;   in Loop: Header=BB6_17293 Depth=3
	s_andn2_saveexec_b64 s[42:43], s[42:43]
; %bb.17327:                            ;   in Loop: Header=BB6_17293 Depth=3
	v_cmp_lt_i32_e32 vcc, -1, v6
	v_bfrev_b32_e32 v0, 0.5
	v_mov_b32_e32 v1, 0x7c
	v_cndmask_b32_e32 v26, v0, v1, vcc
; %bb.17328:                            ;   in Loop: Header=BB6_17293 Depth=3
	s_or_b64 exec, exec, s[42:43]
.LBB6_17329:                            ;   in Loop: Header=BB6_17293 Depth=3
	s_or_b64 exec, exec, s[40:41]
	v_lshrrev_b16_e32 v0, 8, v8
	v_cmp_ne_u16_e32 vcc, 0, v0
	v_mov_b32_e32 v1, 0
	s_and_saveexec_b64 s[40:41], vcc
	s_cbranch_execz .LBB6_17337
; %bb.17330:                            ;   in Loop: Header=BB6_17293 Depth=3
	v_cmp_ne_u16_e32 vcc, s97, v0
	v_bfrev_b32_e32 v1, 1
	s_and_saveexec_b64 s[42:43], vcc
	s_cbranch_execz .LBB6_17336
; %bb.17331:                            ;   in Loop: Header=BB6_17293 Depth=3
	v_and_b32_e32 v1, 0x7c, v0
	v_and_b32_e32 v6, 3, v0
	v_cmp_ne_u32_e32 vcc, s86, v1
                                        ; implicit-def: $vgpr1
	s_and_saveexec_b64 s[62:63], vcc
	s_xor_b64 s[38:39], exec, s[62:63]
	s_cbranch_execz .LBB6_17333
; %bb.17332:                            ;   in Loop: Header=BB6_17293 Depth=3
	v_ffbh_u32_e32 v12, v6
	v_min_u32_e32 v12, 32, v12
	v_mov_b32_e32 v1, v33
	v_subrev_u32_e32 v13, 29, v12
	v_bfe_u32 v7, v0, 2, 5
	v_lshlrev_b64 v[0:1], v13, v[0:1]
	v_cmp_eq_u32_e32 vcc, 0, v7
	v_and_b32_e32 v0, 3, v0
	v_sub_u32_e32 v1, 30, v12
	v_cndmask_b32_e32 v0, v6, v0, vcc
	v_lshlrev_b32_e32 v6, 16, v8
	v_cndmask_b32_e32 v1, v7, v1, vcc
	v_and_b32_e32 v6, 0x80000000, v6
	v_lshl_add_u32 v1, v1, 23, v6
	v_lshl_or_b32 v0, v0, 21, v1
	v_add_u32_e32 v1, 0x38000000, v0
                                        ; implicit-def: $vgpr6
.LBB6_17333:                            ;   in Loop: Header=BB6_17293 Depth=3
	s_andn2_saveexec_b64 s[38:39], s[38:39]
; %bb.17334:                            ;   in Loop: Header=BB6_17293 Depth=3
	v_cmp_lt_i16_e32 vcc, -1, v8
	v_mov_b32_e32 v0, 0xff800000
	v_mov_b32_e32 v1, 0x7f800000
	v_cndmask_b32_e32 v0, v0, v1, vcc
	v_cmp_eq_u32_e32 vcc, 0, v6
	v_mov_b32_e32 v1, 0x7f800001
	v_cndmask_b32_e32 v1, v1, v0, vcc
; %bb.17335:                            ;   in Loop: Header=BB6_17293 Depth=3
	s_or_b64 exec, exec, s[38:39]
.LBB6_17336:                            ;   in Loop: Header=BB6_17293 Depth=3
	s_or_b64 exec, exec, s[42:43]
.LBB6_17337:                            ;   in Loop: Header=BB6_17293 Depth=3
	s_or_b64 exec, exec, s[40:41]
	v_mul_f32_e32 v6, v28, v1
	v_and_b32_e32 v12, 0x7f800000, v6
	v_mov_b32_e32 v13, v33
	v_cmp_ne_u64_e32 vcc, s[76:77], v[12:13]
	v_and_b32_e32 v0, 0x7fffff, v6
	v_mov_b32_e32 v1, v33
                                        ; implicit-def: $vgpr31
	s_and_saveexec_b64 s[40:41], vcc
	s_xor_b64 s[42:43], exec, s[40:41]
	s_cbranch_execz .LBB6_17351
; %bb.17338:                            ;   in Loop: Header=BB6_17293 Depth=3
	v_and_b32_e32 v12, 0x7fffffff, v6
	v_mov_b32_e32 v13, v33
	v_cmp_gt_u64_e32 vcc, s[78:79], v[12:13]
	v_and_b32_sdwa v12, v6, s97 dst_sel:DWORD dst_unused:UNUSED_PAD src0_sel:BYTE_3 src1_sel:DWORD
                                        ; implicit-def: $vgpr31
	s_and_saveexec_b64 s[40:41], vcc
	s_xor_b64 s[38:39], exec, s[40:41]
	s_cbranch_execz .LBB6_17348
; %bb.17339:                            ;   in Loop: Header=BB6_17293 Depth=3
	v_mov_b32_e32 v31, 0
	v_cmp_ne_u32_e32 vcc, 0, v6
	s_and_saveexec_b64 s[48:49], vcc
	s_cbranch_execz .LBB6_17347
; %bb.17340:                            ;   in Loop: Header=BB6_17293 Depth=3
	v_bfe_u32 v13, v6, 23, 8
	v_cmp_gt_u32_e64 s[40:41], s47, v13
	v_sub_u32_e32 v6, 0x71, v13
	v_cmp_eq_u32_e32 vcc, 0, v13
	v_cndmask_b32_e64 v6, 0, v6, s[40:41]
	v_mov_b32_e32 v14, 0x70
	v_cndmask_b32_e32 v14, v6, v14, vcc
	v_or_b32_e32 v7, 0x800000, v0
	v_add_u32_e32 v6, 21, v14
	v_cndmask_b32_e32 v0, v7, v0, vcc
	v_lshlrev_b64 v[6:7], v6, -1
	v_add_u32_e32 v27, 20, v14
	v_bfi_b32 v6, v6, 0, v0
	v_lshlrev_b64 v[29:30], v27, 1
	v_lshrrev_b64 v[0:1], v14, v[0:1]
	v_bfi_b32 v7, v7, 0, 0
	v_cmp_eq_u64_e64 s[40:41], v[6:7], v[29:30]
	v_mov_b32_e32 v7, v1
	v_mov_b32_e32 v6, v0
	s_and_saveexec_b64 s[50:51], s[40:41]
; %bb.17341:                            ;   in Loop: Header=BB6_17293 Depth=3
	v_bfe_u32 v1, v0, 21, 1
	v_add_co_u32_e64 v1, s[40:41], v0, v1
	v_add_co_u32_e64 v6, s[40:41], -1, v1
; %bb.17342:                            ;   in Loop: Header=BB6_17293 Depth=3
	s_or_b64 exec, exec, s[50:51]
	v_add_u32_e32 v1, 0xffffff81, v13
	v_mov_b32_e32 v7, 0xffffff82
	v_cndmask_b32_e32 v1, v1, v7, vcc
	v_lshrrev_b32_e32 v7, 23, v0
	v_add3_u32 v13, v14, v1, v7
	v_add_u32_e32 v7, 14, v13
	v_and_b32_e32 v1, 0x1fffff, v6
	v_add_u32_e32 v0, v1, v0
	v_mov_b32_e32 v1, v33
	v_cmp_ne_u32_e32 vcc, 0, v7
                                        ; implicit-def: $vgpr6
	s_and_saveexec_b64 s[40:41], vcc
	s_xor_b64 s[40:41], exec, s[40:41]
; %bb.17343:                            ;   in Loop: Header=BB6_17293 Depth=3
	v_cmp_lt_u64_e32 vcc, s[88:89], v[0:1]
	v_add_u32_e32 v6, 15, v13
	v_cndmask_b32_e32 v6, v7, v6, vcc
	v_cndmask_b32_e64 v7, 0, 1, vcc
	v_lshrrev_b64 v[0:1], v7, v[0:1]
; %bb.17344:                            ;   in Loop: Header=BB6_17293 Depth=3
	s_andn2_saveexec_b64 s[40:41], s[40:41]
; %bb.17345:                            ;   in Loop: Header=BB6_17293 Depth=3
	v_bfe_u32 v6, v0, 23, 1
; %bb.17346:                            ;   in Loop: Header=BB6_17293 Depth=3
	s_or_b64 exec, exec, s[40:41]
	v_lshrrev_b64 v[0:1], 21, v[0:1]
	v_cmp_gt_i32_e32 vcc, 32, v6
	v_cndmask_b32_e32 v1, 0, v1, vcc
	v_cndmask_b32_e32 v0, 3, v0, vcc
	v_cmp_eq_u64_e64 s[40:41], 0, v[0:1]
	v_min_i32_e32 v1, 31, v6
	v_lshlrev_b32_e32 v1, 2, v1
	v_cmp_eq_u32_e32 vcc, 0, v6
	v_and_b32_e32 v1, 0xfc, v1
	v_and_or_b32 v0, v0, 3, v1
	s_and_b64 s[40:41], vcc, s[40:41]
	v_cndmask_b32_e64 v0, v0, 0, s[40:41]
	v_or_b32_e32 v31, v0, v12
.LBB6_17347:                            ;   in Loop: Header=BB6_17293 Depth=3
	s_or_b64 exec, exec, s[48:49]
                                        ; implicit-def: $vgpr12
.LBB6_17348:                            ;   in Loop: Header=BB6_17293 Depth=3
	s_andn2_saveexec_b64 s[40:41], s[38:39]
; %bb.17349:                            ;   in Loop: Header=BB6_17293 Depth=3
	v_or_b32_e32 v31, 0x7b, v12
; %bb.17350:                            ;   in Loop: Header=BB6_17293 Depth=3
	s_or_b64 exec, exec, s[40:41]
                                        ; implicit-def: $vgpr6
                                        ; implicit-def: $vgpr0_vgpr1
.LBB6_17351:                            ;   in Loop: Header=BB6_17293 Depth=3
	s_andn2_saveexec_b64 s[40:41], s[42:43]
	s_cbranch_execz .LBB6_17357
; %bb.17352:                            ;   in Loop: Header=BB6_17293 Depth=3
	v_cmp_ne_u64_e32 vcc, 0, v[0:1]
                                        ; implicit-def: $vgpr31
	s_and_saveexec_b64 s[42:43], vcc
	s_xor_b64 s[42:43], exec, s[42:43]
; %bb.17353:                            ;   in Loop: Header=BB6_17293 Depth=3
	v_or_b32_sdwa v31, v6, s44 dst_sel:DWORD dst_unused:UNUSED_PAD src0_sel:BYTE_3 src1_sel:DWORD
                                        ; implicit-def: $vgpr6
; %bb.17354:                            ;   in Loop: Header=BB6_17293 Depth=3
	s_andn2_saveexec_b64 s[42:43], s[42:43]
; %bb.17355:                            ;   in Loop: Header=BB6_17293 Depth=3
	v_cmp_lt_i32_e32 vcc, -1, v6
	v_bfrev_b32_e32 v0, 0.5
	v_mov_b32_e32 v1, 0x7c
	v_cndmask_b32_e32 v31, v0, v1, vcc
; %bb.17356:                            ;   in Loop: Header=BB6_17293 Depth=3
	s_or_b64 exec, exec, s[42:43]
.LBB6_17357:                            ;   in Loop: Header=BB6_17293 Depth=3
	s_or_b64 exec, exec, s[40:41]
	v_lshrrev_b32_e32 v0, 16, v8
	v_cmp_ne_u16_sdwa s[42:43], v0, v33 src0_sel:BYTE_0 src1_sel:DWORD
	v_mov_b32_e32 v1, 0
	s_and_saveexec_b64 s[40:41], s[42:43]
	s_cbranch_execz .LBB6_17365
; %bb.17358:                            ;   in Loop: Header=BB6_17293 Depth=3
	v_cmp_ne_u16_sdwa s[62:63], v0, s97 src0_sel:BYTE_0 src1_sel:DWORD
	v_bfrev_b32_e32 v1, 1
	s_and_saveexec_b64 s[42:43], s[62:63]
	s_cbranch_execz .LBB6_17364
; %bb.17359:                            ;   in Loop: Header=BB6_17293 Depth=3
	v_and_b32_e32 v1, 0x7c0000, v8
	v_bfe_u32 v6, v8, 16, 2
	v_cmp_ne_u32_e32 vcc, s45, v1
                                        ; implicit-def: $vgpr1
	s_and_saveexec_b64 s[62:63], vcc
	s_xor_b64 s[38:39], exec, s[62:63]
	s_cbranch_execz .LBB6_17361
; %bb.17360:                            ;   in Loop: Header=BB6_17293 Depth=3
	v_ffbh_u32_e32 v1, v6
	v_min_u32_e32 v12, 32, v1
	v_subrev_u32_e32 v1, 29, v12
	v_lshlrev_b64 v[0:1], v1, v[0:1]
	v_bfe_u32 v7, v8, 18, 5
	v_and_b32_e32 v0, 3, v0
	v_cmp_eq_u32_e32 vcc, 0, v7
	v_sub_u32_e32 v1, 30, v12
	v_cndmask_b32_e32 v0, v6, v0, vcc
	v_lshlrev_b32_e32 v6, 8, v8
	v_cndmask_b32_e32 v1, v7, v1, vcc
	v_and_b32_e32 v6, 0x80000000, v6
	v_lshl_add_u32 v1, v1, 23, v6
	v_lshl_or_b32 v0, v0, 21, v1
	v_add_u32_e32 v1, 0x38000000, v0
                                        ; implicit-def: $vgpr6
                                        ; implicit-def: $vgpr0
.LBB6_17361:                            ;   in Loop: Header=BB6_17293 Depth=3
	s_andn2_saveexec_b64 s[38:39], s[38:39]
; %bb.17362:                            ;   in Loop: Header=BB6_17293 Depth=3
	v_mov_b32_e32 v1, -1
	v_cmp_gt_i16_sdwa vcc, sext(v0), v1 src0_sel:BYTE_0 src1_sel:DWORD
	v_mov_b32_e32 v0, 0xff800000
	v_mov_b32_e32 v1, 0x7f800000
	v_cndmask_b32_e32 v0, v0, v1, vcc
	v_cmp_eq_u32_e32 vcc, 0, v6
	v_mov_b32_e32 v1, 0x7f800001
	v_cndmask_b32_e32 v1, v1, v0, vcc
; %bb.17363:                            ;   in Loop: Header=BB6_17293 Depth=3
	s_or_b64 exec, exec, s[38:39]
.LBB6_17364:                            ;   in Loop: Header=BB6_17293 Depth=3
	s_or_b64 exec, exec, s[42:43]
.LBB6_17365:                            ;   in Loop: Header=BB6_17293 Depth=3
	s_or_b64 exec, exec, s[40:41]
	v_mul_f32_e32 v6, v28, v1
	v_and_b32_e32 v12, 0x7f800000, v6
	v_mov_b32_e32 v13, v33
	v_cmp_ne_u64_e32 vcc, s[76:77], v[12:13]
	v_and_b32_e32 v0, 0x7fffff, v6
	v_mov_b32_e32 v1, v33
                                        ; implicit-def: $vgpr35
	s_and_saveexec_b64 s[40:41], vcc
	s_xor_b64 s[42:43], exec, s[40:41]
	s_cbranch_execz .LBB6_17379
; %bb.17366:                            ;   in Loop: Header=BB6_17293 Depth=3
	v_and_b32_e32 v12, 0x7fffffff, v6
	v_mov_b32_e32 v13, v33
	v_cmp_gt_u64_e32 vcc, s[78:79], v[12:13]
	v_and_b32_sdwa v12, v6, s97 dst_sel:DWORD dst_unused:UNUSED_PAD src0_sel:BYTE_3 src1_sel:DWORD
                                        ; implicit-def: $vgpr35
	s_and_saveexec_b64 s[40:41], vcc
	s_xor_b64 s[38:39], exec, s[40:41]
	s_cbranch_execz .LBB6_17376
; %bb.17367:                            ;   in Loop: Header=BB6_17293 Depth=3
	v_mov_b32_e32 v35, 0
	v_cmp_ne_u32_e32 vcc, 0, v6
	s_and_saveexec_b64 s[48:49], vcc
	s_cbranch_execz .LBB6_17375
; %bb.17368:                            ;   in Loop: Header=BB6_17293 Depth=3
	v_bfe_u32 v13, v6, 23, 8
	v_cmp_gt_u32_e64 s[40:41], s47, v13
	v_sub_u32_e32 v6, 0x71, v13
	v_cmp_eq_u32_e32 vcc, 0, v13
	v_cndmask_b32_e64 v6, 0, v6, s[40:41]
	v_mov_b32_e32 v14, 0x70
	v_cndmask_b32_e32 v14, v6, v14, vcc
	v_or_b32_e32 v7, 0x800000, v0
	v_add_u32_e32 v6, 21, v14
	v_cndmask_b32_e32 v0, v7, v0, vcc
	v_lshlrev_b64 v[6:7], v6, -1
	v_add_u32_e32 v27, 20, v14
	v_bfi_b32 v6, v6, 0, v0
	v_lshlrev_b64 v[29:30], v27, 1
	v_lshrrev_b64 v[0:1], v14, v[0:1]
	v_bfi_b32 v7, v7, 0, 0
	v_cmp_eq_u64_e64 s[40:41], v[6:7], v[29:30]
	v_mov_b32_e32 v7, v1
	v_mov_b32_e32 v6, v0
	s_and_saveexec_b64 s[50:51], s[40:41]
; %bb.17369:                            ;   in Loop: Header=BB6_17293 Depth=3
	v_bfe_u32 v1, v0, 21, 1
	v_add_co_u32_e64 v1, s[40:41], v0, v1
	v_add_co_u32_e64 v6, s[40:41], -1, v1
; %bb.17370:                            ;   in Loop: Header=BB6_17293 Depth=3
	s_or_b64 exec, exec, s[50:51]
	v_add_u32_e32 v1, 0xffffff81, v13
	v_mov_b32_e32 v7, 0xffffff82
	v_cndmask_b32_e32 v1, v1, v7, vcc
	v_lshrrev_b32_e32 v7, 23, v0
	v_add3_u32 v13, v14, v1, v7
	v_add_u32_e32 v7, 14, v13
	v_and_b32_e32 v1, 0x1fffff, v6
	v_add_u32_e32 v0, v1, v0
	v_mov_b32_e32 v1, v33
	v_cmp_ne_u32_e32 vcc, 0, v7
                                        ; implicit-def: $vgpr6
	s_and_saveexec_b64 s[40:41], vcc
	s_xor_b64 s[40:41], exec, s[40:41]
; %bb.17371:                            ;   in Loop: Header=BB6_17293 Depth=3
	v_cmp_lt_u64_e32 vcc, s[88:89], v[0:1]
	v_add_u32_e32 v6, 15, v13
	v_cndmask_b32_e32 v6, v7, v6, vcc
	v_cndmask_b32_e64 v7, 0, 1, vcc
	v_lshrrev_b64 v[0:1], v7, v[0:1]
; %bb.17372:                            ;   in Loop: Header=BB6_17293 Depth=3
	s_andn2_saveexec_b64 s[40:41], s[40:41]
; %bb.17373:                            ;   in Loop: Header=BB6_17293 Depth=3
	v_bfe_u32 v6, v0, 23, 1
; %bb.17374:                            ;   in Loop: Header=BB6_17293 Depth=3
	s_or_b64 exec, exec, s[40:41]
	v_lshrrev_b64 v[0:1], 21, v[0:1]
	v_cmp_gt_i32_e32 vcc, 32, v6
	v_cndmask_b32_e32 v1, 0, v1, vcc
	v_cndmask_b32_e32 v0, 3, v0, vcc
	v_cmp_eq_u64_e64 s[40:41], 0, v[0:1]
	v_min_i32_e32 v1, 31, v6
	v_lshlrev_b32_e32 v1, 2, v1
	v_cmp_eq_u32_e32 vcc, 0, v6
	v_and_b32_e32 v1, 0xfc, v1
	v_and_or_b32 v0, v0, 3, v1
	s_and_b64 s[40:41], vcc, s[40:41]
	v_cndmask_b32_e64 v0, v0, 0, s[40:41]
	v_or_b32_e32 v35, v0, v12
.LBB6_17375:                            ;   in Loop: Header=BB6_17293 Depth=3
	s_or_b64 exec, exec, s[48:49]
                                        ; implicit-def: $vgpr12
.LBB6_17376:                            ;   in Loop: Header=BB6_17293 Depth=3
	s_andn2_saveexec_b64 s[40:41], s[38:39]
; %bb.17377:                            ;   in Loop: Header=BB6_17293 Depth=3
	v_or_b32_e32 v35, 0x7b, v12
; %bb.17378:                            ;   in Loop: Header=BB6_17293 Depth=3
	s_or_b64 exec, exec, s[40:41]
                                        ; implicit-def: $vgpr6
                                        ; implicit-def: $vgpr0_vgpr1
.LBB6_17379:                            ;   in Loop: Header=BB6_17293 Depth=3
	s_andn2_saveexec_b64 s[40:41], s[42:43]
	s_cbranch_execz .LBB6_17385
; %bb.17380:                            ;   in Loop: Header=BB6_17293 Depth=3
	v_cmp_ne_u64_e32 vcc, 0, v[0:1]
                                        ; implicit-def: $vgpr35
	s_and_saveexec_b64 s[42:43], vcc
	s_xor_b64 s[42:43], exec, s[42:43]
; %bb.17381:                            ;   in Loop: Header=BB6_17293 Depth=3
	v_or_b32_sdwa v35, v6, s44 dst_sel:DWORD dst_unused:UNUSED_PAD src0_sel:BYTE_3 src1_sel:DWORD
                                        ; implicit-def: $vgpr6
; %bb.17382:                            ;   in Loop: Header=BB6_17293 Depth=3
	s_andn2_saveexec_b64 s[42:43], s[42:43]
; %bb.17383:                            ;   in Loop: Header=BB6_17293 Depth=3
	v_cmp_lt_i32_e32 vcc, -1, v6
	v_bfrev_b32_e32 v0, 0.5
	v_mov_b32_e32 v1, 0x7c
	v_cndmask_b32_e32 v35, v0, v1, vcc
; %bb.17384:                            ;   in Loop: Header=BB6_17293 Depth=3
	s_or_b64 exec, exec, s[42:43]
.LBB6_17385:                            ;   in Loop: Header=BB6_17293 Depth=3
	s_or_b64 exec, exec, s[40:41]
	v_cmp_lt_u32_e32 vcc, s57, v8
	v_mov_b32_e32 v1, 0
	s_and_saveexec_b64 s[40:41], vcc
	s_cbranch_execz .LBB6_17393
; %bb.17386:                            ;   in Loop: Header=BB6_17293 Depth=3
	v_lshrrev_b32_e32 v0, 24, v8
	v_cmp_ne_u32_e32 vcc, s97, v0
	v_bfrev_b32_e32 v1, 1
	s_and_saveexec_b64 s[42:43], vcc
	s_cbranch_execz .LBB6_17392
; %bb.17387:                            ;   in Loop: Header=BB6_17293 Depth=3
	v_and_b32_e32 v1, 0x7c000000, v8
	v_bfe_u32 v6, v8, 24, 2
	v_cmp_ne_u32_e32 vcc, s68, v1
                                        ; implicit-def: $vgpr1
	s_and_saveexec_b64 s[62:63], vcc
	s_xor_b64 s[38:39], exec, s[62:63]
	s_cbranch_execz .LBB6_17389
; %bb.17388:                            ;   in Loop: Header=BB6_17293 Depth=3
	v_ffbh_u32_e32 v1, v6
	v_min_u32_e32 v12, 32, v1
	v_subrev_u32_e32 v1, 29, v12
	v_lshlrev_b64 v[0:1], v1, v[0:1]
	v_bfe_u32 v7, v8, 26, 5
	v_sub_u32_e32 v1, 30, v12
	v_and_b32_e32 v0, 3, v0
	v_cmp_eq_u32_e32 vcc, 0, v7
	v_cndmask_b32_e32 v1, v7, v1, vcc
	v_cndmask_b32_e32 v0, v6, v0, vcc
	v_and_b32_e32 v6, 0x80000000, v8
	v_lshl_add_u32 v1, v1, 23, v6
	v_lshl_or_b32 v0, v0, 21, v1
	v_add_u32_e32 v1, 0x38000000, v0
                                        ; implicit-def: $vgpr6
.LBB6_17389:                            ;   in Loop: Header=BB6_17293 Depth=3
	s_andn2_saveexec_b64 s[38:39], s[38:39]
; %bb.17390:                            ;   in Loop: Header=BB6_17293 Depth=3
	v_cmp_lt_i32_e32 vcc, -1, v8
	v_mov_b32_e32 v0, 0xff800000
	v_mov_b32_e32 v1, 0x7f800000
	v_cndmask_b32_e32 v0, v0, v1, vcc
	v_cmp_eq_u32_e32 vcc, 0, v6
	v_mov_b32_e32 v1, 0x7f800001
	v_cndmask_b32_e32 v1, v1, v0, vcc
; %bb.17391:                            ;   in Loop: Header=BB6_17293 Depth=3
	s_or_b64 exec, exec, s[38:39]
.LBB6_17392:                            ;   in Loop: Header=BB6_17293 Depth=3
	s_or_b64 exec, exec, s[42:43]
.LBB6_17393:                            ;   in Loop: Header=BB6_17293 Depth=3
	s_or_b64 exec, exec, s[40:41]
	v_mul_f32_e32 v6, v28, v1
	v_and_b32_e32 v12, 0x7f800000, v6
	v_mov_b32_e32 v13, v33
	v_cmp_ne_u64_e32 vcc, s[76:77], v[12:13]
	v_and_b32_e32 v0, 0x7fffff, v6
	v_mov_b32_e32 v1, v33
                                        ; implicit-def: $vgpr50
	s_and_saveexec_b64 s[40:41], vcc
	s_xor_b64 s[42:43], exec, s[40:41]
	s_cbranch_execz .LBB6_17407
; %bb.17394:                            ;   in Loop: Header=BB6_17293 Depth=3
	v_and_b32_e32 v12, 0x7fffffff, v6
	v_mov_b32_e32 v13, v33
	v_cmp_gt_u64_e32 vcc, s[78:79], v[12:13]
	v_and_b32_sdwa v12, v6, s97 dst_sel:DWORD dst_unused:UNUSED_PAD src0_sel:BYTE_3 src1_sel:DWORD
                                        ; implicit-def: $vgpr50
	s_and_saveexec_b64 s[40:41], vcc
	s_xor_b64 s[38:39], exec, s[40:41]
	s_cbranch_execz .LBB6_17404
; %bb.17395:                            ;   in Loop: Header=BB6_17293 Depth=3
	v_mov_b32_e32 v50, 0
	v_cmp_ne_u32_e32 vcc, 0, v6
	s_and_saveexec_b64 s[48:49], vcc
	s_cbranch_execz .LBB6_17403
; %bb.17396:                            ;   in Loop: Header=BB6_17293 Depth=3
	v_bfe_u32 v13, v6, 23, 8
	v_cmp_gt_u32_e64 s[40:41], s47, v13
	v_sub_u32_e32 v6, 0x71, v13
	v_cmp_eq_u32_e32 vcc, 0, v13
	v_cndmask_b32_e64 v6, 0, v6, s[40:41]
	v_mov_b32_e32 v14, 0x70
	v_cndmask_b32_e32 v14, v6, v14, vcc
	v_or_b32_e32 v7, 0x800000, v0
	v_add_u32_e32 v6, 21, v14
	v_cndmask_b32_e32 v0, v7, v0, vcc
	v_lshlrev_b64 v[6:7], v6, -1
	v_add_u32_e32 v27, 20, v14
	v_bfi_b32 v6, v6, 0, v0
	v_lshlrev_b64 v[29:30], v27, 1
	v_lshrrev_b64 v[0:1], v14, v[0:1]
	v_bfi_b32 v7, v7, 0, 0
	v_cmp_eq_u64_e64 s[40:41], v[6:7], v[29:30]
	v_mov_b32_e32 v7, v1
	v_mov_b32_e32 v6, v0
	s_and_saveexec_b64 s[50:51], s[40:41]
; %bb.17397:                            ;   in Loop: Header=BB6_17293 Depth=3
	v_bfe_u32 v1, v0, 21, 1
	v_add_co_u32_e64 v1, s[40:41], v0, v1
	v_add_co_u32_e64 v6, s[40:41], -1, v1
; %bb.17398:                            ;   in Loop: Header=BB6_17293 Depth=3
	s_or_b64 exec, exec, s[50:51]
	v_add_u32_e32 v1, 0xffffff81, v13
	v_mov_b32_e32 v7, 0xffffff82
	v_cndmask_b32_e32 v1, v1, v7, vcc
	v_lshrrev_b32_e32 v7, 23, v0
	v_add3_u32 v13, v14, v1, v7
	v_add_u32_e32 v7, 14, v13
	v_and_b32_e32 v1, 0x1fffff, v6
	v_add_u32_e32 v0, v1, v0
	v_mov_b32_e32 v1, v33
	v_cmp_ne_u32_e32 vcc, 0, v7
                                        ; implicit-def: $vgpr6
	s_and_saveexec_b64 s[40:41], vcc
	s_xor_b64 s[40:41], exec, s[40:41]
; %bb.17399:                            ;   in Loop: Header=BB6_17293 Depth=3
	v_cmp_lt_u64_e32 vcc, s[88:89], v[0:1]
	v_add_u32_e32 v6, 15, v13
	v_cndmask_b32_e32 v6, v7, v6, vcc
	v_cndmask_b32_e64 v7, 0, 1, vcc
	v_lshrrev_b64 v[0:1], v7, v[0:1]
; %bb.17400:                            ;   in Loop: Header=BB6_17293 Depth=3
	s_andn2_saveexec_b64 s[40:41], s[40:41]
; %bb.17401:                            ;   in Loop: Header=BB6_17293 Depth=3
	v_bfe_u32 v6, v0, 23, 1
; %bb.17402:                            ;   in Loop: Header=BB6_17293 Depth=3
	s_or_b64 exec, exec, s[40:41]
	v_lshrrev_b64 v[0:1], 21, v[0:1]
	v_cmp_gt_i32_e32 vcc, 32, v6
	v_cndmask_b32_e32 v1, 0, v1, vcc
	v_cndmask_b32_e32 v0, 3, v0, vcc
	v_cmp_eq_u64_e64 s[40:41], 0, v[0:1]
	v_min_i32_e32 v1, 31, v6
	v_lshlrev_b32_e32 v1, 2, v1
	v_cmp_eq_u32_e32 vcc, 0, v6
	v_and_b32_e32 v1, 0xfc, v1
	v_and_or_b32 v0, v0, 3, v1
	s_and_b64 s[40:41], vcc, s[40:41]
	v_cndmask_b32_e64 v0, v0, 0, s[40:41]
	v_or_b32_e32 v50, v0, v12
.LBB6_17403:                            ;   in Loop: Header=BB6_17293 Depth=3
	s_or_b64 exec, exec, s[48:49]
                                        ; implicit-def: $vgpr12
.LBB6_17404:                            ;   in Loop: Header=BB6_17293 Depth=3
	s_andn2_saveexec_b64 s[40:41], s[38:39]
; %bb.17405:                            ;   in Loop: Header=BB6_17293 Depth=3
	v_or_b32_e32 v50, 0x7b, v12
; %bb.17406:                            ;   in Loop: Header=BB6_17293 Depth=3
	s_or_b64 exec, exec, s[40:41]
                                        ; implicit-def: $vgpr6
                                        ; implicit-def: $vgpr0_vgpr1
.LBB6_17407:                            ;   in Loop: Header=BB6_17293 Depth=3
	s_andn2_saveexec_b64 s[40:41], s[42:43]
	s_cbranch_execz .LBB6_17413
; %bb.17408:                            ;   in Loop: Header=BB6_17293 Depth=3
	v_cmp_ne_u64_e32 vcc, 0, v[0:1]
                                        ; implicit-def: $vgpr50
	s_and_saveexec_b64 s[42:43], vcc
	s_xor_b64 s[42:43], exec, s[42:43]
; %bb.17409:                            ;   in Loop: Header=BB6_17293 Depth=3
	v_or_b32_sdwa v50, v6, s44 dst_sel:DWORD dst_unused:UNUSED_PAD src0_sel:BYTE_3 src1_sel:DWORD
                                        ; implicit-def: $vgpr6
; %bb.17410:                            ;   in Loop: Header=BB6_17293 Depth=3
	s_andn2_saveexec_b64 s[42:43], s[42:43]
; %bb.17411:                            ;   in Loop: Header=BB6_17293 Depth=3
	v_cmp_lt_i32_e32 vcc, -1, v6
	v_bfrev_b32_e32 v0, 0.5
	v_mov_b32_e32 v1, 0x7c
	v_cndmask_b32_e32 v50, v0, v1, vcc
; %bb.17412:                            ;   in Loop: Header=BB6_17293 Depth=3
	s_or_b64 exec, exec, s[42:43]
.LBB6_17413:                            ;   in Loop: Header=BB6_17293 Depth=3
	s_or_b64 exec, exec, s[40:41]
	v_mov_b32_e32 v0, v9
	v_mov_b32_e32 v1, v33
	v_cmp_ne_u16_sdwa s[42:43], v9, v33 src0_sel:BYTE_0 src1_sel:DWORD
	v_mov_b32_e32 v6, 0
	s_and_saveexec_b64 s[40:41], s[42:43]
	s_cbranch_execz .LBB6_17421
; %bb.17414:                            ;   in Loop: Header=BB6_17293 Depth=3
	v_cmp_ne_u16_sdwa s[62:63], v9, s97 src0_sel:BYTE_0 src1_sel:DWORD
	v_bfrev_b32_e32 v6, 1
	s_and_saveexec_b64 s[42:43], s[62:63]
	s_cbranch_execz .LBB6_17420
; %bb.17415:                            ;   in Loop: Header=BB6_17293 Depth=3
	v_and_b32_e32 v6, 0x7c, v9
	v_and_b32_e32 v7, 3, v9
	v_cmp_ne_u32_e32 vcc, s86, v6
                                        ; implicit-def: $vgpr6
	s_and_saveexec_b64 s[62:63], vcc
	s_xor_b64 s[38:39], exec, s[62:63]
	s_cbranch_execz .LBB6_17417
; %bb.17416:                            ;   in Loop: Header=BB6_17293 Depth=3
	v_ffbh_u32_e32 v12, v7
	v_min_u32_e32 v14, 32, v12
	v_subrev_u32_e32 v12, 29, v14
	v_lshlrev_b64 v[12:13], v12, v[0:1]
	v_bfe_u32 v6, v9, 2, 5
	v_sub_u32_e32 v1, 30, v14
	v_and_b32_e32 v12, 3, v12
	v_cmp_eq_u32_e32 vcc, 0, v6
	v_cndmask_b32_e32 v1, v6, v1, vcc
	v_cndmask_b32_e32 v6, v7, v12, vcc
	v_lshlrev_b32_e32 v7, 24, v9
	v_and_b32_e32 v7, 0x80000000, v7
	v_lshl_add_u32 v1, v1, 23, v7
	v_lshl_or_b32 v1, v6, 21, v1
	v_add_u32_e32 v6, 0x38000000, v1
                                        ; implicit-def: $vgpr7
.LBB6_17417:                            ;   in Loop: Header=BB6_17293 Depth=3
	s_andn2_saveexec_b64 s[38:39], s[38:39]
; %bb.17418:                            ;   in Loop: Header=BB6_17293 Depth=3
	v_mov_b32_e32 v1, -1
	v_cmp_gt_i16_sdwa vcc, sext(v9), v1 src0_sel:BYTE_0 src1_sel:DWORD
	v_mov_b32_e32 v1, 0xff800000
	v_mov_b32_e32 v6, 0x7f800000
	v_cndmask_b32_e32 v1, v1, v6, vcc
	v_cmp_eq_u32_e32 vcc, 0, v7
	v_mov_b32_e32 v6, 0x7f800001
	v_cndmask_b32_e32 v6, v6, v1, vcc
; %bb.17419:                            ;   in Loop: Header=BB6_17293 Depth=3
	s_or_b64 exec, exec, s[38:39]
.LBB6_17420:                            ;   in Loop: Header=BB6_17293 Depth=3
	s_or_b64 exec, exec, s[42:43]
.LBB6_17421:                            ;   in Loop: Header=BB6_17293 Depth=3
	s_or_b64 exec, exec, s[40:41]
	v_mul_f32_e32 v12, v28, v6
	v_and_b32_e32 v13, 0x7f800000, v12
	v_mov_b32_e32 v14, v33
	v_cmp_ne_u64_e32 vcc, s[76:77], v[13:14]
	v_and_b32_e32 v6, 0x7fffff, v12
	v_mov_b32_e32 v7, v33
                                        ; implicit-def: $vgpr14
	s_and_saveexec_b64 s[40:41], vcc
	s_xor_b64 s[42:43], exec, s[40:41]
	s_cbranch_execz .LBB6_17435
; %bb.17422:                            ;   in Loop: Header=BB6_17293 Depth=3
	v_and_b32_e32 v13, 0x7fffffff, v12
	v_mov_b32_e32 v14, v33
	v_cmp_gt_u64_e32 vcc, s[78:79], v[13:14]
	v_and_b32_sdwa v1, v12, s97 dst_sel:DWORD dst_unused:UNUSED_PAD src0_sel:BYTE_3 src1_sel:DWORD
                                        ; implicit-def: $vgpr14
	s_and_saveexec_b64 s[40:41], vcc
	s_xor_b64 s[38:39], exec, s[40:41]
	s_cbranch_execz .LBB6_17432
; %bb.17423:                            ;   in Loop: Header=BB6_17293 Depth=3
	v_mov_b32_e32 v14, 0
	v_cmp_ne_u32_e32 vcc, 0, v12
	s_and_saveexec_b64 s[48:49], vcc
	s_cbranch_execz .LBB6_17431
; %bb.17424:                            ;   in Loop: Header=BB6_17293 Depth=3
	v_bfe_u32 v14, v12, 23, 8
	v_cmp_gt_u32_e64 s[40:41], s47, v14
	v_sub_u32_e32 v12, 0x71, v14
	v_cmp_eq_u32_e32 vcc, 0, v14
	v_cndmask_b32_e64 v12, 0, v12, s[40:41]
	v_mov_b32_e32 v27, 0x70
	v_cndmask_b32_e32 v27, v12, v27, vcc
	v_or_b32_e32 v13, 0x800000, v6
	v_add_u32_e32 v12, 21, v27
	v_cndmask_b32_e32 v6, v13, v6, vcc
	v_lshlrev_b64 v[12:13], v12, -1
	v_add_u32_e32 v29, 20, v27
	v_bfi_b32 v12, v12, 0, v6
	v_lshlrev_b64 v[29:30], v29, 1
	v_lshrrev_b64 v[6:7], v27, v[6:7]
	v_bfi_b32 v13, v13, 0, 0
	v_cmp_eq_u64_e64 s[40:41], v[12:13], v[29:30]
	v_mov_b32_e32 v13, v7
	v_mov_b32_e32 v12, v6
	s_and_saveexec_b64 s[50:51], s[40:41]
; %bb.17425:                            ;   in Loop: Header=BB6_17293 Depth=3
	v_bfe_u32 v7, v6, 21, 1
	v_add_co_u32_e64 v7, s[40:41], v6, v7
	v_add_co_u32_e64 v12, s[40:41], -1, v7
; %bb.17426:                            ;   in Loop: Header=BB6_17293 Depth=3
	s_or_b64 exec, exec, s[50:51]
	v_add_u32_e32 v7, 0xffffff81, v14
	v_mov_b32_e32 v13, 0xffffff82
	v_cndmask_b32_e32 v7, v7, v13, vcc
	v_lshrrev_b32_e32 v13, 23, v6
	v_add3_u32 v14, v27, v7, v13
	v_add_u32_e32 v13, 14, v14
	v_and_b32_e32 v7, 0x1fffff, v12
	v_add_u32_e32 v6, v7, v6
	v_mov_b32_e32 v7, v33
	v_cmp_ne_u32_e32 vcc, 0, v13
                                        ; implicit-def: $vgpr12
	s_and_saveexec_b64 s[40:41], vcc
	s_xor_b64 s[40:41], exec, s[40:41]
; %bb.17427:                            ;   in Loop: Header=BB6_17293 Depth=3
	v_cmp_lt_u64_e32 vcc, s[88:89], v[6:7]
	v_add_u32_e32 v12, 15, v14
	v_cndmask_b32_e32 v12, v13, v12, vcc
	v_cndmask_b32_e64 v13, 0, 1, vcc
	v_lshrrev_b64 v[6:7], v13, v[6:7]
; %bb.17428:                            ;   in Loop: Header=BB6_17293 Depth=3
	s_andn2_saveexec_b64 s[40:41], s[40:41]
; %bb.17429:                            ;   in Loop: Header=BB6_17293 Depth=3
	v_bfe_u32 v12, v6, 23, 1
; %bb.17430:                            ;   in Loop: Header=BB6_17293 Depth=3
	s_or_b64 exec, exec, s[40:41]
	v_lshrrev_b64 v[6:7], 21, v[6:7]
	v_cmp_gt_i32_e32 vcc, 32, v12
	v_cndmask_b32_e32 v7, 0, v7, vcc
	v_cndmask_b32_e32 v6, 3, v6, vcc
	v_cmp_eq_u64_e64 s[40:41], 0, v[6:7]
	v_min_i32_e32 v7, 31, v12
	v_lshlrev_b32_e32 v7, 2, v7
	v_cmp_eq_u32_e32 vcc, 0, v12
	v_and_b32_e32 v7, 0xfc, v7
	v_and_or_b32 v6, v6, 3, v7
	s_and_b64 s[40:41], vcc, s[40:41]
	v_cndmask_b32_e64 v6, v6, 0, s[40:41]
	v_or_b32_e32 v14, v6, v1
.LBB6_17431:                            ;   in Loop: Header=BB6_17293 Depth=3
	s_or_b64 exec, exec, s[48:49]
                                        ; implicit-def: $vgpr1
.LBB6_17432:                            ;   in Loop: Header=BB6_17293 Depth=3
	s_andn2_saveexec_b64 s[40:41], s[38:39]
; %bb.17433:                            ;   in Loop: Header=BB6_17293 Depth=3
	v_or_b32_e32 v14, 0x7b, v1
; %bb.17434:                            ;   in Loop: Header=BB6_17293 Depth=3
	s_or_b64 exec, exec, s[40:41]
                                        ; implicit-def: $vgpr12
                                        ; implicit-def: $vgpr6_vgpr7
.LBB6_17435:                            ;   in Loop: Header=BB6_17293 Depth=3
	s_andn2_saveexec_b64 s[40:41], s[42:43]
	s_cbranch_execz .LBB6_17441
; %bb.17436:                            ;   in Loop: Header=BB6_17293 Depth=3
	v_cmp_ne_u64_e32 vcc, 0, v[6:7]
                                        ; implicit-def: $vgpr14
	s_and_saveexec_b64 s[42:43], vcc
	s_xor_b64 s[42:43], exec, s[42:43]
; %bb.17437:                            ;   in Loop: Header=BB6_17293 Depth=3
	v_or_b32_sdwa v14, v12, s44 dst_sel:DWORD dst_unused:UNUSED_PAD src0_sel:BYTE_3 src1_sel:DWORD
                                        ; implicit-def: $vgpr12
; %bb.17438:                            ;   in Loop: Header=BB6_17293 Depth=3
	s_andn2_saveexec_b64 s[42:43], s[42:43]
; %bb.17439:                            ;   in Loop: Header=BB6_17293 Depth=3
	v_cmp_lt_i32_e32 vcc, -1, v12
	v_bfrev_b32_e32 v1, 0.5
	v_mov_b32_e32 v6, 0x7c
	v_cndmask_b32_e32 v14, v1, v6, vcc
; %bb.17440:                            ;   in Loop: Header=BB6_17293 Depth=3
	s_or_b64 exec, exec, s[42:43]
.LBB6_17441:                            ;   in Loop: Header=BB6_17293 Depth=3
	s_or_b64 exec, exec, s[40:41]
	v_lshrrev_b16_e32 v6, 8, v0
	v_cmp_ne_u16_e32 vcc, 0, v6
	v_mov_b32_e32 v7, 0
	s_and_saveexec_b64 s[40:41], vcc
	s_cbranch_execz .LBB6_17449
; %bb.17442:                            ;   in Loop: Header=BB6_17293 Depth=3
	v_cmp_ne_u16_e32 vcc, s97, v6
	v_bfrev_b32_e32 v7, 1
	s_and_saveexec_b64 s[42:43], vcc
	s_cbranch_execz .LBB6_17448
; %bb.17443:                            ;   in Loop: Header=BB6_17293 Depth=3
	v_and_b32_e32 v1, 0x7c, v6
	v_and_b32_e32 v12, 3, v6
	v_cmp_ne_u32_e32 vcc, s86, v1
                                        ; implicit-def: $vgpr7
	s_and_saveexec_b64 s[62:63], vcc
	s_xor_b64 s[38:39], exec, s[62:63]
	s_cbranch_execz .LBB6_17445
; %bb.17444:                            ;   in Loop: Header=BB6_17293 Depth=3
	v_ffbh_u32_e32 v13, v12
	v_min_u32_e32 v13, 32, v13
	v_mov_b32_e32 v7, v33
	v_subrev_u32_e32 v27, 29, v13
	v_bfe_u32 v1, v6, 2, 5
	v_lshlrev_b64 v[6:7], v27, v[6:7]
	v_sub_u32_e32 v7, 30, v13
	v_cmp_eq_u32_e32 vcc, 0, v1
	v_lshlrev_b32_e32 v0, 16, v0
	v_and_b32_e32 v6, 3, v6
	v_cndmask_b32_e32 v1, v1, v7, vcc
	v_and_b32_e32 v0, 0x80000000, v0
	v_cndmask_b32_e32 v6, v12, v6, vcc
	v_lshl_add_u32 v0, v1, 23, v0
	v_lshl_or_b32 v0, v6, 21, v0
	v_add_u32_e32 v7, 0x38000000, v0
                                        ; implicit-def: $vgpr12
                                        ; implicit-def: $vgpr0_vgpr1
.LBB6_17445:                            ;   in Loop: Header=BB6_17293 Depth=3
	s_andn2_saveexec_b64 s[38:39], s[38:39]
; %bb.17446:                            ;   in Loop: Header=BB6_17293 Depth=3
	v_cmp_lt_i16_e32 vcc, -1, v0
	v_mov_b32_e32 v0, 0xff800000
	v_mov_b32_e32 v1, 0x7f800000
	v_cndmask_b32_e32 v0, v0, v1, vcc
	v_cmp_eq_u32_e32 vcc, 0, v12
	v_mov_b32_e32 v1, 0x7f800001
	v_cndmask_b32_e32 v7, v1, v0, vcc
; %bb.17447:                            ;   in Loop: Header=BB6_17293 Depth=3
	s_or_b64 exec, exec, s[38:39]
.LBB6_17448:                            ;   in Loop: Header=BB6_17293 Depth=3
	s_or_b64 exec, exec, s[42:43]
.LBB6_17449:                            ;   in Loop: Header=BB6_17293 Depth=3
	s_or_b64 exec, exec, s[40:41]
	v_mul_f32_e32 v6, v28, v7
	v_and_b32_e32 v12, 0x7f800000, v6
	v_mov_b32_e32 v13, v33
	v_cmp_ne_u64_e32 vcc, s[76:77], v[12:13]
	v_and_b32_e32 v0, 0x7fffff, v6
	v_mov_b32_e32 v1, v33
                                        ; implicit-def: $vgpr38
	s_and_saveexec_b64 s[40:41], vcc
	s_xor_b64 s[42:43], exec, s[40:41]
	s_cbranch_execz .LBB6_17463
; %bb.17450:                            ;   in Loop: Header=BB6_17293 Depth=3
	v_and_b32_e32 v12, 0x7fffffff, v6
	v_mov_b32_e32 v13, v33
	v_cmp_gt_u64_e32 vcc, s[78:79], v[12:13]
	v_and_b32_sdwa v12, v6, s97 dst_sel:DWORD dst_unused:UNUSED_PAD src0_sel:BYTE_3 src1_sel:DWORD
                                        ; implicit-def: $vgpr38
	s_and_saveexec_b64 s[40:41], vcc
	s_xor_b64 s[38:39], exec, s[40:41]
	s_cbranch_execz .LBB6_17460
; %bb.17451:                            ;   in Loop: Header=BB6_17293 Depth=3
	v_mov_b32_e32 v38, 0
	v_cmp_ne_u32_e32 vcc, 0, v6
	s_and_saveexec_b64 s[48:49], vcc
	s_cbranch_execz .LBB6_17459
; %bb.17452:                            ;   in Loop: Header=BB6_17293 Depth=3
	v_bfe_u32 v13, v6, 23, 8
	v_cmp_gt_u32_e64 s[40:41], s47, v13
	v_sub_u32_e32 v6, 0x71, v13
	v_cmp_eq_u32_e32 vcc, 0, v13
	v_cndmask_b32_e64 v6, 0, v6, s[40:41]
	v_mov_b32_e32 v27, 0x70
	v_cndmask_b32_e32 v27, v6, v27, vcc
	v_or_b32_e32 v7, 0x800000, v0
	v_add_u32_e32 v6, 21, v27
	v_cndmask_b32_e32 v0, v7, v0, vcc
	v_lshlrev_b64 v[6:7], v6, -1
	v_add_u32_e32 v29, 20, v27
	v_bfi_b32 v6, v6, 0, v0
	v_lshlrev_b64 v[29:30], v29, 1
	v_lshrrev_b64 v[0:1], v27, v[0:1]
	v_bfi_b32 v7, v7, 0, 0
	v_cmp_eq_u64_e64 s[40:41], v[6:7], v[29:30]
	v_mov_b32_e32 v7, v1
	v_mov_b32_e32 v6, v0
	s_and_saveexec_b64 s[50:51], s[40:41]
; %bb.17453:                            ;   in Loop: Header=BB6_17293 Depth=3
	v_bfe_u32 v1, v0, 21, 1
	v_add_co_u32_e64 v1, s[40:41], v0, v1
	v_add_co_u32_e64 v6, s[40:41], -1, v1
; %bb.17454:                            ;   in Loop: Header=BB6_17293 Depth=3
	s_or_b64 exec, exec, s[50:51]
	v_add_u32_e32 v1, 0xffffff81, v13
	v_mov_b32_e32 v7, 0xffffff82
	v_cndmask_b32_e32 v1, v1, v7, vcc
	v_lshrrev_b32_e32 v7, 23, v0
	v_add3_u32 v13, v27, v1, v7
	v_add_u32_e32 v7, 14, v13
	v_and_b32_e32 v1, 0x1fffff, v6
	v_add_u32_e32 v0, v1, v0
	v_mov_b32_e32 v1, v33
	v_cmp_ne_u32_e32 vcc, 0, v7
                                        ; implicit-def: $vgpr6
	s_and_saveexec_b64 s[40:41], vcc
	s_xor_b64 s[40:41], exec, s[40:41]
; %bb.17455:                            ;   in Loop: Header=BB6_17293 Depth=3
	v_cmp_lt_u64_e32 vcc, s[88:89], v[0:1]
	v_add_u32_e32 v6, 15, v13
	v_cndmask_b32_e32 v6, v7, v6, vcc
	v_cndmask_b32_e64 v7, 0, 1, vcc
	v_lshrrev_b64 v[0:1], v7, v[0:1]
; %bb.17456:                            ;   in Loop: Header=BB6_17293 Depth=3
	s_andn2_saveexec_b64 s[40:41], s[40:41]
; %bb.17457:                            ;   in Loop: Header=BB6_17293 Depth=3
	v_bfe_u32 v6, v0, 23, 1
; %bb.17458:                            ;   in Loop: Header=BB6_17293 Depth=3
	s_or_b64 exec, exec, s[40:41]
	v_lshrrev_b64 v[0:1], 21, v[0:1]
	v_cmp_gt_i32_e32 vcc, 32, v6
	v_cndmask_b32_e32 v1, 0, v1, vcc
	v_cndmask_b32_e32 v0, 3, v0, vcc
	v_cmp_eq_u64_e64 s[40:41], 0, v[0:1]
	v_min_i32_e32 v1, 31, v6
	v_lshlrev_b32_e32 v1, 2, v1
	v_cmp_eq_u32_e32 vcc, 0, v6
	v_and_b32_e32 v1, 0xfc, v1
	v_and_or_b32 v0, v0, 3, v1
	s_and_b64 s[40:41], vcc, s[40:41]
	v_cndmask_b32_e64 v0, v0, 0, s[40:41]
	v_or_b32_e32 v38, v0, v12
.LBB6_17459:                            ;   in Loop: Header=BB6_17293 Depth=3
	s_or_b64 exec, exec, s[48:49]
                                        ; implicit-def: $vgpr12
.LBB6_17460:                            ;   in Loop: Header=BB6_17293 Depth=3
	s_andn2_saveexec_b64 s[40:41], s[38:39]
; %bb.17461:                            ;   in Loop: Header=BB6_17293 Depth=3
	v_or_b32_e32 v38, 0x7b, v12
; %bb.17462:                            ;   in Loop: Header=BB6_17293 Depth=3
	s_or_b64 exec, exec, s[40:41]
                                        ; implicit-def: $vgpr6
                                        ; implicit-def: $vgpr0_vgpr1
.LBB6_17463:                            ;   in Loop: Header=BB6_17293 Depth=3
	s_andn2_saveexec_b64 s[40:41], s[42:43]
	s_cbranch_execz .LBB6_17469
; %bb.17464:                            ;   in Loop: Header=BB6_17293 Depth=3
	v_cmp_ne_u64_e32 vcc, 0, v[0:1]
                                        ; implicit-def: $vgpr38
	s_and_saveexec_b64 s[42:43], vcc
	s_xor_b64 s[42:43], exec, s[42:43]
; %bb.17465:                            ;   in Loop: Header=BB6_17293 Depth=3
	v_or_b32_sdwa v38, v6, s44 dst_sel:DWORD dst_unused:UNUSED_PAD src0_sel:BYTE_3 src1_sel:DWORD
                                        ; implicit-def: $vgpr6
; %bb.17466:                            ;   in Loop: Header=BB6_17293 Depth=3
	s_andn2_saveexec_b64 s[42:43], s[42:43]
; %bb.17467:                            ;   in Loop: Header=BB6_17293 Depth=3
	v_cmp_lt_i32_e32 vcc, -1, v6
	v_bfrev_b32_e32 v0, 0.5
	v_mov_b32_e32 v1, 0x7c
	v_cndmask_b32_e32 v38, v0, v1, vcc
; %bb.17468:                            ;   in Loop: Header=BB6_17293 Depth=3
	s_or_b64 exec, exec, s[42:43]
.LBB6_17469:                            ;   in Loop: Header=BB6_17293 Depth=3
	s_or_b64 exec, exec, s[40:41]
	v_lshrrev_b32_e32 v0, 16, v9
	v_cmp_ne_u16_sdwa s[42:43], v0, v33 src0_sel:BYTE_0 src1_sel:DWORD
	v_mov_b32_e32 v1, 0
	s_and_saveexec_b64 s[40:41], s[42:43]
	s_cbranch_execz .LBB6_17477
; %bb.17470:                            ;   in Loop: Header=BB6_17293 Depth=3
	v_cmp_ne_u16_sdwa s[62:63], v0, s97 src0_sel:BYTE_0 src1_sel:DWORD
	v_bfrev_b32_e32 v1, 1
	s_and_saveexec_b64 s[42:43], s[62:63]
	s_cbranch_execz .LBB6_17476
; %bb.17471:                            ;   in Loop: Header=BB6_17293 Depth=3
	v_and_b32_e32 v1, 0x7c0000, v9
	v_bfe_u32 v6, v9, 16, 2
	v_cmp_ne_u32_e32 vcc, s45, v1
                                        ; implicit-def: $vgpr1
	s_and_saveexec_b64 s[62:63], vcc
	s_xor_b64 s[38:39], exec, s[62:63]
	s_cbranch_execz .LBB6_17473
; %bb.17472:                            ;   in Loop: Header=BB6_17293 Depth=3
	v_ffbh_u32_e32 v1, v6
	v_min_u32_e32 v12, 32, v1
	v_subrev_u32_e32 v1, 29, v12
	v_lshlrev_b64 v[0:1], v1, v[0:1]
	v_bfe_u32 v7, v9, 18, 5
	v_and_b32_e32 v0, 3, v0
	v_cmp_eq_u32_e32 vcc, 0, v7
	v_sub_u32_e32 v1, 30, v12
	v_cndmask_b32_e32 v0, v6, v0, vcc
	v_lshlrev_b32_e32 v6, 8, v9
	v_cndmask_b32_e32 v1, v7, v1, vcc
	v_and_b32_e32 v6, 0x80000000, v6
	v_lshl_add_u32 v1, v1, 23, v6
	v_lshl_or_b32 v0, v0, 21, v1
	v_add_u32_e32 v1, 0x38000000, v0
                                        ; implicit-def: $vgpr6
                                        ; implicit-def: $vgpr0
.LBB6_17473:                            ;   in Loop: Header=BB6_17293 Depth=3
	s_andn2_saveexec_b64 s[38:39], s[38:39]
; %bb.17474:                            ;   in Loop: Header=BB6_17293 Depth=3
	v_mov_b32_e32 v1, -1
	v_cmp_gt_i16_sdwa vcc, sext(v0), v1 src0_sel:BYTE_0 src1_sel:DWORD
	v_mov_b32_e32 v0, 0xff800000
	v_mov_b32_e32 v1, 0x7f800000
	v_cndmask_b32_e32 v0, v0, v1, vcc
	v_cmp_eq_u32_e32 vcc, 0, v6
	v_mov_b32_e32 v1, 0x7f800001
	v_cndmask_b32_e32 v1, v1, v0, vcc
; %bb.17475:                            ;   in Loop: Header=BB6_17293 Depth=3
	s_or_b64 exec, exec, s[38:39]
.LBB6_17476:                            ;   in Loop: Header=BB6_17293 Depth=3
	s_or_b64 exec, exec, s[42:43]
.LBB6_17477:                            ;   in Loop: Header=BB6_17293 Depth=3
	s_or_b64 exec, exec, s[40:41]
	v_mul_f32_e32 v6, v28, v1
	v_and_b32_e32 v12, 0x7f800000, v6
	v_mov_b32_e32 v13, v33
	v_cmp_ne_u64_e32 vcc, s[76:77], v[12:13]
	v_and_b32_e32 v0, 0x7fffff, v6
	v_mov_b32_e32 v1, v33
                                        ; implicit-def: $vgpr48
	s_and_saveexec_b64 s[40:41], vcc
	s_xor_b64 s[42:43], exec, s[40:41]
	s_cbranch_execz .LBB6_17491
; %bb.17478:                            ;   in Loop: Header=BB6_17293 Depth=3
	v_and_b32_e32 v12, 0x7fffffff, v6
	v_mov_b32_e32 v13, v33
	v_cmp_gt_u64_e32 vcc, s[78:79], v[12:13]
	v_and_b32_sdwa v12, v6, s97 dst_sel:DWORD dst_unused:UNUSED_PAD src0_sel:BYTE_3 src1_sel:DWORD
                                        ; implicit-def: $vgpr48
	s_and_saveexec_b64 s[40:41], vcc
	s_xor_b64 s[38:39], exec, s[40:41]
	s_cbranch_execz .LBB6_17488
; %bb.17479:                            ;   in Loop: Header=BB6_17293 Depth=3
	v_mov_b32_e32 v48, 0
	v_cmp_ne_u32_e32 vcc, 0, v6
	s_and_saveexec_b64 s[48:49], vcc
	s_cbranch_execz .LBB6_17487
; %bb.17480:                            ;   in Loop: Header=BB6_17293 Depth=3
	v_bfe_u32 v13, v6, 23, 8
	v_cmp_gt_u32_e64 s[40:41], s47, v13
	v_sub_u32_e32 v6, 0x71, v13
	v_cmp_eq_u32_e32 vcc, 0, v13
	v_cndmask_b32_e64 v6, 0, v6, s[40:41]
	v_mov_b32_e32 v27, 0x70
	v_cndmask_b32_e32 v27, v6, v27, vcc
	v_or_b32_e32 v7, 0x800000, v0
	v_add_u32_e32 v6, 21, v27
	v_cndmask_b32_e32 v0, v7, v0, vcc
	v_lshlrev_b64 v[6:7], v6, -1
	v_add_u32_e32 v29, 20, v27
	v_bfi_b32 v6, v6, 0, v0
	v_lshlrev_b64 v[29:30], v29, 1
	v_lshrrev_b64 v[0:1], v27, v[0:1]
	v_bfi_b32 v7, v7, 0, 0
	v_cmp_eq_u64_e64 s[40:41], v[6:7], v[29:30]
	v_mov_b32_e32 v7, v1
	v_mov_b32_e32 v6, v0
	s_and_saveexec_b64 s[50:51], s[40:41]
; %bb.17481:                            ;   in Loop: Header=BB6_17293 Depth=3
	v_bfe_u32 v1, v0, 21, 1
	v_add_co_u32_e64 v1, s[40:41], v0, v1
	v_add_co_u32_e64 v6, s[40:41], -1, v1
; %bb.17482:                            ;   in Loop: Header=BB6_17293 Depth=3
	s_or_b64 exec, exec, s[50:51]
	v_add_u32_e32 v1, 0xffffff81, v13
	v_mov_b32_e32 v7, 0xffffff82
	v_cndmask_b32_e32 v1, v1, v7, vcc
	v_lshrrev_b32_e32 v7, 23, v0
	v_add3_u32 v13, v27, v1, v7
	v_add_u32_e32 v7, 14, v13
	v_and_b32_e32 v1, 0x1fffff, v6
	v_add_u32_e32 v0, v1, v0
	v_mov_b32_e32 v1, v33
	v_cmp_ne_u32_e32 vcc, 0, v7
                                        ; implicit-def: $vgpr6
	s_and_saveexec_b64 s[40:41], vcc
	s_xor_b64 s[40:41], exec, s[40:41]
; %bb.17483:                            ;   in Loop: Header=BB6_17293 Depth=3
	v_cmp_lt_u64_e32 vcc, s[88:89], v[0:1]
	v_add_u32_e32 v6, 15, v13
	v_cndmask_b32_e32 v6, v7, v6, vcc
	v_cndmask_b32_e64 v7, 0, 1, vcc
	v_lshrrev_b64 v[0:1], v7, v[0:1]
; %bb.17484:                            ;   in Loop: Header=BB6_17293 Depth=3
	s_andn2_saveexec_b64 s[40:41], s[40:41]
; %bb.17485:                            ;   in Loop: Header=BB6_17293 Depth=3
	v_bfe_u32 v6, v0, 23, 1
; %bb.17486:                            ;   in Loop: Header=BB6_17293 Depth=3
	s_or_b64 exec, exec, s[40:41]
	v_lshrrev_b64 v[0:1], 21, v[0:1]
	v_cmp_gt_i32_e32 vcc, 32, v6
	v_cndmask_b32_e32 v1, 0, v1, vcc
	v_cndmask_b32_e32 v0, 3, v0, vcc
	v_cmp_eq_u64_e64 s[40:41], 0, v[0:1]
	v_min_i32_e32 v1, 31, v6
	v_lshlrev_b32_e32 v1, 2, v1
	v_cmp_eq_u32_e32 vcc, 0, v6
	v_and_b32_e32 v1, 0xfc, v1
	v_and_or_b32 v0, v0, 3, v1
	s_and_b64 s[40:41], vcc, s[40:41]
	v_cndmask_b32_e64 v0, v0, 0, s[40:41]
	v_or_b32_e32 v48, v0, v12
.LBB6_17487:                            ;   in Loop: Header=BB6_17293 Depth=3
	s_or_b64 exec, exec, s[48:49]
                                        ; implicit-def: $vgpr12
.LBB6_17488:                            ;   in Loop: Header=BB6_17293 Depth=3
	s_andn2_saveexec_b64 s[40:41], s[38:39]
; %bb.17489:                            ;   in Loop: Header=BB6_17293 Depth=3
	v_or_b32_e32 v48, 0x7b, v12
; %bb.17490:                            ;   in Loop: Header=BB6_17293 Depth=3
	s_or_b64 exec, exec, s[40:41]
                                        ; implicit-def: $vgpr6
                                        ; implicit-def: $vgpr0_vgpr1
.LBB6_17491:                            ;   in Loop: Header=BB6_17293 Depth=3
	s_andn2_saveexec_b64 s[40:41], s[42:43]
	s_cbranch_execz .LBB6_17497
; %bb.17492:                            ;   in Loop: Header=BB6_17293 Depth=3
	v_cmp_ne_u64_e32 vcc, 0, v[0:1]
                                        ; implicit-def: $vgpr48
	s_and_saveexec_b64 s[42:43], vcc
	s_xor_b64 s[42:43], exec, s[42:43]
; %bb.17493:                            ;   in Loop: Header=BB6_17293 Depth=3
	v_or_b32_sdwa v48, v6, s44 dst_sel:DWORD dst_unused:UNUSED_PAD src0_sel:BYTE_3 src1_sel:DWORD
                                        ; implicit-def: $vgpr6
; %bb.17494:                            ;   in Loop: Header=BB6_17293 Depth=3
	s_andn2_saveexec_b64 s[42:43], s[42:43]
; %bb.17495:                            ;   in Loop: Header=BB6_17293 Depth=3
	v_cmp_lt_i32_e32 vcc, -1, v6
	v_bfrev_b32_e32 v0, 0.5
	v_mov_b32_e32 v1, 0x7c
	v_cndmask_b32_e32 v48, v0, v1, vcc
; %bb.17496:                            ;   in Loop: Header=BB6_17293 Depth=3
	s_or_b64 exec, exec, s[42:43]
.LBB6_17497:                            ;   in Loop: Header=BB6_17293 Depth=3
	s_or_b64 exec, exec, s[40:41]
	v_cmp_lt_u64_e32 vcc, s[56:57], v[8:9]
	v_mov_b32_e32 v1, 0
	s_and_saveexec_b64 s[40:41], vcc
	s_cbranch_execz .LBB6_17505
; %bb.17498:                            ;   in Loop: Header=BB6_17293 Depth=3
	v_lshrrev_b32_e32 v0, 24, v9
	v_cmp_ne_u32_e32 vcc, s97, v0
	v_bfrev_b32_e32 v1, 1
	s_and_saveexec_b64 s[42:43], vcc
	s_cbranch_execz .LBB6_17504
; %bb.17499:                            ;   in Loop: Header=BB6_17293 Depth=3
	v_and_b32_e32 v1, 0x7c000000, v9
	v_bfe_u32 v6, v9, 24, 2
	v_cmp_ne_u32_e32 vcc, s68, v1
                                        ; implicit-def: $vgpr1
	s_and_saveexec_b64 s[62:63], vcc
	s_xor_b64 s[38:39], exec, s[62:63]
	s_cbranch_execz .LBB6_17501
; %bb.17500:                            ;   in Loop: Header=BB6_17293 Depth=3
	v_ffbh_u32_e32 v1, v6
	v_min_u32_e32 v12, 32, v1
	v_subrev_u32_e32 v1, 29, v12
	v_lshlrev_b64 v[0:1], v1, v[0:1]
	v_bfe_u32 v7, v9, 26, 5
	v_sub_u32_e32 v1, 30, v12
	v_and_b32_e32 v0, 3, v0
	v_cmp_eq_u32_e32 vcc, 0, v7
	v_cndmask_b32_e32 v1, v7, v1, vcc
	v_cndmask_b32_e32 v0, v6, v0, vcc
	v_and_b32_e32 v6, 0x80000000, v9
	v_lshl_add_u32 v1, v1, 23, v6
	v_lshl_or_b32 v0, v0, 21, v1
	v_add_u32_e32 v1, 0x38000000, v0
                                        ; implicit-def: $vgpr6
.LBB6_17501:                            ;   in Loop: Header=BB6_17293 Depth=3
	s_andn2_saveexec_b64 s[38:39], s[38:39]
; %bb.17502:                            ;   in Loop: Header=BB6_17293 Depth=3
	v_cmp_lt_i64_e32 vcc, -1, v[8:9]
	v_mov_b32_e32 v0, 0xff800000
	v_mov_b32_e32 v1, 0x7f800000
	v_cndmask_b32_e32 v0, v0, v1, vcc
	v_cmp_eq_u32_e32 vcc, 0, v6
	v_mov_b32_e32 v1, 0x7f800001
	v_cndmask_b32_e32 v1, v1, v0, vcc
; %bb.17503:                            ;   in Loop: Header=BB6_17293 Depth=3
	s_or_b64 exec, exec, s[38:39]
.LBB6_17504:                            ;   in Loop: Header=BB6_17293 Depth=3
	s_or_b64 exec, exec, s[42:43]
.LBB6_17505:                            ;   in Loop: Header=BB6_17293 Depth=3
	s_or_b64 exec, exec, s[40:41]
	v_mul_f32_e32 v6, v28, v1
	v_and_b32_e32 v7, 0x7f800000, v6
	v_mov_b32_e32 v8, v33
	v_cmp_ne_u64_e32 vcc, s[76:77], v[7:8]
	v_and_b32_e32 v0, 0x7fffff, v6
	v_mov_b32_e32 v1, v33
                                        ; implicit-def: $vgpr49
	s_and_saveexec_b64 s[40:41], vcc
	s_xor_b64 s[42:43], exec, s[40:41]
	s_cbranch_execz .LBB6_17519
; %bb.17506:                            ;   in Loop: Header=BB6_17293 Depth=3
	v_and_b32_e32 v7, 0x7fffffff, v6
	v_mov_b32_e32 v8, v33
	v_cmp_gt_u64_e32 vcc, s[78:79], v[7:8]
	v_and_b32_sdwa v8, v6, s97 dst_sel:DWORD dst_unused:UNUSED_PAD src0_sel:BYTE_3 src1_sel:DWORD
                                        ; implicit-def: $vgpr49
	s_and_saveexec_b64 s[40:41], vcc
	s_xor_b64 s[38:39], exec, s[40:41]
	s_cbranch_execz .LBB6_17516
; %bb.17507:                            ;   in Loop: Header=BB6_17293 Depth=3
	v_mov_b32_e32 v49, 0
	v_cmp_ne_u32_e32 vcc, 0, v6
	s_and_saveexec_b64 s[48:49], vcc
	s_cbranch_execz .LBB6_17515
; %bb.17508:                            ;   in Loop: Header=BB6_17293 Depth=3
	v_bfe_u32 v9, v6, 23, 8
	v_cmp_gt_u32_e64 s[40:41], s47, v9
	v_sub_u32_e32 v6, 0x71, v9
	v_cmp_eq_u32_e32 vcc, 0, v9
	v_cndmask_b32_e64 v6, 0, v6, s[40:41]
	v_mov_b32_e32 v12, 0x70
	v_cndmask_b32_e32 v12, v6, v12, vcc
	v_or_b32_e32 v7, 0x800000, v0
	v_add_u32_e32 v6, 21, v12
	v_cndmask_b32_e32 v0, v7, v0, vcc
	v_lshlrev_b64 v[6:7], v6, -1
	v_add_u32_e32 v13, 20, v12
	v_bfi_b32 v6, v6, 0, v0
	v_lshlrev_b64 v[29:30], v13, 1
	v_lshrrev_b64 v[0:1], v12, v[0:1]
	v_bfi_b32 v7, v7, 0, 0
	v_cmp_eq_u64_e64 s[40:41], v[6:7], v[29:30]
	v_mov_b32_e32 v7, v1
	v_mov_b32_e32 v6, v0
	s_and_saveexec_b64 s[50:51], s[40:41]
; %bb.17509:                            ;   in Loop: Header=BB6_17293 Depth=3
	v_bfe_u32 v1, v0, 21, 1
	v_add_co_u32_e64 v1, s[40:41], v0, v1
	v_add_co_u32_e64 v6, s[40:41], -1, v1
; %bb.17510:                            ;   in Loop: Header=BB6_17293 Depth=3
	s_or_b64 exec, exec, s[50:51]
	v_add_u32_e32 v1, 0xffffff81, v9
	v_mov_b32_e32 v7, 0xffffff82
	v_cndmask_b32_e32 v1, v1, v7, vcc
	v_lshrrev_b32_e32 v7, 23, v0
	v_add3_u32 v9, v12, v1, v7
	v_add_u32_e32 v7, 14, v9
	v_and_b32_e32 v1, 0x1fffff, v6
	v_add_u32_e32 v0, v1, v0
	v_mov_b32_e32 v1, v33
	v_cmp_ne_u32_e32 vcc, 0, v7
                                        ; implicit-def: $vgpr6
	s_and_saveexec_b64 s[40:41], vcc
	s_xor_b64 s[40:41], exec, s[40:41]
; %bb.17511:                            ;   in Loop: Header=BB6_17293 Depth=3
	v_cmp_lt_u64_e32 vcc, s[88:89], v[0:1]
	v_add_u32_e32 v6, 15, v9
	v_cndmask_b32_e32 v6, v7, v6, vcc
	v_cndmask_b32_e64 v7, 0, 1, vcc
	v_lshrrev_b64 v[0:1], v7, v[0:1]
; %bb.17512:                            ;   in Loop: Header=BB6_17293 Depth=3
	s_andn2_saveexec_b64 s[40:41], s[40:41]
; %bb.17513:                            ;   in Loop: Header=BB6_17293 Depth=3
	v_bfe_u32 v6, v0, 23, 1
; %bb.17514:                            ;   in Loop: Header=BB6_17293 Depth=3
	s_or_b64 exec, exec, s[40:41]
	v_lshrrev_b64 v[0:1], 21, v[0:1]
	v_cmp_gt_i32_e32 vcc, 32, v6
	v_cndmask_b32_e32 v1, 0, v1, vcc
	v_cndmask_b32_e32 v0, 3, v0, vcc
	v_cmp_eq_u64_e64 s[40:41], 0, v[0:1]
	v_min_i32_e32 v1, 31, v6
	v_lshlrev_b32_e32 v1, 2, v1
	v_cmp_eq_u32_e32 vcc, 0, v6
	v_and_b32_e32 v1, 0xfc, v1
	v_and_or_b32 v0, v0, 3, v1
	s_and_b64 s[40:41], vcc, s[40:41]
	v_cndmask_b32_e64 v0, v0, 0, s[40:41]
	v_or_b32_e32 v49, v0, v8
.LBB6_17515:                            ;   in Loop: Header=BB6_17293 Depth=3
	s_or_b64 exec, exec, s[48:49]
                                        ; implicit-def: $vgpr8
.LBB6_17516:                            ;   in Loop: Header=BB6_17293 Depth=3
	s_andn2_saveexec_b64 s[40:41], s[38:39]
; %bb.17517:                            ;   in Loop: Header=BB6_17293 Depth=3
	v_or_b32_e32 v49, 0x7b, v8
; %bb.17518:                            ;   in Loop: Header=BB6_17293 Depth=3
	s_or_b64 exec, exec, s[40:41]
                                        ; implicit-def: $vgpr6
                                        ; implicit-def: $vgpr0_vgpr1
.LBB6_17519:                            ;   in Loop: Header=BB6_17293 Depth=3
	s_andn2_saveexec_b64 s[40:41], s[42:43]
	s_cbranch_execz .LBB6_17525
; %bb.17520:                            ;   in Loop: Header=BB6_17293 Depth=3
	v_cmp_ne_u64_e32 vcc, 0, v[0:1]
                                        ; implicit-def: $vgpr49
	s_and_saveexec_b64 s[42:43], vcc
	s_xor_b64 s[42:43], exec, s[42:43]
; %bb.17521:                            ;   in Loop: Header=BB6_17293 Depth=3
	v_or_b32_sdwa v49, v6, s44 dst_sel:DWORD dst_unused:UNUSED_PAD src0_sel:BYTE_3 src1_sel:DWORD
                                        ; implicit-def: $vgpr6
; %bb.17522:                            ;   in Loop: Header=BB6_17293 Depth=3
	s_andn2_saveexec_b64 s[42:43], s[42:43]
; %bb.17523:                            ;   in Loop: Header=BB6_17293 Depth=3
	v_cmp_lt_i32_e32 vcc, -1, v6
	v_bfrev_b32_e32 v0, 0.5
	v_mov_b32_e32 v1, 0x7c
	v_cndmask_b32_e32 v49, v0, v1, vcc
; %bb.17524:                            ;   in Loop: Header=BB6_17293 Depth=3
	s_or_b64 exec, exec, s[42:43]
.LBB6_17525:                            ;   in Loop: Header=BB6_17293 Depth=3
	s_or_b64 exec, exec, s[40:41]
	v_cmp_ne_u16_sdwa s[42:43], v10, v33 src0_sel:BYTE_0 src1_sel:DWORD
	v_mov_b32_e32 v0, 0
	s_and_saveexec_b64 s[40:41], s[42:43]
	s_cbranch_execz .LBB6_17533
; %bb.17526:                            ;   in Loop: Header=BB6_17293 Depth=3
	v_cmp_ne_u16_sdwa s[62:63], sext(v10), s46 src0_sel:BYTE_0 src1_sel:DWORD
	v_bfrev_b32_e32 v0, 1
	s_and_saveexec_b64 s[42:43], s[62:63]
	s_cbranch_execz .LBB6_17532
; %bb.17527:                            ;   in Loop: Header=BB6_17293 Depth=3
	v_and_b32_e32 v0, 0x7c, v10
	v_and_b32_e32 v1, 3, v10
	v_cmp_ne_u32_e32 vcc, s86, v0
                                        ; implicit-def: $vgpr0
	s_and_saveexec_b64 s[62:63], vcc
	s_xor_b64 s[38:39], exec, s[62:63]
	s_cbranch_execz .LBB6_17529
; %bb.17528:                            ;   in Loop: Header=BB6_17293 Depth=3
	v_ffbh_u32_e32 v6, v1
	v_min_u32_e32 v8, 32, v6
	v_subrev_u32_e32 v6, 29, v8
	v_lshlrev_b64 v[6:7], v6, v[10:11]
	v_bfe_u32 v0, v10, 2, 5
	v_and_b32_e32 v6, 3, v6
	v_cmp_eq_u32_e32 vcc, 0, v0
	v_sub_u32_e32 v7, 30, v8
	v_cndmask_b32_e32 v1, v1, v6, vcc
	v_lshlrev_b32_e32 v6, 24, v10
	v_cndmask_b32_e32 v0, v0, v7, vcc
	v_and_b32_e32 v6, 0x80000000, v6
	v_lshl_add_u32 v0, v0, 23, v6
	v_lshl_or_b32 v0, v1, 21, v0
	v_add_u32_e32 v0, 0x38000000, v0
                                        ; implicit-def: $vgpr1
.LBB6_17529:                            ;   in Loop: Header=BB6_17293 Depth=3
	s_andn2_saveexec_b64 s[38:39], s[38:39]
; %bb.17530:                            ;   in Loop: Header=BB6_17293 Depth=3
	v_mov_b32_e32 v0, -1
	v_cmp_gt_i16_sdwa vcc, sext(v10), v0 src0_sel:BYTE_0 src1_sel:DWORD
	v_mov_b32_e32 v0, 0xff800000
	v_mov_b32_e32 v6, 0x7f800000
	v_cndmask_b32_e32 v0, v0, v6, vcc
	v_cmp_eq_u32_e32 vcc, 0, v1
	v_mov_b32_e32 v1, 0x7f800001
	v_cndmask_b32_e32 v0, v1, v0, vcc
; %bb.17531:                            ;   in Loop: Header=BB6_17293 Depth=3
	s_or_b64 exec, exec, s[38:39]
.LBB6_17532:                            ;   in Loop: Header=BB6_17293 Depth=3
	s_or_b64 exec, exec, s[42:43]
.LBB6_17533:                            ;   in Loop: Header=BB6_17293 Depth=3
	s_or_b64 exec, exec, s[40:41]
	v_mul_f32_e32 v6, v28, v0
	v_and_b32_e32 v7, 0x7f800000, v6
	v_mov_b32_e32 v8, v33
	v_cmp_ne_u64_e32 vcc, s[76:77], v[7:8]
	v_and_b32_e32 v0, 0x7fffff, v6
	v_mov_b32_e32 v1, v33
                                        ; implicit-def: $vgpr29
	s_and_saveexec_b64 s[40:41], vcc
	s_xor_b64 s[42:43], exec, s[40:41]
	s_cbranch_execz .LBB6_17547
; %bb.17534:                            ;   in Loop: Header=BB6_17293 Depth=3
	v_and_b32_e32 v7, 0x7fffffff, v6
	v_mov_b32_e32 v8, v33
	v_cmp_gt_u64_e32 vcc, s[78:79], v[7:8]
	v_and_b32_sdwa v8, v6, s97 dst_sel:DWORD dst_unused:UNUSED_PAD src0_sel:BYTE_3 src1_sel:DWORD
                                        ; implicit-def: $vgpr29
	s_and_saveexec_b64 s[40:41], vcc
	s_xor_b64 s[38:39], exec, s[40:41]
	s_cbranch_execz .LBB6_17544
; %bb.17535:                            ;   in Loop: Header=BB6_17293 Depth=3
	v_mov_b32_e32 v29, 0
	v_cmp_ne_u32_e32 vcc, 0, v6
	s_and_saveexec_b64 s[48:49], vcc
	s_cbranch_execz .LBB6_17543
; %bb.17536:                            ;   in Loop: Header=BB6_17293 Depth=3
	v_bfe_u32 v9, v6, 23, 8
	v_cmp_gt_u32_e64 s[40:41], s47, v9
	v_sub_u32_e32 v6, 0x71, v9
	v_cmp_eq_u32_e32 vcc, 0, v9
	v_cndmask_b32_e64 v6, 0, v6, s[40:41]
	v_mov_b32_e32 v12, 0x70
	v_cndmask_b32_e32 v12, v6, v12, vcc
	v_or_b32_e32 v7, 0x800000, v0
	v_add_u32_e32 v6, 21, v12
	v_cndmask_b32_e32 v0, v7, v0, vcc
	v_lshlrev_b64 v[6:7], v6, -1
	v_add_u32_e32 v13, 20, v12
	v_bfi_b32 v6, v6, 0, v0
	v_lshlrev_b64 v[29:30], v13, 1
	v_lshrrev_b64 v[0:1], v12, v[0:1]
	v_bfi_b32 v7, v7, 0, 0
	v_cmp_eq_u64_e64 s[40:41], v[6:7], v[29:30]
	v_mov_b32_e32 v7, v1
	v_mov_b32_e32 v6, v0
	s_and_saveexec_b64 s[50:51], s[40:41]
; %bb.17537:                            ;   in Loop: Header=BB6_17293 Depth=3
	v_bfe_u32 v1, v0, 21, 1
	v_add_co_u32_e64 v1, s[40:41], v0, v1
	v_add_co_u32_e64 v6, s[40:41], -1, v1
; %bb.17538:                            ;   in Loop: Header=BB6_17293 Depth=3
	s_or_b64 exec, exec, s[50:51]
	v_add_u32_e32 v1, 0xffffff81, v9
	v_mov_b32_e32 v7, 0xffffff82
	v_cndmask_b32_e32 v1, v1, v7, vcc
	v_lshrrev_b32_e32 v7, 23, v0
	v_add3_u32 v9, v12, v1, v7
	v_add_u32_e32 v7, 14, v9
	v_and_b32_e32 v1, 0x1fffff, v6
	v_add_u32_e32 v0, v1, v0
	v_mov_b32_e32 v1, v33
	v_cmp_ne_u32_e32 vcc, 0, v7
                                        ; implicit-def: $vgpr6
	s_and_saveexec_b64 s[40:41], vcc
	s_xor_b64 s[40:41], exec, s[40:41]
; %bb.17539:                            ;   in Loop: Header=BB6_17293 Depth=3
	v_cmp_lt_u64_e32 vcc, s[88:89], v[0:1]
	v_add_u32_e32 v6, 15, v9
	v_cndmask_b32_e32 v6, v7, v6, vcc
	v_cndmask_b32_e64 v7, 0, 1, vcc
	v_lshrrev_b64 v[0:1], v7, v[0:1]
; %bb.17540:                            ;   in Loop: Header=BB6_17293 Depth=3
	s_andn2_saveexec_b64 s[40:41], s[40:41]
; %bb.17541:                            ;   in Loop: Header=BB6_17293 Depth=3
	v_bfe_u32 v6, v0, 23, 1
; %bb.17542:                            ;   in Loop: Header=BB6_17293 Depth=3
	s_or_b64 exec, exec, s[40:41]
	v_lshrrev_b64 v[0:1], 21, v[0:1]
	v_cmp_gt_i32_e32 vcc, 32, v6
	v_cndmask_b32_e32 v1, 0, v1, vcc
	v_cndmask_b32_e32 v0, 3, v0, vcc
	v_cmp_eq_u64_e64 s[40:41], 0, v[0:1]
	v_min_i32_e32 v1, 31, v6
	v_lshlrev_b32_e32 v1, 2, v1
	v_cmp_eq_u32_e32 vcc, 0, v6
	v_and_b32_e32 v1, 0xfc, v1
	v_and_or_b32 v0, v0, 3, v1
	s_and_b64 s[40:41], vcc, s[40:41]
	v_cndmask_b32_e64 v0, v0, 0, s[40:41]
	v_or_b32_e32 v29, v0, v8
.LBB6_17543:                            ;   in Loop: Header=BB6_17293 Depth=3
	s_or_b64 exec, exec, s[48:49]
                                        ; implicit-def: $vgpr8
.LBB6_17544:                            ;   in Loop: Header=BB6_17293 Depth=3
	s_andn2_saveexec_b64 s[40:41], s[38:39]
; %bb.17545:                            ;   in Loop: Header=BB6_17293 Depth=3
	v_or_b32_e32 v29, 0x7b, v8
; %bb.17546:                            ;   in Loop: Header=BB6_17293 Depth=3
	s_or_b64 exec, exec, s[40:41]
                                        ; implicit-def: $vgpr6
                                        ; implicit-def: $vgpr0_vgpr1
.LBB6_17547:                            ;   in Loop: Header=BB6_17293 Depth=3
	s_andn2_saveexec_b64 s[40:41], s[42:43]
	s_cbranch_execz .LBB6_17553
; %bb.17548:                            ;   in Loop: Header=BB6_17293 Depth=3
	v_cmp_ne_u64_e32 vcc, 0, v[0:1]
                                        ; implicit-def: $vgpr29
	s_and_saveexec_b64 s[42:43], vcc
	s_xor_b64 s[42:43], exec, s[42:43]
; %bb.17549:                            ;   in Loop: Header=BB6_17293 Depth=3
	v_or_b32_sdwa v29, v6, s44 dst_sel:DWORD dst_unused:UNUSED_PAD src0_sel:BYTE_3 src1_sel:DWORD
                                        ; implicit-def: $vgpr6
; %bb.17550:                            ;   in Loop: Header=BB6_17293 Depth=3
	s_andn2_saveexec_b64 s[42:43], s[42:43]
; %bb.17551:                            ;   in Loop: Header=BB6_17293 Depth=3
	v_cmp_lt_i32_e32 vcc, -1, v6
	v_bfrev_b32_e32 v0, 0.5
	v_mov_b32_e32 v1, 0x7c
	v_cndmask_b32_e32 v29, v0, v1, vcc
; %bb.17552:                            ;   in Loop: Header=BB6_17293 Depth=3
	s_or_b64 exec, exec, s[42:43]
.LBB6_17553:                            ;   in Loop: Header=BB6_17293 Depth=3
	s_or_b64 exec, exec, s[40:41]
	v_lshrrev_b16_e32 v0, 8, v10
	v_cmp_ne_u16_e32 vcc, 0, v0
	v_mov_b32_e32 v1, 0
	s_and_saveexec_b64 s[40:41], vcc
	s_cbranch_execz .LBB6_17561
; %bb.17554:                            ;   in Loop: Header=BB6_17293 Depth=3
	v_cmp_ne_u16_e32 vcc, s97, v0
	v_bfrev_b32_e32 v1, 1
	s_and_saveexec_b64 s[42:43], vcc
	s_cbranch_execz .LBB6_17560
; %bb.17555:                            ;   in Loop: Header=BB6_17293 Depth=3
	v_and_b32_e32 v1, 0x7c, v0
	v_and_b32_e32 v6, 3, v0
	v_cmp_ne_u32_e32 vcc, s86, v1
                                        ; implicit-def: $vgpr1
	s_and_saveexec_b64 s[62:63], vcc
	s_xor_b64 s[38:39], exec, s[62:63]
	s_cbranch_execz .LBB6_17557
; %bb.17556:                            ;   in Loop: Header=BB6_17293 Depth=3
	v_ffbh_u32_e32 v8, v6
	v_min_u32_e32 v8, 32, v8
	v_mov_b32_e32 v1, v33
	v_subrev_u32_e32 v9, 29, v8
	v_bfe_u32 v7, v0, 2, 5
	v_lshlrev_b64 v[0:1], v9, v[0:1]
	v_cmp_eq_u32_e32 vcc, 0, v7
	v_and_b32_e32 v0, 3, v0
	v_sub_u32_e32 v1, 30, v8
	v_cndmask_b32_e32 v0, v6, v0, vcc
	v_lshlrev_b32_e32 v6, 16, v10
	v_cndmask_b32_e32 v1, v7, v1, vcc
	v_and_b32_e32 v6, 0x80000000, v6
	v_lshl_add_u32 v1, v1, 23, v6
	v_lshl_or_b32 v0, v0, 21, v1
	v_add_u32_e32 v1, 0x38000000, v0
                                        ; implicit-def: $vgpr6
.LBB6_17557:                            ;   in Loop: Header=BB6_17293 Depth=3
	s_andn2_saveexec_b64 s[38:39], s[38:39]
; %bb.17558:                            ;   in Loop: Header=BB6_17293 Depth=3
	v_cmp_lt_i16_e32 vcc, -1, v10
	v_mov_b32_e32 v0, 0xff800000
	v_mov_b32_e32 v1, 0x7f800000
	v_cndmask_b32_e32 v0, v0, v1, vcc
	v_cmp_eq_u32_e32 vcc, 0, v6
	v_mov_b32_e32 v1, 0x7f800001
	v_cndmask_b32_e32 v1, v1, v0, vcc
; %bb.17559:                            ;   in Loop: Header=BB6_17293 Depth=3
	s_or_b64 exec, exec, s[38:39]
.LBB6_17560:                            ;   in Loop: Header=BB6_17293 Depth=3
	s_or_b64 exec, exec, s[42:43]
.LBB6_17561:                            ;   in Loop: Header=BB6_17293 Depth=3
	s_or_b64 exec, exec, s[40:41]
	v_mul_f32_e32 v6, v28, v1
	v_and_b32_e32 v7, 0x7f800000, v6
	v_mov_b32_e32 v8, v33
	v_cmp_ne_u64_e32 vcc, s[76:77], v[7:8]
	v_and_b32_e32 v0, 0x7fffff, v6
	v_mov_b32_e32 v1, v33
                                        ; implicit-def: $vgpr34
	s_and_saveexec_b64 s[40:41], vcc
	s_xor_b64 s[42:43], exec, s[40:41]
	s_cbranch_execz .LBB6_17575
; %bb.17562:                            ;   in Loop: Header=BB6_17293 Depth=3
	v_and_b32_e32 v7, 0x7fffffff, v6
	v_mov_b32_e32 v8, v33
	v_cmp_gt_u64_e32 vcc, s[78:79], v[7:8]
	v_and_b32_sdwa v8, v6, s97 dst_sel:DWORD dst_unused:UNUSED_PAD src0_sel:BYTE_3 src1_sel:DWORD
                                        ; implicit-def: $vgpr34
	s_and_saveexec_b64 s[40:41], vcc
	s_xor_b64 s[38:39], exec, s[40:41]
	s_cbranch_execz .LBB6_17572
; %bb.17563:                            ;   in Loop: Header=BB6_17293 Depth=3
	v_mov_b32_e32 v34, 0
	v_cmp_ne_u32_e32 vcc, 0, v6
	s_and_saveexec_b64 s[48:49], vcc
	s_cbranch_execz .LBB6_17571
; %bb.17564:                            ;   in Loop: Header=BB6_17293 Depth=3
	v_bfe_u32 v9, v6, 23, 8
	v_cmp_gt_u32_e64 s[40:41], s47, v9
	v_sub_u32_e32 v6, 0x71, v9
	v_cmp_eq_u32_e32 vcc, 0, v9
	v_cndmask_b32_e64 v6, 0, v6, s[40:41]
	v_mov_b32_e32 v12, 0x70
	v_cndmask_b32_e32 v12, v6, v12, vcc
	v_or_b32_e32 v7, 0x800000, v0
	v_add_u32_e32 v6, 21, v12
	v_cndmask_b32_e32 v0, v7, v0, vcc
	v_lshlrev_b64 v[6:7], v6, -1
	v_add_u32_e32 v13, 20, v12
	v_bfi_b32 v6, v6, 0, v0
	v_lshlrev_b64 v[36:37], v13, 1
	v_lshrrev_b64 v[0:1], v12, v[0:1]
	v_bfi_b32 v7, v7, 0, 0
	v_cmp_eq_u64_e64 s[40:41], v[6:7], v[36:37]
	v_mov_b32_e32 v7, v1
	v_mov_b32_e32 v6, v0
	s_and_saveexec_b64 s[50:51], s[40:41]
; %bb.17565:                            ;   in Loop: Header=BB6_17293 Depth=3
	v_bfe_u32 v1, v0, 21, 1
	v_add_co_u32_e64 v1, s[40:41], v0, v1
	v_add_co_u32_e64 v6, s[40:41], -1, v1
; %bb.17566:                            ;   in Loop: Header=BB6_17293 Depth=3
	s_or_b64 exec, exec, s[50:51]
	v_add_u32_e32 v1, 0xffffff81, v9
	v_mov_b32_e32 v7, 0xffffff82
	v_cndmask_b32_e32 v1, v1, v7, vcc
	v_lshrrev_b32_e32 v7, 23, v0
	v_add3_u32 v9, v12, v1, v7
	v_add_u32_e32 v7, 14, v9
	v_and_b32_e32 v1, 0x1fffff, v6
	v_add_u32_e32 v0, v1, v0
	v_mov_b32_e32 v1, v33
	v_cmp_ne_u32_e32 vcc, 0, v7
                                        ; implicit-def: $vgpr6
	s_and_saveexec_b64 s[40:41], vcc
	s_xor_b64 s[40:41], exec, s[40:41]
; %bb.17567:                            ;   in Loop: Header=BB6_17293 Depth=3
	v_cmp_lt_u64_e32 vcc, s[88:89], v[0:1]
	v_add_u32_e32 v6, 15, v9
	v_cndmask_b32_e32 v6, v7, v6, vcc
	v_cndmask_b32_e64 v7, 0, 1, vcc
	v_lshrrev_b64 v[0:1], v7, v[0:1]
; %bb.17568:                            ;   in Loop: Header=BB6_17293 Depth=3
	s_andn2_saveexec_b64 s[40:41], s[40:41]
; %bb.17569:                            ;   in Loop: Header=BB6_17293 Depth=3
	v_bfe_u32 v6, v0, 23, 1
; %bb.17570:                            ;   in Loop: Header=BB6_17293 Depth=3
	s_or_b64 exec, exec, s[40:41]
	v_lshrrev_b64 v[0:1], 21, v[0:1]
	v_cmp_gt_i32_e32 vcc, 32, v6
	v_cndmask_b32_e32 v1, 0, v1, vcc
	v_cndmask_b32_e32 v0, 3, v0, vcc
	v_cmp_eq_u64_e64 s[40:41], 0, v[0:1]
	v_min_i32_e32 v1, 31, v6
	v_lshlrev_b32_e32 v1, 2, v1
	v_cmp_eq_u32_e32 vcc, 0, v6
	v_and_b32_e32 v1, 0xfc, v1
	v_and_or_b32 v0, v0, 3, v1
	s_and_b64 s[40:41], vcc, s[40:41]
	v_cndmask_b32_e64 v0, v0, 0, s[40:41]
	v_or_b32_e32 v34, v0, v8
.LBB6_17571:                            ;   in Loop: Header=BB6_17293 Depth=3
	s_or_b64 exec, exec, s[48:49]
                                        ; implicit-def: $vgpr8
.LBB6_17572:                            ;   in Loop: Header=BB6_17293 Depth=3
	s_andn2_saveexec_b64 s[40:41], s[38:39]
; %bb.17573:                            ;   in Loop: Header=BB6_17293 Depth=3
	v_or_b32_e32 v34, 0x7b, v8
; %bb.17574:                            ;   in Loop: Header=BB6_17293 Depth=3
	s_or_b64 exec, exec, s[40:41]
                                        ; implicit-def: $vgpr6
                                        ; implicit-def: $vgpr0_vgpr1
.LBB6_17575:                            ;   in Loop: Header=BB6_17293 Depth=3
	s_andn2_saveexec_b64 s[40:41], s[42:43]
	s_cbranch_execz .LBB6_17581
; %bb.17576:                            ;   in Loop: Header=BB6_17293 Depth=3
	v_cmp_ne_u64_e32 vcc, 0, v[0:1]
                                        ; implicit-def: $vgpr34
	s_and_saveexec_b64 s[42:43], vcc
	s_xor_b64 s[42:43], exec, s[42:43]
; %bb.17577:                            ;   in Loop: Header=BB6_17293 Depth=3
	v_or_b32_sdwa v34, v6, s44 dst_sel:DWORD dst_unused:UNUSED_PAD src0_sel:BYTE_3 src1_sel:DWORD
                                        ; implicit-def: $vgpr6
; %bb.17578:                            ;   in Loop: Header=BB6_17293 Depth=3
	s_andn2_saveexec_b64 s[42:43], s[42:43]
; %bb.17579:                            ;   in Loop: Header=BB6_17293 Depth=3
	v_cmp_lt_i32_e32 vcc, -1, v6
	v_bfrev_b32_e32 v0, 0.5
	v_mov_b32_e32 v1, 0x7c
	v_cndmask_b32_e32 v34, v0, v1, vcc
; %bb.17580:                            ;   in Loop: Header=BB6_17293 Depth=3
	s_or_b64 exec, exec, s[42:43]
.LBB6_17581:                            ;   in Loop: Header=BB6_17293 Depth=3
	s_or_b64 exec, exec, s[40:41]
	v_lshrrev_b32_e32 v0, 16, v10
	v_cmp_ne_u16_sdwa s[42:43], v0, v33 src0_sel:BYTE_0 src1_sel:DWORD
	v_mov_b32_e32 v1, 0
	s_and_saveexec_b64 s[40:41], s[42:43]
	s_cbranch_execz .LBB6_17589
; %bb.17582:                            ;   in Loop: Header=BB6_17293 Depth=3
	v_cmp_ne_u16_sdwa s[62:63], v0, s97 src0_sel:BYTE_0 src1_sel:DWORD
	v_bfrev_b32_e32 v1, 1
	s_and_saveexec_b64 s[42:43], s[62:63]
	s_cbranch_execz .LBB6_17588
; %bb.17583:                            ;   in Loop: Header=BB6_17293 Depth=3
	v_and_b32_e32 v1, 0x7c0000, v10
	v_bfe_u32 v6, v10, 16, 2
	v_cmp_ne_u32_e32 vcc, s45, v1
                                        ; implicit-def: $vgpr1
	s_and_saveexec_b64 s[62:63], vcc
	s_xor_b64 s[38:39], exec, s[62:63]
	s_cbranch_execz .LBB6_17585
; %bb.17584:                            ;   in Loop: Header=BB6_17293 Depth=3
	v_ffbh_u32_e32 v1, v6
	v_min_u32_e32 v8, 32, v1
	v_subrev_u32_e32 v1, 29, v8
	v_lshlrev_b64 v[0:1], v1, v[0:1]
	v_bfe_u32 v7, v10, 18, 5
	v_and_b32_e32 v0, 3, v0
	v_cmp_eq_u32_e32 vcc, 0, v7
	v_sub_u32_e32 v1, 30, v8
	v_cndmask_b32_e32 v0, v6, v0, vcc
	v_lshlrev_b32_e32 v6, 8, v10
	v_cndmask_b32_e32 v1, v7, v1, vcc
	v_and_b32_e32 v6, 0x80000000, v6
	v_lshl_add_u32 v1, v1, 23, v6
	v_lshl_or_b32 v0, v0, 21, v1
	v_add_u32_e32 v1, 0x38000000, v0
                                        ; implicit-def: $vgpr6
                                        ; implicit-def: $vgpr0
.LBB6_17585:                            ;   in Loop: Header=BB6_17293 Depth=3
	s_andn2_saveexec_b64 s[38:39], s[38:39]
; %bb.17586:                            ;   in Loop: Header=BB6_17293 Depth=3
	v_mov_b32_e32 v1, -1
	v_cmp_gt_i16_sdwa vcc, sext(v0), v1 src0_sel:BYTE_0 src1_sel:DWORD
	v_mov_b32_e32 v0, 0xff800000
	v_mov_b32_e32 v1, 0x7f800000
	v_cndmask_b32_e32 v0, v0, v1, vcc
	v_cmp_eq_u32_e32 vcc, 0, v6
	v_mov_b32_e32 v1, 0x7f800001
	v_cndmask_b32_e32 v1, v1, v0, vcc
; %bb.17587:                            ;   in Loop: Header=BB6_17293 Depth=3
	s_or_b64 exec, exec, s[38:39]
.LBB6_17588:                            ;   in Loop: Header=BB6_17293 Depth=3
	s_or_b64 exec, exec, s[42:43]
.LBB6_17589:                            ;   in Loop: Header=BB6_17293 Depth=3
	s_or_b64 exec, exec, s[40:41]
	v_mul_f32_e32 v6, v28, v1
	v_and_b32_e32 v7, 0x7f800000, v6
	v_mov_b32_e32 v8, v33
	v_cmp_ne_u64_e32 vcc, s[76:77], v[7:8]
	v_and_b32_e32 v0, 0x7fffff, v6
	v_mov_b32_e32 v1, v33
                                        ; implicit-def: $vgpr37
	s_and_saveexec_b64 s[40:41], vcc
	s_xor_b64 s[42:43], exec, s[40:41]
	s_cbranch_execz .LBB6_17603
; %bb.17590:                            ;   in Loop: Header=BB6_17293 Depth=3
	v_and_b32_e32 v7, 0x7fffffff, v6
	v_mov_b32_e32 v8, v33
	v_cmp_gt_u64_e32 vcc, s[78:79], v[7:8]
	v_and_b32_sdwa v8, v6, s97 dst_sel:DWORD dst_unused:UNUSED_PAD src0_sel:BYTE_3 src1_sel:DWORD
                                        ; implicit-def: $vgpr37
	s_and_saveexec_b64 s[40:41], vcc
	s_xor_b64 s[38:39], exec, s[40:41]
	s_cbranch_execz .LBB6_17600
; %bb.17591:                            ;   in Loop: Header=BB6_17293 Depth=3
	v_mov_b32_e32 v37, 0
	v_cmp_ne_u32_e32 vcc, 0, v6
	s_and_saveexec_b64 s[48:49], vcc
	s_cbranch_execz .LBB6_17599
; %bb.17592:                            ;   in Loop: Header=BB6_17293 Depth=3
	v_bfe_u32 v9, v6, 23, 8
	v_cmp_gt_u32_e64 s[40:41], s47, v9
	v_sub_u32_e32 v6, 0x71, v9
	v_cmp_eq_u32_e32 vcc, 0, v9
	v_cndmask_b32_e64 v6, 0, v6, s[40:41]
	v_mov_b32_e32 v12, 0x70
	v_cndmask_b32_e32 v12, v6, v12, vcc
	v_or_b32_e32 v7, 0x800000, v0
	v_add_u32_e32 v6, 21, v12
	v_cndmask_b32_e32 v0, v7, v0, vcc
	v_lshlrev_b64 v[6:7], v6, -1
	v_add_u32_e32 v13, 20, v12
	v_bfi_b32 v6, v6, 0, v0
	v_lshlrev_b64 v[36:37], v13, 1
	v_lshrrev_b64 v[0:1], v12, v[0:1]
	v_bfi_b32 v7, v7, 0, 0
	v_cmp_eq_u64_e64 s[40:41], v[6:7], v[36:37]
	v_mov_b32_e32 v7, v1
	v_mov_b32_e32 v6, v0
	s_and_saveexec_b64 s[50:51], s[40:41]
; %bb.17593:                            ;   in Loop: Header=BB6_17293 Depth=3
	v_bfe_u32 v1, v0, 21, 1
	v_add_co_u32_e64 v1, s[40:41], v0, v1
	v_add_co_u32_e64 v6, s[40:41], -1, v1
; %bb.17594:                            ;   in Loop: Header=BB6_17293 Depth=3
	s_or_b64 exec, exec, s[50:51]
	v_add_u32_e32 v1, 0xffffff81, v9
	v_mov_b32_e32 v7, 0xffffff82
	v_cndmask_b32_e32 v1, v1, v7, vcc
	v_lshrrev_b32_e32 v7, 23, v0
	v_add3_u32 v9, v12, v1, v7
	v_add_u32_e32 v7, 14, v9
	v_and_b32_e32 v1, 0x1fffff, v6
	v_add_u32_e32 v0, v1, v0
	v_mov_b32_e32 v1, v33
	v_cmp_ne_u32_e32 vcc, 0, v7
                                        ; implicit-def: $vgpr6
	s_and_saveexec_b64 s[40:41], vcc
	s_xor_b64 s[40:41], exec, s[40:41]
; %bb.17595:                            ;   in Loop: Header=BB6_17293 Depth=3
	v_cmp_lt_u64_e32 vcc, s[88:89], v[0:1]
	v_add_u32_e32 v6, 15, v9
	v_cndmask_b32_e32 v6, v7, v6, vcc
	v_cndmask_b32_e64 v7, 0, 1, vcc
	v_lshrrev_b64 v[0:1], v7, v[0:1]
; %bb.17596:                            ;   in Loop: Header=BB6_17293 Depth=3
	s_andn2_saveexec_b64 s[40:41], s[40:41]
; %bb.17597:                            ;   in Loop: Header=BB6_17293 Depth=3
	v_bfe_u32 v6, v0, 23, 1
; %bb.17598:                            ;   in Loop: Header=BB6_17293 Depth=3
	s_or_b64 exec, exec, s[40:41]
	v_lshrrev_b64 v[0:1], 21, v[0:1]
	v_cmp_gt_i32_e32 vcc, 32, v6
	v_cndmask_b32_e32 v1, 0, v1, vcc
	v_cndmask_b32_e32 v0, 3, v0, vcc
	v_cmp_eq_u64_e64 s[40:41], 0, v[0:1]
	v_min_i32_e32 v1, 31, v6
	v_lshlrev_b32_e32 v1, 2, v1
	v_cmp_eq_u32_e32 vcc, 0, v6
	v_and_b32_e32 v1, 0xfc, v1
	v_and_or_b32 v0, v0, 3, v1
	s_and_b64 s[40:41], vcc, s[40:41]
	v_cndmask_b32_e64 v0, v0, 0, s[40:41]
	v_or_b32_e32 v37, v0, v8
.LBB6_17599:                            ;   in Loop: Header=BB6_17293 Depth=3
	s_or_b64 exec, exec, s[48:49]
                                        ; implicit-def: $vgpr8
.LBB6_17600:                            ;   in Loop: Header=BB6_17293 Depth=3
	s_andn2_saveexec_b64 s[40:41], s[38:39]
; %bb.17601:                            ;   in Loop: Header=BB6_17293 Depth=3
	v_or_b32_e32 v37, 0x7b, v8
; %bb.17602:                            ;   in Loop: Header=BB6_17293 Depth=3
	s_or_b64 exec, exec, s[40:41]
                                        ; implicit-def: $vgpr6
                                        ; implicit-def: $vgpr0_vgpr1
.LBB6_17603:                            ;   in Loop: Header=BB6_17293 Depth=3
	s_andn2_saveexec_b64 s[40:41], s[42:43]
	s_cbranch_execz .LBB6_17609
; %bb.17604:                            ;   in Loop: Header=BB6_17293 Depth=3
	v_cmp_ne_u64_e32 vcc, 0, v[0:1]
                                        ; implicit-def: $vgpr37
	s_and_saveexec_b64 s[42:43], vcc
	s_xor_b64 s[42:43], exec, s[42:43]
; %bb.17605:                            ;   in Loop: Header=BB6_17293 Depth=3
	v_or_b32_sdwa v37, v6, s44 dst_sel:DWORD dst_unused:UNUSED_PAD src0_sel:BYTE_3 src1_sel:DWORD
                                        ; implicit-def: $vgpr6
; %bb.17606:                            ;   in Loop: Header=BB6_17293 Depth=3
	s_andn2_saveexec_b64 s[42:43], s[42:43]
; %bb.17607:                            ;   in Loop: Header=BB6_17293 Depth=3
	v_cmp_lt_i32_e32 vcc, -1, v6
	v_bfrev_b32_e32 v0, 0.5
	v_mov_b32_e32 v1, 0x7c
	v_cndmask_b32_e32 v37, v0, v1, vcc
; %bb.17608:                            ;   in Loop: Header=BB6_17293 Depth=3
	s_or_b64 exec, exec, s[42:43]
.LBB6_17609:                            ;   in Loop: Header=BB6_17293 Depth=3
	s_or_b64 exec, exec, s[40:41]
	v_cmp_lt_u32_e32 vcc, s57, v10
	v_mov_b32_e32 v1, 0
	s_and_saveexec_b64 s[40:41], vcc
	s_cbranch_execz .LBB6_17617
; %bb.17610:                            ;   in Loop: Header=BB6_17293 Depth=3
	v_lshrrev_b32_e32 v0, 24, v10
	v_cmp_ne_u32_e32 vcc, s97, v0
	v_bfrev_b32_e32 v1, 1
	s_and_saveexec_b64 s[42:43], vcc
	s_cbranch_execz .LBB6_17616
; %bb.17611:                            ;   in Loop: Header=BB6_17293 Depth=3
	v_and_b32_e32 v1, 0x7c000000, v10
	v_bfe_u32 v6, v10, 24, 2
	v_cmp_ne_u32_e32 vcc, s68, v1
                                        ; implicit-def: $vgpr1
	s_and_saveexec_b64 s[62:63], vcc
	s_xor_b64 s[38:39], exec, s[62:63]
	s_cbranch_execz .LBB6_17613
; %bb.17612:                            ;   in Loop: Header=BB6_17293 Depth=3
	v_ffbh_u32_e32 v1, v6
	v_min_u32_e32 v8, 32, v1
	v_subrev_u32_e32 v1, 29, v8
	v_lshlrev_b64 v[0:1], v1, v[0:1]
	v_bfe_u32 v7, v10, 26, 5
	v_sub_u32_e32 v1, 30, v8
	v_and_b32_e32 v0, 3, v0
	v_cmp_eq_u32_e32 vcc, 0, v7
	v_cndmask_b32_e32 v1, v7, v1, vcc
	v_cndmask_b32_e32 v0, v6, v0, vcc
	v_and_b32_e32 v6, 0x80000000, v10
	v_lshl_add_u32 v1, v1, 23, v6
	v_lshl_or_b32 v0, v0, 21, v1
	v_add_u32_e32 v1, 0x38000000, v0
                                        ; implicit-def: $vgpr6
.LBB6_17613:                            ;   in Loop: Header=BB6_17293 Depth=3
	s_andn2_saveexec_b64 s[38:39], s[38:39]
; %bb.17614:                            ;   in Loop: Header=BB6_17293 Depth=3
	v_cmp_lt_i32_e32 vcc, -1, v10
	v_mov_b32_e32 v0, 0xff800000
	v_mov_b32_e32 v1, 0x7f800000
	v_cndmask_b32_e32 v0, v0, v1, vcc
	v_cmp_eq_u32_e32 vcc, 0, v6
	v_mov_b32_e32 v1, 0x7f800001
	v_cndmask_b32_e32 v1, v1, v0, vcc
; %bb.17615:                            ;   in Loop: Header=BB6_17293 Depth=3
	s_or_b64 exec, exec, s[38:39]
.LBB6_17616:                            ;   in Loop: Header=BB6_17293 Depth=3
	s_or_b64 exec, exec, s[42:43]
.LBB6_17617:                            ;   in Loop: Header=BB6_17293 Depth=3
	s_or_b64 exec, exec, s[40:41]
	v_mul_f32_e32 v6, v28, v1
	v_and_b32_e32 v7, 0x7f800000, v6
	v_mov_b32_e32 v8, v33
	v_cmp_ne_u64_e32 vcc, s[76:77], v[7:8]
	v_and_b32_e32 v0, 0x7fffff, v6
	v_mov_b32_e32 v1, v33
                                        ; implicit-def: $vgpr39
	s_and_saveexec_b64 s[40:41], vcc
	s_xor_b64 s[42:43], exec, s[40:41]
	s_cbranch_execz .LBB6_17631
; %bb.17618:                            ;   in Loop: Header=BB6_17293 Depth=3
	v_and_b32_e32 v7, 0x7fffffff, v6
	v_mov_b32_e32 v8, v33
	v_cmp_gt_u64_e32 vcc, s[78:79], v[7:8]
	v_and_b32_sdwa v8, v6, s97 dst_sel:DWORD dst_unused:UNUSED_PAD src0_sel:BYTE_3 src1_sel:DWORD
                                        ; implicit-def: $vgpr39
	s_and_saveexec_b64 s[40:41], vcc
	s_xor_b64 s[38:39], exec, s[40:41]
	s_cbranch_execz .LBB6_17628
; %bb.17619:                            ;   in Loop: Header=BB6_17293 Depth=3
	v_mov_b32_e32 v39, 0
	v_cmp_ne_u32_e32 vcc, 0, v6
	s_and_saveexec_b64 s[48:49], vcc
	s_cbranch_execz .LBB6_17627
; %bb.17620:                            ;   in Loop: Header=BB6_17293 Depth=3
	v_bfe_u32 v9, v6, 23, 8
	v_cmp_gt_u32_e64 s[40:41], s47, v9
	v_sub_u32_e32 v6, 0x71, v9
	v_cmp_eq_u32_e32 vcc, 0, v9
	v_cndmask_b32_e64 v6, 0, v6, s[40:41]
	v_mov_b32_e32 v12, 0x70
	v_cndmask_b32_e32 v12, v6, v12, vcc
	v_or_b32_e32 v7, 0x800000, v0
	v_add_u32_e32 v6, 21, v12
	v_cndmask_b32_e32 v0, v7, v0, vcc
	v_lshlrev_b64 v[6:7], v6, -1
	v_add_u32_e32 v13, 20, v12
	v_bfi_b32 v6, v6, 0, v0
	v_lshlrev_b64 v[51:52], v13, 1
	v_lshrrev_b64 v[0:1], v12, v[0:1]
	v_bfi_b32 v7, v7, 0, 0
	v_cmp_eq_u64_e64 s[40:41], v[6:7], v[51:52]
	v_mov_b32_e32 v7, v1
	v_mov_b32_e32 v6, v0
	s_and_saveexec_b64 s[50:51], s[40:41]
; %bb.17621:                            ;   in Loop: Header=BB6_17293 Depth=3
	v_bfe_u32 v1, v0, 21, 1
	v_add_co_u32_e64 v1, s[40:41], v0, v1
	v_add_co_u32_e64 v6, s[40:41], -1, v1
; %bb.17622:                            ;   in Loop: Header=BB6_17293 Depth=3
	s_or_b64 exec, exec, s[50:51]
	v_add_u32_e32 v1, 0xffffff81, v9
	v_mov_b32_e32 v7, 0xffffff82
	v_cndmask_b32_e32 v1, v1, v7, vcc
	v_lshrrev_b32_e32 v7, 23, v0
	v_add3_u32 v9, v12, v1, v7
	v_add_u32_e32 v7, 14, v9
	v_and_b32_e32 v1, 0x1fffff, v6
	v_add_u32_e32 v0, v1, v0
	v_mov_b32_e32 v1, v33
	v_cmp_ne_u32_e32 vcc, 0, v7
                                        ; implicit-def: $vgpr6
	s_and_saveexec_b64 s[40:41], vcc
	s_xor_b64 s[40:41], exec, s[40:41]
; %bb.17623:                            ;   in Loop: Header=BB6_17293 Depth=3
	v_cmp_lt_u64_e32 vcc, s[88:89], v[0:1]
	v_add_u32_e32 v6, 15, v9
	v_cndmask_b32_e32 v6, v7, v6, vcc
	v_cndmask_b32_e64 v7, 0, 1, vcc
	v_lshrrev_b64 v[0:1], v7, v[0:1]
; %bb.17624:                            ;   in Loop: Header=BB6_17293 Depth=3
	s_andn2_saveexec_b64 s[40:41], s[40:41]
; %bb.17625:                            ;   in Loop: Header=BB6_17293 Depth=3
	v_bfe_u32 v6, v0, 23, 1
; %bb.17626:                            ;   in Loop: Header=BB6_17293 Depth=3
	s_or_b64 exec, exec, s[40:41]
	v_lshrrev_b64 v[0:1], 21, v[0:1]
	v_cmp_gt_i32_e32 vcc, 32, v6
	v_cndmask_b32_e32 v1, 0, v1, vcc
	v_cndmask_b32_e32 v0, 3, v0, vcc
	v_cmp_eq_u64_e64 s[40:41], 0, v[0:1]
	v_min_i32_e32 v1, 31, v6
	v_lshlrev_b32_e32 v1, 2, v1
	v_cmp_eq_u32_e32 vcc, 0, v6
	v_and_b32_e32 v1, 0xfc, v1
	v_and_or_b32 v0, v0, 3, v1
	s_and_b64 s[40:41], vcc, s[40:41]
	v_cndmask_b32_e64 v0, v0, 0, s[40:41]
	v_or_b32_e32 v39, v0, v8
.LBB6_17627:                            ;   in Loop: Header=BB6_17293 Depth=3
	s_or_b64 exec, exec, s[48:49]
                                        ; implicit-def: $vgpr8
.LBB6_17628:                            ;   in Loop: Header=BB6_17293 Depth=3
	s_andn2_saveexec_b64 s[40:41], s[38:39]
; %bb.17629:                            ;   in Loop: Header=BB6_17293 Depth=3
	v_or_b32_e32 v39, 0x7b, v8
; %bb.17630:                            ;   in Loop: Header=BB6_17293 Depth=3
	s_or_b64 exec, exec, s[40:41]
                                        ; implicit-def: $vgpr6
                                        ; implicit-def: $vgpr0_vgpr1
.LBB6_17631:                            ;   in Loop: Header=BB6_17293 Depth=3
	s_andn2_saveexec_b64 s[40:41], s[42:43]
	s_cbranch_execz .LBB6_17637
; %bb.17632:                            ;   in Loop: Header=BB6_17293 Depth=3
	v_cmp_ne_u64_e32 vcc, 0, v[0:1]
                                        ; implicit-def: $vgpr39
	s_and_saveexec_b64 s[42:43], vcc
	s_xor_b64 s[42:43], exec, s[42:43]
; %bb.17633:                            ;   in Loop: Header=BB6_17293 Depth=3
	v_or_b32_sdwa v39, v6, s44 dst_sel:DWORD dst_unused:UNUSED_PAD src0_sel:BYTE_3 src1_sel:DWORD
                                        ; implicit-def: $vgpr6
; %bb.17634:                            ;   in Loop: Header=BB6_17293 Depth=3
	s_andn2_saveexec_b64 s[42:43], s[42:43]
; %bb.17635:                            ;   in Loop: Header=BB6_17293 Depth=3
	v_cmp_lt_i32_e32 vcc, -1, v6
	v_bfrev_b32_e32 v0, 0.5
	v_mov_b32_e32 v1, 0x7c
	v_cndmask_b32_e32 v39, v0, v1, vcc
; %bb.17636:                            ;   in Loop: Header=BB6_17293 Depth=3
	s_or_b64 exec, exec, s[42:43]
.LBB6_17637:                            ;   in Loop: Header=BB6_17293 Depth=3
	s_or_b64 exec, exec, s[40:41]
	v_mov_b32_e32 v0, v11
	v_mov_b32_e32 v1, v33
	v_cmp_ne_u16_sdwa s[42:43], v11, v33 src0_sel:BYTE_0 src1_sel:DWORD
	v_mov_b32_e32 v6, 0
	s_and_saveexec_b64 s[40:41], s[42:43]
	s_cbranch_execz .LBB6_17645
; %bb.17638:                            ;   in Loop: Header=BB6_17293 Depth=3
	v_cmp_ne_u16_sdwa s[62:63], v11, s97 src0_sel:BYTE_0 src1_sel:DWORD
	v_bfrev_b32_e32 v6, 1
	s_and_saveexec_b64 s[42:43], s[62:63]
	s_cbranch_execz .LBB6_17644
; %bb.17639:                            ;   in Loop: Header=BB6_17293 Depth=3
	v_and_b32_e32 v6, 0x7c, v11
	v_and_b32_e32 v7, 3, v11
	v_cmp_ne_u32_e32 vcc, s86, v6
                                        ; implicit-def: $vgpr6
	s_and_saveexec_b64 s[62:63], vcc
	s_xor_b64 s[38:39], exec, s[62:63]
	s_cbranch_execz .LBB6_17641
; %bb.17640:                            ;   in Loop: Header=BB6_17293 Depth=3
	v_ffbh_u32_e32 v8, v7
	v_min_u32_e32 v12, 32, v8
	v_subrev_u32_e32 v8, 29, v12
	v_lshlrev_b64 v[8:9], v8, v[0:1]
	v_bfe_u32 v6, v11, 2, 5
	v_sub_u32_e32 v1, 30, v12
	v_and_b32_e32 v8, 3, v8
	v_cmp_eq_u32_e32 vcc, 0, v6
	v_cndmask_b32_e32 v1, v6, v1, vcc
	v_cndmask_b32_e32 v6, v7, v8, vcc
	v_lshlrev_b32_e32 v7, 24, v11
	v_and_b32_e32 v7, 0x80000000, v7
	v_lshl_add_u32 v1, v1, 23, v7
	v_lshl_or_b32 v1, v6, 21, v1
	v_add_u32_e32 v6, 0x38000000, v1
                                        ; implicit-def: $vgpr7
.LBB6_17641:                            ;   in Loop: Header=BB6_17293 Depth=3
	s_andn2_saveexec_b64 s[38:39], s[38:39]
; %bb.17642:                            ;   in Loop: Header=BB6_17293 Depth=3
	v_mov_b32_e32 v1, -1
	v_cmp_gt_i16_sdwa vcc, sext(v11), v1 src0_sel:BYTE_0 src1_sel:DWORD
	v_mov_b32_e32 v1, 0xff800000
	v_mov_b32_e32 v6, 0x7f800000
	v_cndmask_b32_e32 v1, v1, v6, vcc
	v_cmp_eq_u32_e32 vcc, 0, v7
	v_mov_b32_e32 v6, 0x7f800001
	v_cndmask_b32_e32 v6, v6, v1, vcc
; %bb.17643:                            ;   in Loop: Header=BB6_17293 Depth=3
	s_or_b64 exec, exec, s[38:39]
.LBB6_17644:                            ;   in Loop: Header=BB6_17293 Depth=3
	s_or_b64 exec, exec, s[42:43]
.LBB6_17645:                            ;   in Loop: Header=BB6_17293 Depth=3
	s_or_b64 exec, exec, s[40:41]
	v_mul_f32_e32 v8, v28, v6
	v_and_b32_e32 v12, 0x7f800000, v8
	v_mov_b32_e32 v13, v33
	v_cmp_ne_u64_e32 vcc, s[76:77], v[12:13]
	v_and_b32_e32 v6, 0x7fffff, v8
	v_mov_b32_e32 v7, v33
                                        ; implicit-def: $vgpr27
	s_and_saveexec_b64 s[40:41], vcc
	s_xor_b64 s[42:43], exec, s[40:41]
	s_cbranch_execz .LBB6_17659
; %bb.17646:                            ;   in Loop: Header=BB6_17293 Depth=3
	v_and_b32_e32 v12, 0x7fffffff, v8
	v_mov_b32_e32 v13, v33
	v_cmp_gt_u64_e32 vcc, s[78:79], v[12:13]
	v_and_b32_sdwa v1, v8, s97 dst_sel:DWORD dst_unused:UNUSED_PAD src0_sel:BYTE_3 src1_sel:DWORD
                                        ; implicit-def: $vgpr27
	s_and_saveexec_b64 s[40:41], vcc
	s_xor_b64 s[38:39], exec, s[40:41]
	s_cbranch_execz .LBB6_17656
; %bb.17647:                            ;   in Loop: Header=BB6_17293 Depth=3
	v_mov_b32_e32 v27, 0
	v_cmp_ne_u32_e32 vcc, 0, v8
	s_and_saveexec_b64 s[48:49], vcc
	s_cbranch_execz .LBB6_17655
; %bb.17648:                            ;   in Loop: Header=BB6_17293 Depth=3
	v_bfe_u32 v9, v8, 23, 8
	v_cmp_gt_u32_e64 s[40:41], s47, v9
	v_sub_u32_e32 v8, 0x71, v9
	v_cmp_eq_u32_e32 vcc, 0, v9
	v_cndmask_b32_e64 v8, 0, v8, s[40:41]
	v_mov_b32_e32 v12, 0x70
	v_cndmask_b32_e32 v12, v8, v12, vcc
	v_add_u32_e32 v8, 21, v12
	v_or_b32_e32 v13, 0x800000, v6
	v_lshlrev_b64 v[51:52], v8, -1
	v_cndmask_b32_e32 v6, v13, v6, vcc
	v_add_u32_e32 v8, 20, v12
	v_bfi_b32 v51, v51, 0, v6
	v_lshlrev_b64 v[53:54], v8, 1
	v_lshrrev_b64 v[6:7], v12, v[6:7]
	v_bfi_b32 v52, v52, 0, 0
	v_cmp_eq_u64_e64 s[40:41], v[51:52], v[53:54]
	v_mov_b32_e32 v8, v7
	v_mov_b32_e32 v7, v6
	s_and_saveexec_b64 s[50:51], s[40:41]
; %bb.17649:                            ;   in Loop: Header=BB6_17293 Depth=3
	v_bfe_u32 v7, v6, 21, 1
	v_add_co_u32_e64 v7, s[40:41], v6, v7
	v_add_co_u32_e64 v7, s[40:41], -1, v7
; %bb.17650:                            ;   in Loop: Header=BB6_17293 Depth=3
	s_or_b64 exec, exec, s[50:51]
	v_add_u32_e32 v8, 0xffffff81, v9
	v_mov_b32_e32 v9, 0xffffff82
	v_cndmask_b32_e32 v8, v8, v9, vcc
	v_lshrrev_b32_e32 v9, 23, v6
	v_add3_u32 v12, v12, v8, v9
	v_add_u32_e32 v9, 14, v12
	v_and_b32_e32 v7, 0x1fffff, v7
	v_add_u32_e32 v6, v7, v6
	v_mov_b32_e32 v7, v33
	v_cmp_ne_u32_e32 vcc, 0, v9
                                        ; implicit-def: $vgpr8
	s_and_saveexec_b64 s[40:41], vcc
	s_xor_b64 s[40:41], exec, s[40:41]
; %bb.17651:                            ;   in Loop: Header=BB6_17293 Depth=3
	v_cmp_lt_u64_e32 vcc, s[88:89], v[6:7]
	v_add_u32_e32 v8, 15, v12
	v_cndmask_b32_e32 v8, v9, v8, vcc
	v_cndmask_b32_e64 v9, 0, 1, vcc
	v_lshrrev_b64 v[6:7], v9, v[6:7]
; %bb.17652:                            ;   in Loop: Header=BB6_17293 Depth=3
	s_andn2_saveexec_b64 s[40:41], s[40:41]
; %bb.17653:                            ;   in Loop: Header=BB6_17293 Depth=3
	v_bfe_u32 v8, v6, 23, 1
; %bb.17654:                            ;   in Loop: Header=BB6_17293 Depth=3
	s_or_b64 exec, exec, s[40:41]
	v_lshrrev_b64 v[6:7], 21, v[6:7]
	v_cmp_gt_i32_e32 vcc, 32, v8
	v_cndmask_b32_e32 v7, 0, v7, vcc
	v_cndmask_b32_e32 v6, 3, v6, vcc
	v_cmp_eq_u64_e64 s[40:41], 0, v[6:7]
	v_min_i32_e32 v7, 31, v8
	v_lshlrev_b32_e32 v7, 2, v7
	v_cmp_eq_u32_e32 vcc, 0, v8
	v_and_b32_e32 v7, 0xfc, v7
	v_and_or_b32 v6, v6, 3, v7
	s_and_b64 s[40:41], vcc, s[40:41]
	v_cndmask_b32_e64 v6, v6, 0, s[40:41]
	v_or_b32_e32 v27, v6, v1
.LBB6_17655:                            ;   in Loop: Header=BB6_17293 Depth=3
	s_or_b64 exec, exec, s[48:49]
                                        ; implicit-def: $vgpr1
.LBB6_17656:                            ;   in Loop: Header=BB6_17293 Depth=3
	s_andn2_saveexec_b64 s[40:41], s[38:39]
; %bb.17657:                            ;   in Loop: Header=BB6_17293 Depth=3
	v_or_b32_e32 v27, 0x7b, v1
; %bb.17658:                            ;   in Loop: Header=BB6_17293 Depth=3
	s_or_b64 exec, exec, s[40:41]
                                        ; implicit-def: $vgpr8
                                        ; implicit-def: $vgpr6_vgpr7
.LBB6_17659:                            ;   in Loop: Header=BB6_17293 Depth=3
	s_andn2_saveexec_b64 s[40:41], s[42:43]
	s_cbranch_execz .LBB6_17665
; %bb.17660:                            ;   in Loop: Header=BB6_17293 Depth=3
	v_cmp_ne_u64_e32 vcc, 0, v[6:7]
                                        ; implicit-def: $vgpr27
	s_and_saveexec_b64 s[42:43], vcc
	s_xor_b64 s[42:43], exec, s[42:43]
; %bb.17661:                            ;   in Loop: Header=BB6_17293 Depth=3
	v_or_b32_sdwa v27, v8, s44 dst_sel:DWORD dst_unused:UNUSED_PAD src0_sel:BYTE_3 src1_sel:DWORD
                                        ; implicit-def: $vgpr8
; %bb.17662:                            ;   in Loop: Header=BB6_17293 Depth=3
	s_andn2_saveexec_b64 s[42:43], s[42:43]
; %bb.17663:                            ;   in Loop: Header=BB6_17293 Depth=3
	v_cmp_lt_i32_e32 vcc, -1, v8
	v_bfrev_b32_e32 v1, 0.5
	v_mov_b32_e32 v6, 0x7c
	v_cndmask_b32_e32 v27, v1, v6, vcc
; %bb.17664:                            ;   in Loop: Header=BB6_17293 Depth=3
	s_or_b64 exec, exec, s[42:43]
.LBB6_17665:                            ;   in Loop: Header=BB6_17293 Depth=3
	s_or_b64 exec, exec, s[40:41]
	v_lshrrev_b16_e32 v6, 8, v0
	v_cmp_ne_u16_e32 vcc, 0, v6
	v_mov_b32_e32 v7, 0
	s_and_saveexec_b64 s[40:41], vcc
	s_cbranch_execz .LBB6_17673
; %bb.17666:                            ;   in Loop: Header=BB6_17293 Depth=3
	v_cmp_ne_u16_e32 vcc, s97, v6
	v_bfrev_b32_e32 v7, 1
	s_and_saveexec_b64 s[42:43], vcc
	s_cbranch_execz .LBB6_17672
; %bb.17667:                            ;   in Loop: Header=BB6_17293 Depth=3
	v_and_b32_e32 v1, 0x7c, v6
	v_and_b32_e32 v8, 3, v6
	v_cmp_ne_u32_e32 vcc, s86, v1
                                        ; implicit-def: $vgpr7
	s_and_saveexec_b64 s[62:63], vcc
	s_xor_b64 s[38:39], exec, s[62:63]
	s_cbranch_execz .LBB6_17669
; %bb.17668:                            ;   in Loop: Header=BB6_17293 Depth=3
	v_ffbh_u32_e32 v9, v8
	v_min_u32_e32 v9, 32, v9
	v_mov_b32_e32 v7, v33
	v_subrev_u32_e32 v12, 29, v9
	v_bfe_u32 v1, v6, 2, 5
	v_lshlrev_b64 v[6:7], v12, v[6:7]
	v_sub_u32_e32 v7, 30, v9
	v_cmp_eq_u32_e32 vcc, 0, v1
	v_lshlrev_b32_e32 v0, 16, v0
	v_and_b32_e32 v6, 3, v6
	v_cndmask_b32_e32 v1, v1, v7, vcc
	v_and_b32_e32 v0, 0x80000000, v0
	v_cndmask_b32_e32 v6, v8, v6, vcc
	v_lshl_add_u32 v0, v1, 23, v0
	v_lshl_or_b32 v0, v6, 21, v0
	v_add_u32_e32 v7, 0x38000000, v0
                                        ; implicit-def: $vgpr8
                                        ; implicit-def: $vgpr0_vgpr1
.LBB6_17669:                            ;   in Loop: Header=BB6_17293 Depth=3
	s_andn2_saveexec_b64 s[38:39], s[38:39]
; %bb.17670:                            ;   in Loop: Header=BB6_17293 Depth=3
	v_cmp_lt_i16_e32 vcc, -1, v0
	v_mov_b32_e32 v0, 0xff800000
	v_mov_b32_e32 v1, 0x7f800000
	v_cndmask_b32_e32 v0, v0, v1, vcc
	v_cmp_eq_u32_e32 vcc, 0, v8
	v_mov_b32_e32 v1, 0x7f800001
	v_cndmask_b32_e32 v7, v1, v0, vcc
; %bb.17671:                            ;   in Loop: Header=BB6_17293 Depth=3
	s_or_b64 exec, exec, s[38:39]
.LBB6_17672:                            ;   in Loop: Header=BB6_17293 Depth=3
	s_or_b64 exec, exec, s[42:43]
.LBB6_17673:                            ;   in Loop: Header=BB6_17293 Depth=3
	s_or_b64 exec, exec, s[40:41]
	v_mul_f32_e32 v6, v28, v7
	v_and_b32_e32 v7, 0x7f800000, v6
	v_mov_b32_e32 v8, v33
	v_cmp_ne_u64_e32 vcc, s[76:77], v[7:8]
	v_and_b32_e32 v0, 0x7fffff, v6
	v_mov_b32_e32 v1, v33
                                        ; implicit-def: $vgpr30
	s_and_saveexec_b64 s[40:41], vcc
	s_xor_b64 s[42:43], exec, s[40:41]
	s_cbranch_execz .LBB6_17687
; %bb.17674:                            ;   in Loop: Header=BB6_17293 Depth=3
	v_and_b32_e32 v7, 0x7fffffff, v6
	v_mov_b32_e32 v8, v33
	v_cmp_gt_u64_e32 vcc, s[78:79], v[7:8]
	v_and_b32_sdwa v8, v6, s97 dst_sel:DWORD dst_unused:UNUSED_PAD src0_sel:BYTE_3 src1_sel:DWORD
                                        ; implicit-def: $vgpr30
	s_and_saveexec_b64 s[40:41], vcc
	s_xor_b64 s[38:39], exec, s[40:41]
	s_cbranch_execz .LBB6_17684
; %bb.17675:                            ;   in Loop: Header=BB6_17293 Depth=3
	v_mov_b32_e32 v30, 0
	v_cmp_ne_u32_e32 vcc, 0, v6
	s_and_saveexec_b64 s[48:49], vcc
	s_cbranch_execz .LBB6_17683
; %bb.17676:                            ;   in Loop: Header=BB6_17293 Depth=3
	v_bfe_u32 v9, v6, 23, 8
	v_cmp_gt_u32_e64 s[40:41], s47, v9
	v_sub_u32_e32 v6, 0x71, v9
	v_cmp_eq_u32_e32 vcc, 0, v9
	v_cndmask_b32_e64 v6, 0, v6, s[40:41]
	v_mov_b32_e32 v12, 0x70
	v_cndmask_b32_e32 v12, v6, v12, vcc
	v_or_b32_e32 v7, 0x800000, v0
	v_add_u32_e32 v6, 21, v12
	v_cndmask_b32_e32 v0, v7, v0, vcc
	v_lshlrev_b64 v[6:7], v6, -1
	v_add_u32_e32 v13, 20, v12
	v_bfi_b32 v6, v6, 0, v0
	v_lshlrev_b64 v[51:52], v13, 1
	v_lshrrev_b64 v[0:1], v12, v[0:1]
	v_bfi_b32 v7, v7, 0, 0
	v_cmp_eq_u64_e64 s[40:41], v[6:7], v[51:52]
	v_mov_b32_e32 v7, v1
	v_mov_b32_e32 v6, v0
	s_and_saveexec_b64 s[50:51], s[40:41]
; %bb.17677:                            ;   in Loop: Header=BB6_17293 Depth=3
	v_bfe_u32 v1, v0, 21, 1
	v_add_co_u32_e64 v1, s[40:41], v0, v1
	v_add_co_u32_e64 v6, s[40:41], -1, v1
; %bb.17678:                            ;   in Loop: Header=BB6_17293 Depth=3
	s_or_b64 exec, exec, s[50:51]
	v_add_u32_e32 v1, 0xffffff81, v9
	v_mov_b32_e32 v7, 0xffffff82
	v_cndmask_b32_e32 v1, v1, v7, vcc
	v_lshrrev_b32_e32 v7, 23, v0
	v_add3_u32 v9, v12, v1, v7
	v_add_u32_e32 v7, 14, v9
	v_and_b32_e32 v1, 0x1fffff, v6
	v_add_u32_e32 v0, v1, v0
	v_mov_b32_e32 v1, v33
	v_cmp_ne_u32_e32 vcc, 0, v7
                                        ; implicit-def: $vgpr6
	s_and_saveexec_b64 s[40:41], vcc
	s_xor_b64 s[40:41], exec, s[40:41]
; %bb.17679:                            ;   in Loop: Header=BB6_17293 Depth=3
	v_cmp_lt_u64_e32 vcc, s[88:89], v[0:1]
	v_add_u32_e32 v6, 15, v9
	v_cndmask_b32_e32 v6, v7, v6, vcc
	v_cndmask_b32_e64 v7, 0, 1, vcc
	v_lshrrev_b64 v[0:1], v7, v[0:1]
; %bb.17680:                            ;   in Loop: Header=BB6_17293 Depth=3
	s_andn2_saveexec_b64 s[40:41], s[40:41]
; %bb.17681:                            ;   in Loop: Header=BB6_17293 Depth=3
	v_bfe_u32 v6, v0, 23, 1
; %bb.17682:                            ;   in Loop: Header=BB6_17293 Depth=3
	s_or_b64 exec, exec, s[40:41]
	v_lshrrev_b64 v[0:1], 21, v[0:1]
	v_cmp_gt_i32_e32 vcc, 32, v6
	v_cndmask_b32_e32 v1, 0, v1, vcc
	v_cndmask_b32_e32 v0, 3, v0, vcc
	v_cmp_eq_u64_e64 s[40:41], 0, v[0:1]
	v_min_i32_e32 v1, 31, v6
	v_lshlrev_b32_e32 v1, 2, v1
	v_cmp_eq_u32_e32 vcc, 0, v6
	v_and_b32_e32 v1, 0xfc, v1
	v_and_or_b32 v0, v0, 3, v1
	s_and_b64 s[40:41], vcc, s[40:41]
	v_cndmask_b32_e64 v0, v0, 0, s[40:41]
	v_or_b32_e32 v30, v0, v8
.LBB6_17683:                            ;   in Loop: Header=BB6_17293 Depth=3
	s_or_b64 exec, exec, s[48:49]
                                        ; implicit-def: $vgpr8
.LBB6_17684:                            ;   in Loop: Header=BB6_17293 Depth=3
	s_andn2_saveexec_b64 s[40:41], s[38:39]
; %bb.17685:                            ;   in Loop: Header=BB6_17293 Depth=3
	v_or_b32_e32 v30, 0x7b, v8
; %bb.17686:                            ;   in Loop: Header=BB6_17293 Depth=3
	s_or_b64 exec, exec, s[40:41]
                                        ; implicit-def: $vgpr6
                                        ; implicit-def: $vgpr0_vgpr1
.LBB6_17687:                            ;   in Loop: Header=BB6_17293 Depth=3
	s_andn2_saveexec_b64 s[40:41], s[42:43]
	s_cbranch_execz .LBB6_17693
; %bb.17688:                            ;   in Loop: Header=BB6_17293 Depth=3
	v_cmp_ne_u64_e32 vcc, 0, v[0:1]
                                        ; implicit-def: $vgpr30
	s_and_saveexec_b64 s[42:43], vcc
	s_xor_b64 s[42:43], exec, s[42:43]
; %bb.17689:                            ;   in Loop: Header=BB6_17293 Depth=3
	v_or_b32_sdwa v30, v6, s44 dst_sel:DWORD dst_unused:UNUSED_PAD src0_sel:BYTE_3 src1_sel:DWORD
                                        ; implicit-def: $vgpr6
; %bb.17690:                            ;   in Loop: Header=BB6_17293 Depth=3
	s_andn2_saveexec_b64 s[42:43], s[42:43]
; %bb.17691:                            ;   in Loop: Header=BB6_17293 Depth=3
	v_cmp_lt_i32_e32 vcc, -1, v6
	v_bfrev_b32_e32 v0, 0.5
	v_mov_b32_e32 v1, 0x7c
	v_cndmask_b32_e32 v30, v0, v1, vcc
; %bb.17692:                            ;   in Loop: Header=BB6_17293 Depth=3
	s_or_b64 exec, exec, s[42:43]
.LBB6_17693:                            ;   in Loop: Header=BB6_17293 Depth=3
	s_or_b64 exec, exec, s[40:41]
	v_lshrrev_b32_e32 v0, 16, v11
	v_cmp_ne_u16_sdwa s[42:43], v0, v33 src0_sel:BYTE_0 src1_sel:DWORD
	v_mov_b32_e32 v1, 0
	s_and_saveexec_b64 s[40:41], s[42:43]
	s_cbranch_execz .LBB6_17701
; %bb.17694:                            ;   in Loop: Header=BB6_17293 Depth=3
	v_cmp_ne_u16_sdwa s[62:63], v0, s97 src0_sel:BYTE_0 src1_sel:DWORD
	v_bfrev_b32_e32 v1, 1
	s_and_saveexec_b64 s[42:43], s[62:63]
	s_cbranch_execz .LBB6_17700
; %bb.17695:                            ;   in Loop: Header=BB6_17293 Depth=3
	v_and_b32_e32 v1, 0x7c0000, v11
	v_bfe_u32 v6, v11, 16, 2
	v_cmp_ne_u32_e32 vcc, s45, v1
                                        ; implicit-def: $vgpr1
	s_and_saveexec_b64 s[62:63], vcc
	s_xor_b64 s[38:39], exec, s[62:63]
	s_cbranch_execz .LBB6_17697
; %bb.17696:                            ;   in Loop: Header=BB6_17293 Depth=3
	v_ffbh_u32_e32 v1, v6
	v_min_u32_e32 v8, 32, v1
	v_subrev_u32_e32 v1, 29, v8
	v_lshlrev_b64 v[0:1], v1, v[0:1]
	v_bfe_u32 v7, v11, 18, 5
	v_and_b32_e32 v0, 3, v0
	v_cmp_eq_u32_e32 vcc, 0, v7
	v_sub_u32_e32 v1, 30, v8
	v_cndmask_b32_e32 v0, v6, v0, vcc
	v_lshlrev_b32_e32 v6, 8, v11
	v_cndmask_b32_e32 v1, v7, v1, vcc
	v_and_b32_e32 v6, 0x80000000, v6
	v_lshl_add_u32 v1, v1, 23, v6
	v_lshl_or_b32 v0, v0, 21, v1
	v_add_u32_e32 v1, 0x38000000, v0
                                        ; implicit-def: $vgpr6
                                        ; implicit-def: $vgpr0
.LBB6_17697:                            ;   in Loop: Header=BB6_17293 Depth=3
	s_andn2_saveexec_b64 s[38:39], s[38:39]
; %bb.17698:                            ;   in Loop: Header=BB6_17293 Depth=3
	v_mov_b32_e32 v1, -1
	v_cmp_gt_i16_sdwa vcc, sext(v0), v1 src0_sel:BYTE_0 src1_sel:DWORD
	v_mov_b32_e32 v0, 0xff800000
	v_mov_b32_e32 v1, 0x7f800000
	v_cndmask_b32_e32 v0, v0, v1, vcc
	v_cmp_eq_u32_e32 vcc, 0, v6
	v_mov_b32_e32 v1, 0x7f800001
	v_cndmask_b32_e32 v1, v1, v0, vcc
; %bb.17699:                            ;   in Loop: Header=BB6_17293 Depth=3
	s_or_b64 exec, exec, s[38:39]
.LBB6_17700:                            ;   in Loop: Header=BB6_17293 Depth=3
	s_or_b64 exec, exec, s[42:43]
.LBB6_17701:                            ;   in Loop: Header=BB6_17293 Depth=3
	s_or_b64 exec, exec, s[40:41]
	v_mul_f32_e32 v6, v28, v1
	v_and_b32_e32 v7, 0x7f800000, v6
	v_mov_b32_e32 v8, v33
	v_cmp_ne_u64_e32 vcc, s[76:77], v[7:8]
	v_and_b32_e32 v0, 0x7fffff, v6
	v_mov_b32_e32 v1, v33
                                        ; implicit-def: $vgpr32
	s_and_saveexec_b64 s[40:41], vcc
	s_xor_b64 s[42:43], exec, s[40:41]
	s_cbranch_execz .LBB6_17715
; %bb.17702:                            ;   in Loop: Header=BB6_17293 Depth=3
	v_and_b32_e32 v7, 0x7fffffff, v6
	v_mov_b32_e32 v8, v33
	v_cmp_gt_u64_e32 vcc, s[78:79], v[7:8]
	v_and_b32_sdwa v8, v6, s97 dst_sel:DWORD dst_unused:UNUSED_PAD src0_sel:BYTE_3 src1_sel:DWORD
                                        ; implicit-def: $vgpr32
	s_and_saveexec_b64 s[40:41], vcc
	s_xor_b64 s[38:39], exec, s[40:41]
	s_cbranch_execz .LBB6_17712
; %bb.17703:                            ;   in Loop: Header=BB6_17293 Depth=3
	v_mov_b32_e32 v32, 0
	v_cmp_ne_u32_e32 vcc, 0, v6
	s_and_saveexec_b64 s[48:49], vcc
	s_cbranch_execz .LBB6_17711
; %bb.17704:                            ;   in Loop: Header=BB6_17293 Depth=3
	v_bfe_u32 v9, v6, 23, 8
	v_cmp_gt_u32_e64 s[40:41], s47, v9
	v_sub_u32_e32 v6, 0x71, v9
	v_cmp_eq_u32_e32 vcc, 0, v9
	v_cndmask_b32_e64 v6, 0, v6, s[40:41]
	v_mov_b32_e32 v12, 0x70
	v_cndmask_b32_e32 v12, v6, v12, vcc
	v_or_b32_e32 v7, 0x800000, v0
	v_add_u32_e32 v6, 21, v12
	v_cndmask_b32_e32 v0, v7, v0, vcc
	v_lshlrev_b64 v[6:7], v6, -1
	v_add_u32_e32 v13, 20, v12
	v_bfi_b32 v6, v6, 0, v0
	v_lshlrev_b64 v[51:52], v13, 1
	v_lshrrev_b64 v[0:1], v12, v[0:1]
	v_bfi_b32 v7, v7, 0, 0
	v_cmp_eq_u64_e64 s[40:41], v[6:7], v[51:52]
	v_mov_b32_e32 v7, v1
	v_mov_b32_e32 v6, v0
	s_and_saveexec_b64 s[50:51], s[40:41]
; %bb.17705:                            ;   in Loop: Header=BB6_17293 Depth=3
	v_bfe_u32 v1, v0, 21, 1
	v_add_co_u32_e64 v1, s[40:41], v0, v1
	v_add_co_u32_e64 v6, s[40:41], -1, v1
; %bb.17706:                            ;   in Loop: Header=BB6_17293 Depth=3
	s_or_b64 exec, exec, s[50:51]
	v_add_u32_e32 v1, 0xffffff81, v9
	v_mov_b32_e32 v7, 0xffffff82
	v_cndmask_b32_e32 v1, v1, v7, vcc
	v_lshrrev_b32_e32 v7, 23, v0
	v_add3_u32 v9, v12, v1, v7
	v_add_u32_e32 v7, 14, v9
	v_and_b32_e32 v1, 0x1fffff, v6
	v_add_u32_e32 v0, v1, v0
	v_mov_b32_e32 v1, v33
	v_cmp_ne_u32_e32 vcc, 0, v7
                                        ; implicit-def: $vgpr6
	s_and_saveexec_b64 s[40:41], vcc
	s_xor_b64 s[40:41], exec, s[40:41]
; %bb.17707:                            ;   in Loop: Header=BB6_17293 Depth=3
	v_cmp_lt_u64_e32 vcc, s[88:89], v[0:1]
	v_add_u32_e32 v6, 15, v9
	v_cndmask_b32_e32 v6, v7, v6, vcc
	v_cndmask_b32_e64 v7, 0, 1, vcc
	v_lshrrev_b64 v[0:1], v7, v[0:1]
; %bb.17708:                            ;   in Loop: Header=BB6_17293 Depth=3
	s_andn2_saveexec_b64 s[40:41], s[40:41]
; %bb.17709:                            ;   in Loop: Header=BB6_17293 Depth=3
	v_bfe_u32 v6, v0, 23, 1
; %bb.17710:                            ;   in Loop: Header=BB6_17293 Depth=3
	s_or_b64 exec, exec, s[40:41]
	v_lshrrev_b64 v[0:1], 21, v[0:1]
	v_cmp_gt_i32_e32 vcc, 32, v6
	v_cndmask_b32_e32 v1, 0, v1, vcc
	v_cndmask_b32_e32 v0, 3, v0, vcc
	v_cmp_eq_u64_e64 s[40:41], 0, v[0:1]
	v_min_i32_e32 v1, 31, v6
	v_lshlrev_b32_e32 v1, 2, v1
	v_cmp_eq_u32_e32 vcc, 0, v6
	v_and_b32_e32 v1, 0xfc, v1
	v_and_or_b32 v0, v0, 3, v1
	s_and_b64 s[40:41], vcc, s[40:41]
	v_cndmask_b32_e64 v0, v0, 0, s[40:41]
	v_or_b32_e32 v32, v0, v8
.LBB6_17711:                            ;   in Loop: Header=BB6_17293 Depth=3
	s_or_b64 exec, exec, s[48:49]
                                        ; implicit-def: $vgpr8
.LBB6_17712:                            ;   in Loop: Header=BB6_17293 Depth=3
	s_andn2_saveexec_b64 s[40:41], s[38:39]
; %bb.17713:                            ;   in Loop: Header=BB6_17293 Depth=3
	v_or_b32_e32 v32, 0x7b, v8
; %bb.17714:                            ;   in Loop: Header=BB6_17293 Depth=3
	s_or_b64 exec, exec, s[40:41]
                                        ; implicit-def: $vgpr6
                                        ; implicit-def: $vgpr0_vgpr1
.LBB6_17715:                            ;   in Loop: Header=BB6_17293 Depth=3
	s_andn2_saveexec_b64 s[40:41], s[42:43]
	s_cbranch_execz .LBB6_17721
; %bb.17716:                            ;   in Loop: Header=BB6_17293 Depth=3
	v_cmp_ne_u64_e32 vcc, 0, v[0:1]
                                        ; implicit-def: $vgpr32
	s_and_saveexec_b64 s[42:43], vcc
	s_xor_b64 s[42:43], exec, s[42:43]
; %bb.17717:                            ;   in Loop: Header=BB6_17293 Depth=3
	v_or_b32_sdwa v32, v6, s44 dst_sel:DWORD dst_unused:UNUSED_PAD src0_sel:BYTE_3 src1_sel:DWORD
                                        ; implicit-def: $vgpr6
; %bb.17718:                            ;   in Loop: Header=BB6_17293 Depth=3
	s_andn2_saveexec_b64 s[42:43], s[42:43]
; %bb.17719:                            ;   in Loop: Header=BB6_17293 Depth=3
	v_cmp_lt_i32_e32 vcc, -1, v6
	v_bfrev_b32_e32 v0, 0.5
	v_mov_b32_e32 v1, 0x7c
	v_cndmask_b32_e32 v32, v0, v1, vcc
; %bb.17720:                            ;   in Loop: Header=BB6_17293 Depth=3
	s_or_b64 exec, exec, s[42:43]
.LBB6_17721:                            ;   in Loop: Header=BB6_17293 Depth=3
	s_or_b64 exec, exec, s[40:41]
	v_cmp_lt_u64_e32 vcc, s[56:57], v[10:11]
	v_mov_b32_e32 v1, 0
	s_and_saveexec_b64 s[40:41], vcc
	s_cbranch_execz .LBB6_17729
; %bb.17722:                            ;   in Loop: Header=BB6_17293 Depth=3
	v_lshrrev_b32_e32 v0, 24, v11
	v_cmp_ne_u32_e32 vcc, s97, v0
	v_bfrev_b32_e32 v1, 1
	s_and_saveexec_b64 s[42:43], vcc
	s_cbranch_execz .LBB6_17728
; %bb.17723:                            ;   in Loop: Header=BB6_17293 Depth=3
	v_and_b32_e32 v1, 0x7c000000, v11
	v_bfe_u32 v6, v11, 24, 2
	v_cmp_ne_u32_e32 vcc, s68, v1
                                        ; implicit-def: $vgpr1
	s_and_saveexec_b64 s[62:63], vcc
	s_xor_b64 s[38:39], exec, s[62:63]
	s_cbranch_execz .LBB6_17725
; %bb.17724:                            ;   in Loop: Header=BB6_17293 Depth=3
	v_ffbh_u32_e32 v1, v6
	v_min_u32_e32 v8, 32, v1
	v_subrev_u32_e32 v1, 29, v8
	v_lshlrev_b64 v[0:1], v1, v[0:1]
	v_bfe_u32 v7, v11, 26, 5
	v_sub_u32_e32 v1, 30, v8
	v_and_b32_e32 v0, 3, v0
	v_cmp_eq_u32_e32 vcc, 0, v7
	v_cndmask_b32_e32 v1, v7, v1, vcc
	v_cndmask_b32_e32 v0, v6, v0, vcc
	v_and_b32_e32 v6, 0x80000000, v11
	v_lshl_add_u32 v1, v1, 23, v6
	v_lshl_or_b32 v0, v0, 21, v1
	v_add_u32_e32 v1, 0x38000000, v0
                                        ; implicit-def: $vgpr6
                                        ; implicit-def: $vgpr10_vgpr11
.LBB6_17725:                            ;   in Loop: Header=BB6_17293 Depth=3
	s_andn2_saveexec_b64 s[38:39], s[38:39]
; %bb.17726:                            ;   in Loop: Header=BB6_17293 Depth=3
	v_cmp_lt_i64_e32 vcc, -1, v[10:11]
	v_mov_b32_e32 v0, 0xff800000
	v_mov_b32_e32 v1, 0x7f800000
	v_cndmask_b32_e32 v0, v0, v1, vcc
	v_cmp_eq_u32_e32 vcc, 0, v6
	v_mov_b32_e32 v1, 0x7f800001
	v_cndmask_b32_e32 v1, v1, v0, vcc
; %bb.17727:                            ;   in Loop: Header=BB6_17293 Depth=3
	s_or_b64 exec, exec, s[38:39]
.LBB6_17728:                            ;   in Loop: Header=BB6_17293 Depth=3
	s_or_b64 exec, exec, s[42:43]
.LBB6_17729:                            ;   in Loop: Header=BB6_17293 Depth=3
	s_or_b64 exec, exec, s[40:41]
	v_mul_f32_e32 v6, v28, v1
	v_and_b32_e32 v7, 0x7f800000, v6
	v_mov_b32_e32 v8, v33
	v_cmp_ne_u64_e32 vcc, s[76:77], v[7:8]
	v_and_b32_e32 v0, 0x7fffff, v6
	v_mov_b32_e32 v1, v33
                                        ; implicit-def: $vgpr36
	s_and_saveexec_b64 s[40:41], vcc
	s_xor_b64 s[42:43], exec, s[40:41]
	s_cbranch_execz .LBB6_17743
; %bb.17730:                            ;   in Loop: Header=BB6_17293 Depth=3
	v_and_b32_e32 v7, 0x7fffffff, v6
	v_mov_b32_e32 v8, v33
	v_cmp_gt_u64_e32 vcc, s[78:79], v[7:8]
	v_and_b32_sdwa v8, v6, s97 dst_sel:DWORD dst_unused:UNUSED_PAD src0_sel:BYTE_3 src1_sel:DWORD
                                        ; implicit-def: $vgpr36
	s_and_saveexec_b64 s[40:41], vcc
	s_xor_b64 s[38:39], exec, s[40:41]
	s_cbranch_execz .LBB6_17740
; %bb.17731:                            ;   in Loop: Header=BB6_17293 Depth=3
	v_mov_b32_e32 v36, 0
	v_cmp_ne_u32_e32 vcc, 0, v6
	s_and_saveexec_b64 s[48:49], vcc
	s_cbranch_execz .LBB6_17739
; %bb.17732:                            ;   in Loop: Header=BB6_17293 Depth=3
	v_bfe_u32 v9, v6, 23, 8
	v_cmp_gt_u32_e64 s[40:41], s47, v9
	v_sub_u32_e32 v6, 0x71, v9
	v_cmp_eq_u32_e32 vcc, 0, v9
	v_cndmask_b32_e64 v6, 0, v6, s[40:41]
	v_mov_b32_e32 v10, 0x70
	v_cndmask_b32_e32 v10, v6, v10, vcc
	v_or_b32_e32 v7, 0x800000, v0
	v_add_u32_e32 v6, 21, v10
	v_cndmask_b32_e32 v0, v7, v0, vcc
	v_lshlrev_b64 v[6:7], v6, -1
	v_add_u32_e32 v11, 20, v10
	v_bfi_b32 v6, v6, 0, v0
	v_lshlrev_b64 v[11:12], v11, 1
	v_lshrrev_b64 v[0:1], v10, v[0:1]
	v_bfi_b32 v7, v7, 0, 0
	v_cmp_eq_u64_e64 s[40:41], v[6:7], v[11:12]
	v_mov_b32_e32 v7, v1
	v_mov_b32_e32 v6, v0
	s_and_saveexec_b64 s[50:51], s[40:41]
; %bb.17733:                            ;   in Loop: Header=BB6_17293 Depth=3
	v_bfe_u32 v1, v0, 21, 1
	v_add_co_u32_e64 v1, s[40:41], v0, v1
	v_add_co_u32_e64 v6, s[40:41], -1, v1
; %bb.17734:                            ;   in Loop: Header=BB6_17293 Depth=3
	s_or_b64 exec, exec, s[50:51]
	v_add_u32_e32 v1, 0xffffff81, v9
	v_mov_b32_e32 v7, 0xffffff82
	v_cndmask_b32_e32 v1, v1, v7, vcc
	v_lshrrev_b32_e32 v7, 23, v0
	v_add3_u32 v9, v10, v1, v7
	v_add_u32_e32 v7, 14, v9
	v_and_b32_e32 v1, 0x1fffff, v6
	v_add_u32_e32 v0, v1, v0
	v_mov_b32_e32 v1, v33
	v_cmp_ne_u32_e32 vcc, 0, v7
                                        ; implicit-def: $vgpr6
	s_and_saveexec_b64 s[40:41], vcc
	s_xor_b64 s[40:41], exec, s[40:41]
; %bb.17735:                            ;   in Loop: Header=BB6_17293 Depth=3
	v_cmp_lt_u64_e32 vcc, s[88:89], v[0:1]
	v_add_u32_e32 v6, 15, v9
	v_cndmask_b32_e32 v6, v7, v6, vcc
	v_cndmask_b32_e64 v7, 0, 1, vcc
	v_lshrrev_b64 v[0:1], v7, v[0:1]
; %bb.17736:                            ;   in Loop: Header=BB6_17293 Depth=3
	s_andn2_saveexec_b64 s[40:41], s[40:41]
; %bb.17737:                            ;   in Loop: Header=BB6_17293 Depth=3
	v_bfe_u32 v6, v0, 23, 1
; %bb.17738:                            ;   in Loop: Header=BB6_17293 Depth=3
	s_or_b64 exec, exec, s[40:41]
	v_lshrrev_b64 v[0:1], 21, v[0:1]
	v_cmp_gt_i32_e32 vcc, 32, v6
	v_cndmask_b32_e32 v1, 0, v1, vcc
	v_cndmask_b32_e32 v0, 3, v0, vcc
	v_cmp_eq_u64_e64 s[40:41], 0, v[0:1]
	v_min_i32_e32 v1, 31, v6
	v_lshlrev_b32_e32 v1, 2, v1
	v_cmp_eq_u32_e32 vcc, 0, v6
	v_and_b32_e32 v1, 0xfc, v1
	v_and_or_b32 v0, v0, 3, v1
	s_and_b64 s[40:41], vcc, s[40:41]
	v_cndmask_b32_e64 v0, v0, 0, s[40:41]
	v_or_b32_e32 v36, v0, v8
.LBB6_17739:                            ;   in Loop: Header=BB6_17293 Depth=3
	s_or_b64 exec, exec, s[48:49]
                                        ; implicit-def: $vgpr8
.LBB6_17740:                            ;   in Loop: Header=BB6_17293 Depth=3
	s_andn2_saveexec_b64 s[40:41], s[38:39]
; %bb.17741:                            ;   in Loop: Header=BB6_17293 Depth=3
	v_or_b32_e32 v36, 0x7b, v8
; %bb.17742:                            ;   in Loop: Header=BB6_17293 Depth=3
	s_or_b64 exec, exec, s[40:41]
                                        ; implicit-def: $vgpr6
                                        ; implicit-def: $vgpr0_vgpr1
.LBB6_17743:                            ;   in Loop: Header=BB6_17293 Depth=3
	s_andn2_saveexec_b64 s[40:41], s[42:43]
	s_cbranch_execz .LBB6_17749
; %bb.17744:                            ;   in Loop: Header=BB6_17293 Depth=3
	v_cmp_ne_u64_e32 vcc, 0, v[0:1]
                                        ; implicit-def: $vgpr36
	s_and_saveexec_b64 s[42:43], vcc
	s_xor_b64 s[42:43], exec, s[42:43]
; %bb.17745:                            ;   in Loop: Header=BB6_17293 Depth=3
	v_or_b32_sdwa v36, v6, s44 dst_sel:DWORD dst_unused:UNUSED_PAD src0_sel:BYTE_3 src1_sel:DWORD
                                        ; implicit-def: $vgpr6
; %bb.17746:                            ;   in Loop: Header=BB6_17293 Depth=3
	s_andn2_saveexec_b64 s[42:43], s[42:43]
; %bb.17747:                            ;   in Loop: Header=BB6_17293 Depth=3
	v_cmp_lt_i32_e32 vcc, -1, v6
	v_bfrev_b32_e32 v0, 0.5
	v_mov_b32_e32 v1, 0x7c
	v_cndmask_b32_e32 v36, v0, v1, vcc
; %bb.17748:                            ;   in Loop: Header=BB6_17293 Depth=3
	s_or_b64 exec, exec, s[42:43]
.LBB6_17749:                            ;   in Loop: Header=BB6_17293 Depth=3
	s_or_b64 exec, exec, s[40:41]
	global_load_dwordx4 v[8:11], v[4:5], off glc slc
	v_lshl_or_b32 v28, v31, 8, v26
	v_lshlrev_b32_e32 v0, 16, v35
	v_lshlrev_b32_e32 v1, 24, v50
	v_or3_b32 v0, v0, v1, v28
	v_mov_b32_e32 v1, v33
	v_cmp_ne_u32_e32 vcc, 0, v26
	v_mov_b32_e32 v6, 0
	s_and_saveexec_b64 s[42:43], vcc
	s_cbranch_execz .LBB6_17757
; %bb.17750:                            ;   in Loop: Header=BB6_17293 Depth=3
	v_cmp_ne_u32_e32 vcc, s97, v26
	v_bfrev_b32_e32 v6, 1
	s_and_saveexec_b64 s[38:39], vcc
	s_cbranch_execz .LBB6_17756
; %bb.17751:                            ;   in Loop: Header=BB6_17293 Depth=3
	v_and_b32_e32 v6, 0x7c, v26
	v_and_b32_e32 v7, 3, v26
	v_cmp_ne_u32_e32 vcc, s86, v6
                                        ; implicit-def: $vgpr6
	s_and_saveexec_b64 s[40:41], vcc
	s_xor_b64 s[40:41], exec, s[40:41]
	s_cbranch_execz .LBB6_17753
; %bb.17752:                            ;   in Loop: Header=BB6_17293 Depth=3
	v_ffbh_u32_e32 v12, v7
	v_min_u32_e32 v31, 32, v12
	v_subrev_u32_e32 v12, 29, v31
	v_lshlrev_b64 v[12:13], v12, v[0:1]
	v_bfe_u32 v6, v26, 2, 5
	v_sub_u32_e32 v1, 30, v31
	v_and_b32_e32 v12, 3, v12
	v_cmp_eq_u32_e32 vcc, 0, v6
	v_cndmask_b32_e32 v1, v6, v1, vcc
	v_cndmask_b32_e32 v6, v7, v12, vcc
	v_lshlrev_b32_e32 v7, 24, v26
	v_and_b32_e32 v7, 0x80000000, v7
	v_lshl_add_u32 v1, v1, 23, v7
	v_lshl_or_b32 v1, v6, 21, v1
	v_add_u32_e32 v6, 0x38000000, v1
                                        ; implicit-def: $vgpr7
                                        ; implicit-def: $vgpr26
.LBB6_17753:                            ;   in Loop: Header=BB6_17293 Depth=3
	s_andn2_saveexec_b64 s[48:49], s[40:41]
; %bb.17754:                            ;   in Loop: Header=BB6_17293 Depth=3
	v_and_b32_e32 v1, 0x80, v26
	v_cmp_eq_u32_e64 s[40:41], 0, v1
	v_mov_b32_e32 v1, 0xff800000
	v_mov_b32_e32 v6, 0x7f800000
	v_cmp_eq_u32_e32 vcc, 0, v7
	v_cndmask_b32_e64 v1, v1, v6, s[40:41]
	v_mov_b32_e32 v6, 0x7f800001
	v_cndmask_b32_e32 v6, v6, v1, vcc
; %bb.17755:                            ;   in Loop: Header=BB6_17293 Depth=3
	s_or_b64 exec, exec, s[48:49]
.LBB6_17756:                            ;   in Loop: Header=BB6_17293 Depth=3
	s_or_b64 exec, exec, s[38:39]
.LBB6_17757:                            ;   in Loop: Header=BB6_17293 Depth=3
	s_or_b64 exec, exec, s[42:43]
	s_waitcnt vmcnt(0)
	v_cmp_gt_i16_sdwa s[42:43], v8, s44 src0_sel:BYTE_0 src1_sel:DWORD
	s_mov_b64 s[40:41], 0
	s_and_saveexec_b64 s[62:63], s[42:43]
	s_xor_b64 s[42:43], exec, s[62:63]
	s_cbranch_execz .LBB6_18276
; %bb.17758:                            ;   in Loop: Header=BB6_17293 Depth=3
	v_cmp_eq_u16_sdwa s[62:63], v8, s97 src0_sel:BYTE_0 src1_sel:DWORD
	s_mov_b64 s[40:41], -1
	s_and_saveexec_b64 vcc, s[62:63]
; %bb.17759:                            ;   in Loop: Header=BB6_17293 Depth=3
	s_xor_b64 s[40:41], exec, -1
; %bb.17760:                            ;   in Loop: Header=BB6_17293 Depth=3
	s_or_b64 exec, exec, vcc
	s_and_b64 s[40:41], s[40:41], exec
	s_or_saveexec_b64 s[42:43], s[42:43]
	v_bfrev_b32_e32 v1, 1
	s_xor_b64 exec, exec, s[42:43]
	s_cbranch_execnz .LBB6_18277
.LBB6_17761:                            ;   in Loop: Header=BB6_17293 Depth=3
	s_or_b64 exec, exec, s[42:43]
	s_and_saveexec_b64 s[38:39], s[40:41]
	s_cbranch_execz .LBB6_17763
.LBB6_17762:                            ;   in Loop: Header=BB6_17293 Depth=3
	v_and_b32_e32 v1, 3, v8
	v_and_b32_e32 v12, 0x7c, v8
	v_cmp_eq_u32_e32 vcc, s86, v12
	v_ffbh_u32_e32 v12, v1
	v_min_u32_e32 v26, 32, v12
	v_subrev_u32_e32 v12, 29, v26
	v_bfe_u32 v7, v8, 2, 5
	v_lshlrev_b64 v[12:13], v12, v[8:9]
	v_cmp_eq_u32_e64 s[40:41], 0, v7
	v_sub_u32_e32 v13, 30, v26
	v_cndmask_b32_e64 v7, v7, v13, s[40:41]
	v_lshlrev_b32_e32 v13, 24, v8
	v_and_b32_e32 v12, 3, v12
	v_and_b32_e32 v13, 0x80000000, v13
	v_cndmask_b32_e64 v12, v1, v12, s[40:41]
	v_lshl_add_u32 v7, v7, 23, v13
	v_cmp_eq_u32_e64 s[40:41], 0, v1
	v_mov_b32_e32 v1, -1
	v_lshl_or_b32 v7, v12, 21, v7
	v_cmp_gt_i16_sdwa s[42:43], sext(v8), v1 src0_sel:BYTE_0 src1_sel:DWORD
	v_mov_b32_e32 v1, 0xff800000
	v_mov_b32_e32 v12, 0x7f800000
	v_cndmask_b32_e64 v1, v1, v12, s[42:43]
	v_mov_b32_e32 v12, 0x7f800001
	v_add_u32_e32 v7, 0x38000000, v7
	v_cndmask_b32_e64 v1, v12, v1, s[40:41]
	v_cndmask_b32_e32 v1, v7, v1, vcc
.LBB6_17763:                            ;   in Loop: Header=BB6_17293 Depth=3
	s_or_b64 exec, exec, s[38:39]
	v_add_f32_e32 v12, v6, v1
	v_and_b32_e32 v50, 0x7f800000, v12
	v_mov_b32_e32 v51, v33
	v_cmp_ne_u64_e32 vcc, s[76:77], v[50:51]
	v_and_b32_e32 v6, 0x7fffff, v12
	v_mov_b32_e32 v7, v33
                                        ; implicit-def: $vgpr26
	s_and_saveexec_b64 s[40:41], vcc
	s_xor_b64 s[42:43], exec, s[40:41]
	s_cbranch_execz .LBB6_17777
; %bb.17764:                            ;   in Loop: Header=BB6_17293 Depth=3
	v_and_b32_e32 v50, 0x7fffffff, v12
	v_mov_b32_e32 v51, v33
	v_cmp_gt_u64_e32 vcc, s[78:79], v[50:51]
	v_and_b32_sdwa v1, v12, s97 dst_sel:DWORD dst_unused:UNUSED_PAD src0_sel:BYTE_3 src1_sel:DWORD
                                        ; implicit-def: $vgpr26
	s_and_saveexec_b64 s[40:41], vcc
	s_xor_b64 s[38:39], exec, s[40:41]
	s_cbranch_execz .LBB6_17774
; %bb.17765:                            ;   in Loop: Header=BB6_17293 Depth=3
	v_mov_b32_e32 v26, 0
	v_cmp_ne_u32_e32 vcc, 0, v12
	s_and_saveexec_b64 s[48:49], vcc
	s_cbranch_execz .LBB6_17773
; %bb.17766:                            ;   in Loop: Header=BB6_17293 Depth=3
	v_bfe_u32 v26, v12, 23, 8
	v_cmp_gt_u32_e64 s[40:41], s47, v26
	v_sub_u32_e32 v12, 0x71, v26
	v_cmp_eq_u32_e32 vcc, 0, v26
	v_cndmask_b32_e64 v12, 0, v12, s[40:41]
	v_mov_b32_e32 v31, 0x70
	v_cndmask_b32_e32 v31, v12, v31, vcc
	v_or_b32_e32 v13, 0x800000, v6
	v_add_u32_e32 v12, 21, v31
	v_cndmask_b32_e32 v6, v13, v6, vcc
	v_lshlrev_b64 v[12:13], v12, -1
	v_add_u32_e32 v35, 20, v31
	v_bfi_b32 v12, v12, 0, v6
	v_lshlrev_b64 v[50:51], v35, 1
	v_lshrrev_b64 v[6:7], v31, v[6:7]
	v_bfi_b32 v13, v13, 0, 0
	v_cmp_eq_u64_e64 s[40:41], v[12:13], v[50:51]
	v_mov_b32_e32 v13, v7
	v_mov_b32_e32 v12, v6
	s_and_saveexec_b64 s[50:51], s[40:41]
; %bb.17767:                            ;   in Loop: Header=BB6_17293 Depth=3
	v_bfe_u32 v7, v6, 21, 1
	v_add_co_u32_e64 v7, s[40:41], v6, v7
	v_add_co_u32_e64 v12, s[40:41], -1, v7
; %bb.17768:                            ;   in Loop: Header=BB6_17293 Depth=3
	s_or_b64 exec, exec, s[50:51]
	v_add_u32_e32 v7, 0xffffff81, v26
	v_mov_b32_e32 v13, 0xffffff82
	v_cndmask_b32_e32 v7, v7, v13, vcc
	v_lshrrev_b32_e32 v13, 23, v6
	v_add3_u32 v26, v31, v7, v13
	v_add_u32_e32 v13, 14, v26
	v_and_b32_e32 v7, 0x1fffff, v12
	v_add_u32_e32 v6, v7, v6
	v_mov_b32_e32 v7, v33
	v_cmp_ne_u32_e32 vcc, 0, v13
                                        ; implicit-def: $vgpr12
	s_and_saveexec_b64 s[40:41], vcc
	s_xor_b64 s[40:41], exec, s[40:41]
; %bb.17769:                            ;   in Loop: Header=BB6_17293 Depth=3
	v_cmp_lt_u64_e32 vcc, s[88:89], v[6:7]
	v_add_u32_e32 v12, 15, v26
	v_cndmask_b32_e32 v12, v13, v12, vcc
	v_cndmask_b32_e64 v13, 0, 1, vcc
	v_lshrrev_b64 v[6:7], v13, v[6:7]
; %bb.17770:                            ;   in Loop: Header=BB6_17293 Depth=3
	s_andn2_saveexec_b64 s[40:41], s[40:41]
; %bb.17771:                            ;   in Loop: Header=BB6_17293 Depth=3
	v_bfe_u32 v12, v6, 23, 1
; %bb.17772:                            ;   in Loop: Header=BB6_17293 Depth=3
	s_or_b64 exec, exec, s[40:41]
	v_lshrrev_b64 v[6:7], 21, v[6:7]
	v_cmp_gt_i32_e32 vcc, 32, v12
	v_cndmask_b32_e32 v7, 0, v7, vcc
	v_cndmask_b32_e32 v6, 3, v6, vcc
	v_cmp_eq_u64_e64 s[40:41], 0, v[6:7]
	v_min_i32_e32 v7, 31, v12
	v_lshlrev_b32_e32 v7, 2, v7
	v_cmp_eq_u32_e32 vcc, 0, v12
	v_and_b32_e32 v7, 0xfc, v7
	v_and_or_b32 v6, v6, 3, v7
	s_and_b64 s[40:41], vcc, s[40:41]
	v_cndmask_b32_e64 v6, v6, 0, s[40:41]
	v_or_b32_e32 v26, v6, v1
.LBB6_17773:                            ;   in Loop: Header=BB6_17293 Depth=3
	s_or_b64 exec, exec, s[48:49]
                                        ; implicit-def: $vgpr1
.LBB6_17774:                            ;   in Loop: Header=BB6_17293 Depth=3
	s_andn2_saveexec_b64 s[40:41], s[38:39]
; %bb.17775:                            ;   in Loop: Header=BB6_17293 Depth=3
	v_or_b32_e32 v26, 0x7b, v1
; %bb.17776:                            ;   in Loop: Header=BB6_17293 Depth=3
	s_or_b64 exec, exec, s[40:41]
                                        ; implicit-def: $vgpr12
                                        ; implicit-def: $vgpr6_vgpr7
.LBB6_17777:                            ;   in Loop: Header=BB6_17293 Depth=3
	s_andn2_saveexec_b64 s[40:41], s[42:43]
	s_cbranch_execz .LBB6_17783
; %bb.17778:                            ;   in Loop: Header=BB6_17293 Depth=3
	v_cmp_ne_u64_e32 vcc, 0, v[6:7]
                                        ; implicit-def: $vgpr26
	s_and_saveexec_b64 s[42:43], vcc
	s_xor_b64 s[42:43], exec, s[42:43]
; %bb.17779:                            ;   in Loop: Header=BB6_17293 Depth=3
	v_or_b32_sdwa v26, v12, s44 dst_sel:DWORD dst_unused:UNUSED_PAD src0_sel:BYTE_3 src1_sel:DWORD
                                        ; implicit-def: $vgpr12
; %bb.17780:                            ;   in Loop: Header=BB6_17293 Depth=3
	s_andn2_saveexec_b64 s[42:43], s[42:43]
; %bb.17781:                            ;   in Loop: Header=BB6_17293 Depth=3
	v_cmp_lt_i32_e32 vcc, -1, v12
	v_bfrev_b32_e32 v1, 0.5
	v_mov_b32_e32 v6, 0x7c
	v_cndmask_b32_e32 v26, v1, v6, vcc
; %bb.17782:                            ;   in Loop: Header=BB6_17293 Depth=3
	s_or_b64 exec, exec, s[42:43]
.LBB6_17783:                            ;   in Loop: Header=BB6_17293 Depth=3
	s_or_b64 exec, exec, s[40:41]
	v_lshrrev_b16_e32 v6, 8, v28
	v_cmp_ne_u16_e32 vcc, 0, v6
	v_mov_b32_e32 v1, 0
	s_and_saveexec_b64 s[40:41], vcc
	s_cbranch_execz .LBB6_17791
; %bb.17784:                            ;   in Loop: Header=BB6_17293 Depth=3
	v_cmp_ne_u16_e32 vcc, s97, v6
	v_bfrev_b32_e32 v1, 1
	s_and_saveexec_b64 s[42:43], vcc
	s_cbranch_execz .LBB6_17790
; %bb.17785:                            ;   in Loop: Header=BB6_17293 Depth=3
	v_and_b32_e32 v1, 0x7c, v6
	v_and_b32_e32 v12, 3, v6
	v_cmp_ne_u32_e32 vcc, s86, v1
                                        ; implicit-def: $vgpr1
	s_and_saveexec_b64 s[62:63], vcc
	s_xor_b64 s[38:39], exec, s[62:63]
	s_cbranch_execz .LBB6_17787
; %bb.17786:                            ;   in Loop: Header=BB6_17293 Depth=3
	v_ffbh_u32_e32 v13, v12
	v_min_u32_e32 v13, 32, v13
	v_mov_b32_e32 v7, v33
	v_subrev_u32_e32 v31, 29, v13
	v_bfe_u32 v1, v6, 2, 5
	v_lshlrev_b64 v[6:7], v31, v[6:7]
	v_sub_u32_e32 v7, 30, v13
	v_cmp_eq_u32_e32 vcc, 0, v1
	v_cndmask_b32_e32 v1, v1, v7, vcc
	v_lshlrev_b32_e32 v7, 16, v28
	v_and_b32_e32 v6, 3, v6
	v_and_b32_e32 v7, 0x80000000, v7
	v_cndmask_b32_e32 v6, v12, v6, vcc
	v_lshl_add_u32 v1, v1, 23, v7
	v_lshl_or_b32 v1, v6, 21, v1
	v_add_u32_e32 v1, 0x38000000, v1
                                        ; implicit-def: $vgpr12
                                        ; implicit-def: $vgpr28
.LBB6_17787:                            ;   in Loop: Header=BB6_17293 Depth=3
	s_andn2_saveexec_b64 s[38:39], s[38:39]
; %bb.17788:                            ;   in Loop: Header=BB6_17293 Depth=3
	v_cmp_lt_i16_e32 vcc, -1, v28
	v_mov_b32_e32 v1, 0xff800000
	v_mov_b32_e32 v6, 0x7f800000
	v_cndmask_b32_e32 v1, v1, v6, vcc
	v_cmp_eq_u32_e32 vcc, 0, v12
	v_mov_b32_e32 v6, 0x7f800001
	v_cndmask_b32_e32 v1, v6, v1, vcc
; %bb.17789:                            ;   in Loop: Header=BB6_17293 Depth=3
	s_or_b64 exec, exec, s[38:39]
.LBB6_17790:                            ;   in Loop: Header=BB6_17293 Depth=3
	s_or_b64 exec, exec, s[42:43]
.LBB6_17791:                            ;   in Loop: Header=BB6_17293 Depth=3
	s_or_b64 exec, exec, s[40:41]
	v_lshrrev_b16_e32 v6, 8, v8
	v_cmp_lt_i16_e32 vcc, s44, v6
	s_mov_b64 s[40:41], 0
	s_and_saveexec_b64 s[42:43], vcc
	s_xor_b64 s[42:43], exec, s[42:43]
	s_cbranch_execz .LBB6_18278
; %bb.17792:                            ;   in Loop: Header=BB6_17293 Depth=3
	v_cmp_eq_u16_e32 vcc, s97, v6
	s_mov_b64 s[40:41], -1
	s_and_saveexec_b64 s[38:39], vcc
; %bb.17793:                            ;   in Loop: Header=BB6_17293 Depth=3
	s_xor_b64 s[40:41], exec, -1
; %bb.17794:                            ;   in Loop: Header=BB6_17293 Depth=3
	s_or_b64 exec, exec, s[38:39]
	s_and_b64 s[40:41], s[40:41], exec
	s_or_saveexec_b64 s[42:43], s[42:43]
	v_bfrev_b32_e32 v7, 1
	s_xor_b64 exec, exec, s[42:43]
	s_cbranch_execnz .LBB6_18279
.LBB6_17795:                            ;   in Loop: Header=BB6_17293 Depth=3
	s_or_b64 exec, exec, s[42:43]
	s_and_saveexec_b64 s[38:39], s[40:41]
	s_cbranch_execz .LBB6_17797
.LBB6_17796:                            ;   in Loop: Header=BB6_17293 Depth=3
	v_and_b32_e32 v28, 3, v6
	v_and_b32_e32 v12, 0x7c, v6
	v_cmp_eq_u32_e32 vcc, s86, v12
	v_ffbh_u32_e32 v12, v28
	v_min_u32_e32 v35, 32, v12
	v_mov_b32_e32 v7, v33
	v_subrev_u32_e32 v12, 29, v35
	v_bfe_u32 v31, v6, 2, 5
	v_lshlrev_b64 v[12:13], v12, v[6:7]
	v_cmp_eq_u32_e64 s[40:41], 0, v31
	v_sub_u32_e32 v7, 30, v35
	v_lshlrev_b32_e32 v6, 24, v6
	v_and_b32_e32 v12, 3, v12
	v_cndmask_b32_e64 v7, v31, v7, s[40:41]
	v_and_b32_e32 v6, 0x80000000, v6
	v_cndmask_b32_e64 v12, v28, v12, s[40:41]
	v_lshl_add_u32 v6, v7, 23, v6
	v_lshl_or_b32 v6, v12, 21, v6
	v_cmp_lt_i16_e64 s[42:43], -1, v8
	v_mov_b32_e32 v7, 0xff800000
	v_mov_b32_e32 v12, 0x7f800000
	v_cmp_eq_u32_e64 s[40:41], 0, v28
	v_cndmask_b32_e64 v7, v7, v12, s[42:43]
	v_mov_b32_e32 v12, 0x7f800001
	v_add_u32_e32 v6, 0x38000000, v6
	v_cndmask_b32_e64 v7, v12, v7, s[40:41]
	v_cndmask_b32_e32 v7, v6, v7, vcc
.LBB6_17797:                            ;   in Loop: Header=BB6_17293 Depth=3
	s_or_b64 exec, exec, s[38:39]
	v_add_f32_e32 v12, v1, v7
	v_and_b32_e32 v50, 0x7f800000, v12
	v_mov_b32_e32 v51, v33
	v_cmp_ne_u64_e32 vcc, s[76:77], v[50:51]
	v_and_b32_e32 v6, 0x7fffff, v12
	v_mov_b32_e32 v7, v33
                                        ; implicit-def: $vgpr28
	s_and_saveexec_b64 s[40:41], vcc
	s_xor_b64 s[42:43], exec, s[40:41]
	s_cbranch_execz .LBB6_17811
; %bb.17798:                            ;   in Loop: Header=BB6_17293 Depth=3
	v_and_b32_e32 v50, 0x7fffffff, v12
	v_mov_b32_e32 v51, v33
	v_cmp_gt_u64_e32 vcc, s[78:79], v[50:51]
	v_and_b32_sdwa v1, v12, s97 dst_sel:DWORD dst_unused:UNUSED_PAD src0_sel:BYTE_3 src1_sel:DWORD
                                        ; implicit-def: $vgpr28
	s_and_saveexec_b64 s[40:41], vcc
	s_xor_b64 s[38:39], exec, s[40:41]
	s_cbranch_execz .LBB6_17808
; %bb.17799:                            ;   in Loop: Header=BB6_17293 Depth=3
	v_mov_b32_e32 v28, 0
	v_cmp_ne_u32_e32 vcc, 0, v12
	s_and_saveexec_b64 s[48:49], vcc
	s_cbranch_execz .LBB6_17807
; %bb.17800:                            ;   in Loop: Header=BB6_17293 Depth=3
	v_bfe_u32 v28, v12, 23, 8
	v_cmp_gt_u32_e64 s[40:41], s47, v28
	v_sub_u32_e32 v12, 0x71, v28
	v_cmp_eq_u32_e32 vcc, 0, v28
	v_cndmask_b32_e64 v12, 0, v12, s[40:41]
	v_mov_b32_e32 v31, 0x70
	v_cndmask_b32_e32 v31, v12, v31, vcc
	v_or_b32_e32 v13, 0x800000, v6
	v_add_u32_e32 v12, 21, v31
	v_cndmask_b32_e32 v6, v13, v6, vcc
	v_lshlrev_b64 v[12:13], v12, -1
	v_add_u32_e32 v35, 20, v31
	v_bfi_b32 v12, v12, 0, v6
	v_lshlrev_b64 v[50:51], v35, 1
	v_lshrrev_b64 v[6:7], v31, v[6:7]
	v_bfi_b32 v13, v13, 0, 0
	v_cmp_eq_u64_e64 s[40:41], v[12:13], v[50:51]
	v_mov_b32_e32 v13, v7
	v_mov_b32_e32 v12, v6
	s_and_saveexec_b64 s[50:51], s[40:41]
; %bb.17801:                            ;   in Loop: Header=BB6_17293 Depth=3
	v_bfe_u32 v7, v6, 21, 1
	v_add_co_u32_e64 v7, s[40:41], v6, v7
	v_add_co_u32_e64 v12, s[40:41], -1, v7
; %bb.17802:                            ;   in Loop: Header=BB6_17293 Depth=3
	s_or_b64 exec, exec, s[50:51]
	v_add_u32_e32 v7, 0xffffff81, v28
	v_mov_b32_e32 v13, 0xffffff82
	v_cndmask_b32_e32 v7, v7, v13, vcc
	v_lshrrev_b32_e32 v13, 23, v6
	v_add3_u32 v28, v31, v7, v13
	v_add_u32_e32 v13, 14, v28
	v_and_b32_e32 v7, 0x1fffff, v12
	v_add_u32_e32 v6, v7, v6
	v_mov_b32_e32 v7, v33
	v_cmp_ne_u32_e32 vcc, 0, v13
                                        ; implicit-def: $vgpr12
	s_and_saveexec_b64 s[40:41], vcc
	s_xor_b64 s[40:41], exec, s[40:41]
; %bb.17803:                            ;   in Loop: Header=BB6_17293 Depth=3
	v_cmp_lt_u64_e32 vcc, s[88:89], v[6:7]
	v_add_u32_e32 v12, 15, v28
	v_cndmask_b32_e32 v12, v13, v12, vcc
	v_cndmask_b32_e64 v13, 0, 1, vcc
	v_lshrrev_b64 v[6:7], v13, v[6:7]
; %bb.17804:                            ;   in Loop: Header=BB6_17293 Depth=3
	s_andn2_saveexec_b64 s[40:41], s[40:41]
; %bb.17805:                            ;   in Loop: Header=BB6_17293 Depth=3
	v_bfe_u32 v12, v6, 23, 1
; %bb.17806:                            ;   in Loop: Header=BB6_17293 Depth=3
	s_or_b64 exec, exec, s[40:41]
	v_lshrrev_b64 v[6:7], 21, v[6:7]
	v_cmp_gt_i32_e32 vcc, 32, v12
	v_cndmask_b32_e32 v7, 0, v7, vcc
	v_cndmask_b32_e32 v6, 3, v6, vcc
	v_cmp_eq_u64_e64 s[40:41], 0, v[6:7]
	v_min_i32_e32 v7, 31, v12
	v_lshlrev_b32_e32 v7, 2, v7
	v_cmp_eq_u32_e32 vcc, 0, v12
	v_and_b32_e32 v7, 0xfc, v7
	v_and_or_b32 v6, v6, 3, v7
	s_and_b64 s[40:41], vcc, s[40:41]
	v_cndmask_b32_e64 v6, v6, 0, s[40:41]
	v_or_b32_e32 v28, v6, v1
.LBB6_17807:                            ;   in Loop: Header=BB6_17293 Depth=3
	s_or_b64 exec, exec, s[48:49]
                                        ; implicit-def: $vgpr1
.LBB6_17808:                            ;   in Loop: Header=BB6_17293 Depth=3
	s_andn2_saveexec_b64 s[40:41], s[38:39]
; %bb.17809:                            ;   in Loop: Header=BB6_17293 Depth=3
	v_or_b32_e32 v28, 0x7b, v1
; %bb.17810:                            ;   in Loop: Header=BB6_17293 Depth=3
	s_or_b64 exec, exec, s[40:41]
                                        ; implicit-def: $vgpr12
                                        ; implicit-def: $vgpr6_vgpr7
.LBB6_17811:                            ;   in Loop: Header=BB6_17293 Depth=3
	s_andn2_saveexec_b64 s[40:41], s[42:43]
	s_cbranch_execz .LBB6_17817
; %bb.17812:                            ;   in Loop: Header=BB6_17293 Depth=3
	v_cmp_ne_u64_e32 vcc, 0, v[6:7]
                                        ; implicit-def: $vgpr28
	s_and_saveexec_b64 s[42:43], vcc
	s_xor_b64 s[42:43], exec, s[42:43]
; %bb.17813:                            ;   in Loop: Header=BB6_17293 Depth=3
	v_or_b32_sdwa v28, v12, s44 dst_sel:DWORD dst_unused:UNUSED_PAD src0_sel:BYTE_3 src1_sel:DWORD
                                        ; implicit-def: $vgpr12
; %bb.17814:                            ;   in Loop: Header=BB6_17293 Depth=3
	s_andn2_saveexec_b64 s[42:43], s[42:43]
; %bb.17815:                            ;   in Loop: Header=BB6_17293 Depth=3
	v_cmp_lt_i32_e32 vcc, -1, v12
	v_bfrev_b32_e32 v1, 0.5
	v_mov_b32_e32 v6, 0x7c
	v_cndmask_b32_e32 v28, v1, v6, vcc
; %bb.17816:                            ;   in Loop: Header=BB6_17293 Depth=3
	s_or_b64 exec, exec, s[42:43]
.LBB6_17817:                            ;   in Loop: Header=BB6_17293 Depth=3
	s_or_b64 exec, exec, s[40:41]
	v_and_b32_sdwa v7, v0, s96 dst_sel:DWORD dst_unused:UNUSED_PAD src0_sel:WORD_1 src1_sel:DWORD
	v_lshrrev_b32_e32 v1, 16, v0
	v_cmp_ne_u16_e32 vcc, 0, v7
	v_mov_b32_e32 v6, 0
	s_and_saveexec_b64 s[40:41], vcc
	s_cbranch_execz .LBB6_17825
; %bb.17818:                            ;   in Loop: Header=BB6_17293 Depth=3
	v_cmp_ne_u16_e32 vcc, s97, v7
	v_bfrev_b32_e32 v6, 1
	s_and_saveexec_b64 s[42:43], vcc
	s_cbranch_execz .LBB6_17824
; %bb.17819:                            ;   in Loop: Header=BB6_17293 Depth=3
	v_and_b32_e32 v6, 0x7c0000, v0
	v_bfe_u32 v7, v0, 16, 2
	v_cmp_ne_u32_e32 vcc, s45, v6
                                        ; implicit-def: $vgpr6
	s_and_saveexec_b64 s[62:63], vcc
	s_xor_b64 s[38:39], exec, s[62:63]
	s_cbranch_execz .LBB6_17821
; %bb.17820:                            ;   in Loop: Header=BB6_17293 Depth=3
	v_ffbh_u32_e32 v12, v7
	v_min_u32_e32 v31, 32, v12
	v_lshrrev_b32_e32 v1, 16, v0
	v_subrev_u32_e32 v12, 29, v31
	v_lshlrev_b64 v[12:13], v12, v[1:2]
	v_bfe_u32 v6, v0, 18, 5
	v_sub_u32_e32 v1, 30, v31
	v_and_b32_e32 v12, 3, v12
	v_cmp_eq_u32_e32 vcc, 0, v6
	v_cndmask_b32_e32 v1, v6, v1, vcc
	v_cndmask_b32_e32 v6, v7, v12, vcc
	v_lshlrev_b32_e32 v7, 8, v0
	v_and_b32_e32 v7, 0x80000000, v7
	v_lshl_add_u32 v1, v1, 23, v7
	v_lshl_or_b32 v1, v6, 21, v1
	v_add_u32_e32 v6, 0x38000000, v1
                                        ; implicit-def: $vgpr7
                                        ; implicit-def: $vgpr1
.LBB6_17821:                            ;   in Loop: Header=BB6_17293 Depth=3
	s_andn2_saveexec_b64 s[38:39], s[38:39]
; %bb.17822:                            ;   in Loop: Header=BB6_17293 Depth=3
	v_mov_b32_e32 v6, -1
	v_cmp_gt_i16_sdwa vcc, sext(v1), v6 src0_sel:BYTE_0 src1_sel:DWORD
	v_mov_b32_e32 v1, 0xff800000
	v_mov_b32_e32 v6, 0x7f800000
	v_cndmask_b32_e32 v1, v1, v6, vcc
	v_cmp_eq_u32_e32 vcc, 0, v7
	v_mov_b32_e32 v6, 0x7f800001
	v_cndmask_b32_e32 v6, v6, v1, vcc
; %bb.17823:                            ;   in Loop: Header=BB6_17293 Depth=3
	s_or_b64 exec, exec, s[38:39]
.LBB6_17824:                            ;   in Loop: Header=BB6_17293 Depth=3
	s_or_b64 exec, exec, s[42:43]
.LBB6_17825:                            ;   in Loop: Header=BB6_17293 Depth=3
	s_or_b64 exec, exec, s[40:41]
	v_lshrrev_b32_e32 v1, 16, v8
	v_cmp_gt_i16_sdwa s[42:43], v1, s44 src0_sel:BYTE_0 src1_sel:DWORD
	s_mov_b64 s[40:41], 0
	s_and_saveexec_b64 s[62:63], s[42:43]
	s_xor_b64 s[42:43], exec, s[62:63]
	s_cbranch_execz .LBB6_18280
; %bb.17826:                            ;   in Loop: Header=BB6_17293 Depth=3
	v_cmp_eq_u16_sdwa s[62:63], v1, s97 src0_sel:BYTE_0 src1_sel:DWORD
	s_mov_b64 s[40:41], -1
	s_and_saveexec_b64 vcc, s[62:63]
; %bb.17827:                            ;   in Loop: Header=BB6_17293 Depth=3
	s_xor_b64 s[40:41], exec, -1
; %bb.17828:                            ;   in Loop: Header=BB6_17293 Depth=3
	s_or_b64 exec, exec, vcc
	s_and_b64 s[40:41], s[40:41], exec
	s_or_saveexec_b64 s[42:43], s[42:43]
	v_bfrev_b32_e32 v7, 1
	s_xor_b64 exec, exec, s[42:43]
	s_cbranch_execnz .LBB6_18281
.LBB6_17829:                            ;   in Loop: Header=BB6_17293 Depth=3
	s_or_b64 exec, exec, s[42:43]
	s_and_saveexec_b64 s[38:39], s[40:41]
	s_cbranch_execz .LBB6_17831
.LBB6_17830:                            ;   in Loop: Header=BB6_17293 Depth=3
	v_and_b32_e32 v7, 3, v1
	v_and_b32_e32 v12, 0x7c0000, v8
	v_cmp_eq_u32_e32 vcc, s45, v12
	v_ffbh_u32_e32 v12, v7
	v_min_u32_e32 v35, 32, v12
	v_subrev_u32_e32 v12, 29, v35
	v_bfe_u32 v31, v8, 18, 5
	v_lshlrev_b64 v[12:13], v12, v[1:2]
	v_cmp_eq_u32_e64 s[40:41], 0, v31
	v_sub_u32_e32 v13, 30, v35
	v_and_b32_e32 v12, 3, v12
	v_cndmask_b32_e64 v13, v31, v13, s[40:41]
	v_lshlrev_b32_e32 v31, 24, v1
	v_cndmask_b32_e64 v12, v7, v12, s[40:41]
	v_and_b32_e32 v31, 0x80000000, v31
	v_cmp_eq_u32_e64 s[40:41], 0, v7
	v_mov_b32_e32 v7, -1
	v_lshl_add_u32 v13, v13, 23, v31
	v_cmp_gt_i16_sdwa s[42:43], sext(v1), v7 src0_sel:BYTE_0 src1_sel:DWORD
	v_mov_b32_e32 v1, 0xff800000
	v_mov_b32_e32 v7, 0x7f800000
	v_lshl_or_b32 v12, v12, 21, v13
	v_cndmask_b32_e64 v1, v1, v7, s[42:43]
	v_mov_b32_e32 v7, 0x7f800001
	v_add_u32_e32 v12, 0x38000000, v12
	v_cndmask_b32_e64 v1, v7, v1, s[40:41]
	v_cndmask_b32_e32 v7, v12, v1, vcc
.LBB6_17831:                            ;   in Loop: Header=BB6_17293 Depth=3
	s_or_b64 exec, exec, s[38:39]
	v_add_f32_e32 v12, v6, v7
	v_and_b32_e32 v50, 0x7f800000, v12
	v_mov_b32_e32 v51, v33
	v_cmp_ne_u64_e32 vcc, s[76:77], v[50:51]
	v_and_b32_e32 v6, 0x7fffff, v12
	v_mov_b32_e32 v7, v33
                                        ; implicit-def: $vgpr31
	s_and_saveexec_b64 s[40:41], vcc
	s_xor_b64 s[42:43], exec, s[40:41]
	s_cbranch_execz .LBB6_17845
; %bb.17832:                            ;   in Loop: Header=BB6_17293 Depth=3
	v_and_b32_e32 v50, 0x7fffffff, v12
	v_mov_b32_e32 v51, v33
	v_cmp_gt_u64_e32 vcc, s[78:79], v[50:51]
	v_and_b32_sdwa v1, v12, s97 dst_sel:DWORD dst_unused:UNUSED_PAD src0_sel:BYTE_3 src1_sel:DWORD
                                        ; implicit-def: $vgpr31
	s_and_saveexec_b64 s[40:41], vcc
	s_xor_b64 s[38:39], exec, s[40:41]
	s_cbranch_execz .LBB6_17842
; %bb.17833:                            ;   in Loop: Header=BB6_17293 Depth=3
	v_mov_b32_e32 v31, 0
	v_cmp_ne_u32_e32 vcc, 0, v12
	s_and_saveexec_b64 s[48:49], vcc
	s_cbranch_execz .LBB6_17841
; %bb.17834:                            ;   in Loop: Header=BB6_17293 Depth=3
	v_bfe_u32 v31, v12, 23, 8
	v_cmp_gt_u32_e64 s[40:41], s47, v31
	v_sub_u32_e32 v12, 0x71, v31
	v_cmp_eq_u32_e32 vcc, 0, v31
	v_cndmask_b32_e64 v12, 0, v12, s[40:41]
	v_mov_b32_e32 v35, 0x70
	v_cndmask_b32_e32 v35, v12, v35, vcc
	v_or_b32_e32 v13, 0x800000, v6
	v_add_u32_e32 v12, 21, v35
	v_cndmask_b32_e32 v6, v13, v6, vcc
	v_lshlrev_b64 v[12:13], v12, -1
	v_add_u32_e32 v50, 20, v35
	v_bfi_b32 v12, v12, 0, v6
	v_lshlrev_b64 v[50:51], v50, 1
	v_lshrrev_b64 v[6:7], v35, v[6:7]
	v_bfi_b32 v13, v13, 0, 0
	v_cmp_eq_u64_e64 s[40:41], v[12:13], v[50:51]
	v_mov_b32_e32 v13, v7
	v_mov_b32_e32 v12, v6
	s_and_saveexec_b64 s[50:51], s[40:41]
; %bb.17835:                            ;   in Loop: Header=BB6_17293 Depth=3
	v_bfe_u32 v7, v6, 21, 1
	v_add_co_u32_e64 v7, s[40:41], v6, v7
	v_add_co_u32_e64 v12, s[40:41], -1, v7
; %bb.17836:                            ;   in Loop: Header=BB6_17293 Depth=3
	s_or_b64 exec, exec, s[50:51]
	v_add_u32_e32 v7, 0xffffff81, v31
	v_mov_b32_e32 v13, 0xffffff82
	v_cndmask_b32_e32 v7, v7, v13, vcc
	v_lshrrev_b32_e32 v13, 23, v6
	v_add3_u32 v31, v35, v7, v13
	v_add_u32_e32 v13, 14, v31
	v_and_b32_e32 v7, 0x1fffff, v12
	v_add_u32_e32 v6, v7, v6
	v_mov_b32_e32 v7, v33
	v_cmp_ne_u32_e32 vcc, 0, v13
                                        ; implicit-def: $vgpr12
	s_and_saveexec_b64 s[40:41], vcc
	s_xor_b64 s[40:41], exec, s[40:41]
; %bb.17837:                            ;   in Loop: Header=BB6_17293 Depth=3
	v_cmp_lt_u64_e32 vcc, s[88:89], v[6:7]
	v_add_u32_e32 v12, 15, v31
	v_cndmask_b32_e32 v12, v13, v12, vcc
	v_cndmask_b32_e64 v13, 0, 1, vcc
	v_lshrrev_b64 v[6:7], v13, v[6:7]
; %bb.17838:                            ;   in Loop: Header=BB6_17293 Depth=3
	s_andn2_saveexec_b64 s[40:41], s[40:41]
; %bb.17839:                            ;   in Loop: Header=BB6_17293 Depth=3
	v_bfe_u32 v12, v6, 23, 1
; %bb.17840:                            ;   in Loop: Header=BB6_17293 Depth=3
	s_or_b64 exec, exec, s[40:41]
	v_lshrrev_b64 v[6:7], 21, v[6:7]
	v_cmp_gt_i32_e32 vcc, 32, v12
	v_cndmask_b32_e32 v7, 0, v7, vcc
	v_cndmask_b32_e32 v6, 3, v6, vcc
	v_cmp_eq_u64_e64 s[40:41], 0, v[6:7]
	v_min_i32_e32 v7, 31, v12
	v_lshlrev_b32_e32 v7, 2, v7
	v_cmp_eq_u32_e32 vcc, 0, v12
	v_and_b32_e32 v7, 0xfc, v7
	v_and_or_b32 v6, v6, 3, v7
	s_and_b64 s[40:41], vcc, s[40:41]
	v_cndmask_b32_e64 v6, v6, 0, s[40:41]
	v_or_b32_e32 v31, v6, v1
.LBB6_17841:                            ;   in Loop: Header=BB6_17293 Depth=3
	s_or_b64 exec, exec, s[48:49]
                                        ; implicit-def: $vgpr1
.LBB6_17842:                            ;   in Loop: Header=BB6_17293 Depth=3
	s_andn2_saveexec_b64 s[40:41], s[38:39]
; %bb.17843:                            ;   in Loop: Header=BB6_17293 Depth=3
	v_or_b32_e32 v31, 0x7b, v1
; %bb.17844:                            ;   in Loop: Header=BB6_17293 Depth=3
	s_or_b64 exec, exec, s[40:41]
                                        ; implicit-def: $vgpr12
                                        ; implicit-def: $vgpr6_vgpr7
.LBB6_17845:                            ;   in Loop: Header=BB6_17293 Depth=3
	s_andn2_saveexec_b64 s[40:41], s[42:43]
	s_cbranch_execz .LBB6_17851
; %bb.17846:                            ;   in Loop: Header=BB6_17293 Depth=3
	v_cmp_ne_u64_e32 vcc, 0, v[6:7]
                                        ; implicit-def: $vgpr31
	s_and_saveexec_b64 s[42:43], vcc
	s_xor_b64 s[42:43], exec, s[42:43]
; %bb.17847:                            ;   in Loop: Header=BB6_17293 Depth=3
	v_or_b32_sdwa v31, v12, s44 dst_sel:DWORD dst_unused:UNUSED_PAD src0_sel:BYTE_3 src1_sel:DWORD
                                        ; implicit-def: $vgpr12
; %bb.17848:                            ;   in Loop: Header=BB6_17293 Depth=3
	s_andn2_saveexec_b64 s[42:43], s[42:43]
; %bb.17849:                            ;   in Loop: Header=BB6_17293 Depth=3
	v_cmp_lt_i32_e32 vcc, -1, v12
	v_bfrev_b32_e32 v1, 0.5
	v_mov_b32_e32 v6, 0x7c
	v_cndmask_b32_e32 v31, v1, v6, vcc
; %bb.17850:                            ;   in Loop: Header=BB6_17293 Depth=3
	s_or_b64 exec, exec, s[42:43]
.LBB6_17851:                            ;   in Loop: Header=BB6_17293 Depth=3
	s_or_b64 exec, exec, s[40:41]
	v_cmp_lt_u32_e32 vcc, s57, v0
	v_mov_b32_e32 v6, 0
	s_and_saveexec_b64 s[40:41], vcc
	s_cbranch_execz .LBB6_17859
; %bb.17852:                            ;   in Loop: Header=BB6_17293 Depth=3
	v_lshrrev_b32_e32 v1, 24, v0
	v_cmp_ne_u32_e32 vcc, s97, v1
	v_bfrev_b32_e32 v6, 1
	s_and_saveexec_b64 s[42:43], vcc
	s_cbranch_execz .LBB6_17858
; %bb.17853:                            ;   in Loop: Header=BB6_17293 Depth=3
	v_and_b32_e32 v6, 0x7c000000, v0
	v_bfe_u32 v7, v0, 24, 2
	v_cmp_ne_u32_e32 vcc, s68, v6
                                        ; implicit-def: $vgpr6
	s_and_saveexec_b64 s[62:63], vcc
	s_xor_b64 s[38:39], exec, s[62:63]
	s_cbranch_execz .LBB6_17855
; %bb.17854:                            ;   in Loop: Header=BB6_17293 Depth=3
	v_ffbh_u32_e32 v12, v7
	v_min_u32_e32 v35, 32, v12
	v_subrev_u32_e32 v12, 29, v35
	v_bfe_u32 v6, v0, 26, 5
	v_lshlrev_b64 v[12:13], v12, v[1:2]
	v_sub_u32_e32 v1, 30, v35
	v_cmp_eq_u32_e32 vcc, 0, v6
	v_and_b32_e32 v12, 3, v12
	v_cndmask_b32_e32 v1, v6, v1, vcc
	v_and_b32_e32 v0, 0x80000000, v0
	v_cndmask_b32_e32 v6, v7, v12, vcc
	v_lshl_add_u32 v0, v1, 23, v0
	v_lshl_or_b32 v0, v6, 21, v0
	v_add_u32_e32 v6, 0x38000000, v0
                                        ; implicit-def: $vgpr7
                                        ; implicit-def: $vgpr0_vgpr1
.LBB6_17855:                            ;   in Loop: Header=BB6_17293 Depth=3
	s_andn2_saveexec_b64 s[38:39], s[38:39]
; %bb.17856:                            ;   in Loop: Header=BB6_17293 Depth=3
	v_cmp_lt_i32_e32 vcc, -1, v0
	v_mov_b32_e32 v0, 0xff800000
	v_mov_b32_e32 v1, 0x7f800000
	v_cndmask_b32_e32 v0, v0, v1, vcc
	v_cmp_eq_u32_e32 vcc, 0, v7
	v_mov_b32_e32 v1, 0x7f800001
	v_cndmask_b32_e32 v6, v1, v0, vcc
; %bb.17857:                            ;   in Loop: Header=BB6_17293 Depth=3
	s_or_b64 exec, exec, s[38:39]
.LBB6_17858:                            ;   in Loop: Header=BB6_17293 Depth=3
	s_or_b64 exec, exec, s[42:43]
.LBB6_17859:                            ;   in Loop: Header=BB6_17293 Depth=3
	s_or_b64 exec, exec, s[40:41]
	v_bfe_u32 v1, v8, 24, 2
	v_and_b32_e32 v12, 0x7c000000, v8
	v_cmp_eq_u32_e32 vcc, s68, v12
	v_ffbh_u32_e32 v12, v1
	v_min_u32_e32 v35, 32, v12
	v_lshrrev_b32_e32 v0, 24, v8
	v_subrev_u32_e32 v12, 29, v35
	v_bfe_u32 v7, v8, 26, 5
	v_lshlrev_b64 v[12:13], v12, v[0:1]
	v_cmp_eq_u32_e64 s[40:41], 0, v7
	v_sub_u32_e32 v13, 30, v35
	v_and_b32_e32 v12, 3, v12
	v_cndmask_b32_e64 v7, v7, v13, s[40:41]
	v_and_b32_e32 v13, 0x80000000, v8
	v_cndmask_b32_e64 v12, v1, v12, s[40:41]
	v_lshl_add_u32 v7, v7, 23, v13
	v_lshl_or_b32 v7, v12, 21, v7
	v_cmp_eq_u32_e64 s[40:41], 0, v1
	v_cmp_lt_i32_e64 s[42:43], -1, v8
	v_mov_b32_e32 v1, 0xff800000
	v_mov_b32_e32 v12, 0x7f800000
	v_cndmask_b32_e64 v1, v1, v12, s[42:43]
	v_mov_b32_e32 v12, 0x7f800001
	v_add_u32_e32 v7, 0x38000000, v7
	v_cndmask_b32_e64 v1, v12, v1, s[40:41]
	v_cndmask_b32_e32 v1, v7, v1, vcc
	v_cmp_ne_u32_e32 vcc, s97, v0
	v_bfrev_b32_e32 v0, 1
	v_cndmask_b32_e32 v0, v0, v1, vcc
	v_cmp_lt_u32_e32 vcc, s57, v8
	v_cndmask_b32_e32 v0, 0, v0, vcc
	v_add_f32_e32 v6, v0, v6
	v_and_b32_e32 v12, 0x7f800000, v6
	v_mov_b32_e32 v13, v33
	v_cmp_ne_u64_e32 vcc, s[76:77], v[12:13]
	v_and_b32_e32 v0, 0x7fffff, v6
	v_mov_b32_e32 v1, v33
                                        ; implicit-def: $vgpr35
	s_and_saveexec_b64 s[40:41], vcc
	s_xor_b64 s[42:43], exec, s[40:41]
	s_cbranch_execz .LBB6_17873
; %bb.17860:                            ;   in Loop: Header=BB6_17293 Depth=3
	v_and_b32_e32 v12, 0x7fffffff, v6
	v_mov_b32_e32 v13, v33
	v_cmp_gt_u64_e32 vcc, s[78:79], v[12:13]
	v_and_b32_sdwa v12, v6, s97 dst_sel:DWORD dst_unused:UNUSED_PAD src0_sel:BYTE_3 src1_sel:DWORD
                                        ; implicit-def: $vgpr35
	s_and_saveexec_b64 s[40:41], vcc
	s_xor_b64 s[38:39], exec, s[40:41]
	s_cbranch_execz .LBB6_17870
; %bb.17861:                            ;   in Loop: Header=BB6_17293 Depth=3
	v_mov_b32_e32 v35, 0
	v_cmp_ne_u32_e32 vcc, 0, v6
	s_and_saveexec_b64 s[48:49], vcc
	s_cbranch_execz .LBB6_17869
; %bb.17862:                            ;   in Loop: Header=BB6_17293 Depth=3
	v_bfe_u32 v13, v6, 23, 8
	v_cmp_gt_u32_e64 s[40:41], s47, v13
	v_sub_u32_e32 v6, 0x71, v13
	v_cmp_eq_u32_e32 vcc, 0, v13
	v_cndmask_b32_e64 v6, 0, v6, s[40:41]
	v_mov_b32_e32 v35, 0x70
	v_cndmask_b32_e32 v35, v6, v35, vcc
	v_or_b32_e32 v7, 0x800000, v0
	v_add_u32_e32 v6, 21, v35
	v_cndmask_b32_e32 v0, v7, v0, vcc
	v_lshlrev_b64 v[6:7], v6, -1
	v_add_u32_e32 v50, 20, v35
	v_bfi_b32 v6, v6, 0, v0
	v_lshlrev_b64 v[50:51], v50, 1
	v_lshrrev_b64 v[0:1], v35, v[0:1]
	v_bfi_b32 v7, v7, 0, 0
	v_cmp_eq_u64_e64 s[40:41], v[6:7], v[50:51]
	v_mov_b32_e32 v7, v1
	v_mov_b32_e32 v6, v0
	s_and_saveexec_b64 s[50:51], s[40:41]
; %bb.17863:                            ;   in Loop: Header=BB6_17293 Depth=3
	v_bfe_u32 v1, v0, 21, 1
	v_add_co_u32_e64 v1, s[40:41], v0, v1
	v_add_co_u32_e64 v6, s[40:41], -1, v1
; %bb.17864:                            ;   in Loop: Header=BB6_17293 Depth=3
	s_or_b64 exec, exec, s[50:51]
	v_add_u32_e32 v1, 0xffffff81, v13
	v_mov_b32_e32 v7, 0xffffff82
	v_cndmask_b32_e32 v1, v1, v7, vcc
	v_lshrrev_b32_e32 v7, 23, v0
	v_add3_u32 v13, v35, v1, v7
	v_add_u32_e32 v7, 14, v13
	v_and_b32_e32 v1, 0x1fffff, v6
	v_add_u32_e32 v0, v1, v0
	v_mov_b32_e32 v1, v33
	v_cmp_ne_u32_e32 vcc, 0, v7
                                        ; implicit-def: $vgpr6
	s_and_saveexec_b64 s[40:41], vcc
	s_xor_b64 s[40:41], exec, s[40:41]
; %bb.17865:                            ;   in Loop: Header=BB6_17293 Depth=3
	v_cmp_lt_u64_e32 vcc, s[88:89], v[0:1]
	v_add_u32_e32 v6, 15, v13
	v_cndmask_b32_e32 v6, v7, v6, vcc
	v_cndmask_b32_e64 v7, 0, 1, vcc
	v_lshrrev_b64 v[0:1], v7, v[0:1]
; %bb.17866:                            ;   in Loop: Header=BB6_17293 Depth=3
	s_andn2_saveexec_b64 s[40:41], s[40:41]
; %bb.17867:                            ;   in Loop: Header=BB6_17293 Depth=3
	v_bfe_u32 v6, v0, 23, 1
; %bb.17868:                            ;   in Loop: Header=BB6_17293 Depth=3
	s_or_b64 exec, exec, s[40:41]
	v_lshrrev_b64 v[0:1], 21, v[0:1]
	v_cmp_gt_i32_e32 vcc, 32, v6
	v_cndmask_b32_e32 v1, 0, v1, vcc
	v_cndmask_b32_e32 v0, 3, v0, vcc
	v_cmp_eq_u64_e64 s[40:41], 0, v[0:1]
	v_min_i32_e32 v1, 31, v6
	v_lshlrev_b32_e32 v1, 2, v1
	v_cmp_eq_u32_e32 vcc, 0, v6
	v_and_b32_e32 v1, 0xfc, v1
	v_and_or_b32 v0, v0, 3, v1
	s_and_b64 s[40:41], vcc, s[40:41]
	v_cndmask_b32_e64 v0, v0, 0, s[40:41]
	v_or_b32_e32 v35, v0, v12
.LBB6_17869:                            ;   in Loop: Header=BB6_17293 Depth=3
	s_or_b64 exec, exec, s[48:49]
                                        ; implicit-def: $vgpr12
.LBB6_17870:                            ;   in Loop: Header=BB6_17293 Depth=3
	s_andn2_saveexec_b64 s[40:41], s[38:39]
; %bb.17871:                            ;   in Loop: Header=BB6_17293 Depth=3
	v_or_b32_e32 v35, 0x7b, v12
; %bb.17872:                            ;   in Loop: Header=BB6_17293 Depth=3
	s_or_b64 exec, exec, s[40:41]
                                        ; implicit-def: $vgpr6
                                        ; implicit-def: $vgpr0_vgpr1
.LBB6_17873:                            ;   in Loop: Header=BB6_17293 Depth=3
	s_andn2_saveexec_b64 s[40:41], s[42:43]
	s_cbranch_execz .LBB6_17879
; %bb.17874:                            ;   in Loop: Header=BB6_17293 Depth=3
	v_cmp_ne_u64_e32 vcc, 0, v[0:1]
                                        ; implicit-def: $vgpr35
	s_and_saveexec_b64 s[42:43], vcc
	s_xor_b64 s[42:43], exec, s[42:43]
; %bb.17875:                            ;   in Loop: Header=BB6_17293 Depth=3
	v_or_b32_sdwa v35, v6, s44 dst_sel:DWORD dst_unused:UNUSED_PAD src0_sel:BYTE_3 src1_sel:DWORD
                                        ; implicit-def: $vgpr6
; %bb.17876:                            ;   in Loop: Header=BB6_17293 Depth=3
	s_andn2_saveexec_b64 s[42:43], s[42:43]
; %bb.17877:                            ;   in Loop: Header=BB6_17293 Depth=3
	v_cmp_lt_i32_e32 vcc, -1, v6
	v_bfrev_b32_e32 v0, 0.5
	v_mov_b32_e32 v1, 0x7c
	v_cndmask_b32_e32 v35, v0, v1, vcc
; %bb.17878:                            ;   in Loop: Header=BB6_17293 Depth=3
	s_or_b64 exec, exec, s[42:43]
.LBB6_17879:                            ;   in Loop: Header=BB6_17293 Depth=3
	s_or_b64 exec, exec, s[40:41]
	v_lshl_or_b32 v38, v38, 8, v14
	v_lshlrev_b32_e32 v0, 16, v48
	v_lshlrev_b32_e32 v1, 24, v49
	v_or3_b32 v0, v0, v1, v38
	v_mov_b32_e32 v1, v33
	v_cmp_ne_u32_e32 vcc, 0, v14
	v_mov_b32_e32 v12, 0
	s_and_saveexec_b64 s[42:43], vcc
	s_cbranch_execz .LBB6_17887
; %bb.17880:                            ;   in Loop: Header=BB6_17293 Depth=3
	v_cmp_ne_u32_e32 vcc, s97, v14
	v_bfrev_b32_e32 v12, 1
	s_and_saveexec_b64 s[38:39], vcc
	s_cbranch_execz .LBB6_17886
; %bb.17881:                            ;   in Loop: Header=BB6_17293 Depth=3
	v_and_b32_e32 v7, 0x7c, v14
	v_and_b32_e32 v6, 3, v14
	v_cmp_ne_u32_e32 vcc, s86, v7
                                        ; implicit-def: $vgpr12
	s_and_saveexec_b64 s[40:41], vcc
	s_xor_b64 s[40:41], exec, s[40:41]
	s_cbranch_execz .LBB6_17883
; %bb.17882:                            ;   in Loop: Header=BB6_17293 Depth=3
	v_ffbh_u32_e32 v12, v6
	v_min_u32_e32 v48, 32, v12
	v_bfe_u32 v7, v14, 2, 5
	v_subrev_u32_e32 v12, 29, v48
	v_lshlrev_b64 v[12:13], v12, v[0:1]
	v_sub_u32_e32 v1, 30, v48
	v_cmp_eq_u32_e32 vcc, 0, v7
	v_cndmask_b32_e32 v1, v7, v1, vcc
	v_lshlrev_b32_e32 v7, 24, v14
	v_and_b32_e32 v12, 3, v12
	v_and_b32_e32 v7, 0x80000000, v7
	v_cndmask_b32_e32 v6, v6, v12, vcc
	v_lshl_add_u32 v1, v1, 23, v7
	v_lshl_or_b32 v1, v6, 21, v1
	v_add_u32_e32 v12, 0x38000000, v1
                                        ; implicit-def: $vgpr6
                                        ; implicit-def: $vgpr14
.LBB6_17883:                            ;   in Loop: Header=BB6_17293 Depth=3
	s_andn2_saveexec_b64 s[48:49], s[40:41]
; %bb.17884:                            ;   in Loop: Header=BB6_17293 Depth=3
	v_and_b32_e32 v1, 0x80, v14
	v_cmp_eq_u32_e32 vcc, 0, v6
	v_cmp_eq_u32_e64 s[40:41], 0, v1
	v_mov_b32_e32 v1, 0xff800000
	v_mov_b32_e32 v6, 0x7f800000
	v_cndmask_b32_e64 v1, v1, v6, s[40:41]
	v_mov_b32_e32 v6, 0x7f800001
	v_cndmask_b32_e32 v12, v6, v1, vcc
; %bb.17885:                            ;   in Loop: Header=BB6_17293 Depth=3
	s_or_b64 exec, exec, s[48:49]
.LBB6_17886:                            ;   in Loop: Header=BB6_17293 Depth=3
	s_or_b64 exec, exec, s[38:39]
.LBB6_17887:                            ;   in Loop: Header=BB6_17293 Depth=3
	s_or_b64 exec, exec, s[42:43]
	v_cmp_gt_i16_sdwa s[42:43], v9, s44 src0_sel:BYTE_0 src1_sel:DWORD
	s_mov_b64 s[40:41], 0
	s_and_saveexec_b64 s[62:63], s[42:43]
	s_xor_b64 s[42:43], exec, s[62:63]
	s_cbranch_execz .LBB6_17891
; %bb.17888:                            ;   in Loop: Header=BB6_17293 Depth=3
	v_cmp_eq_u16_sdwa s[62:63], v9, s97 src0_sel:BYTE_0 src1_sel:DWORD
	s_mov_b64 s[40:41], -1
	s_and_saveexec_b64 vcc, s[62:63]
; %bb.17889:                            ;   in Loop: Header=BB6_17293 Depth=3
	s_xor_b64 s[40:41], exec, -1
; %bb.17890:                            ;   in Loop: Header=BB6_17293 Depth=3
	s_or_b64 exec, exec, vcc
	s_and_b64 s[40:41], s[40:41], exec
.LBB6_17891:                            ;   in Loop: Header=BB6_17293 Depth=3
	s_or_saveexec_b64 s[42:43], s[42:43]
	v_bfrev_b32_e32 v1, 1
	s_xor_b64 exec, exec, s[42:43]
; %bb.17892:                            ;   in Loop: Header=BB6_17293 Depth=3
	v_cmp_ne_u16_sdwa s[62:63], v9, v33 src0_sel:BYTE_0 src1_sel:DWORD
	s_andn2_b64 s[40:41], s[40:41], exec
	s_and_b64 s[62:63], s[62:63], exec
	v_mov_b32_e32 v1, 0
	s_or_b64 s[40:41], s[40:41], s[62:63]
; %bb.17893:                            ;   in Loop: Header=BB6_17293 Depth=3
	s_or_b64 exec, exec, s[42:43]
	v_mov_b32_e32 v6, v9
	v_mov_b32_e32 v7, v33
	s_and_saveexec_b64 s[38:39], s[40:41]
	s_cbranch_execz .LBB6_17895
; %bb.17894:                            ;   in Loop: Header=BB6_17293 Depth=3
	v_and_b32_e32 v1, 3, v9
	v_and_b32_e32 v13, 0x7c, v9
	v_cmp_eq_u32_e32 vcc, s86, v13
	v_ffbh_u32_e32 v13, v1
	v_min_u32_e32 v49, 32, v13
	v_subrev_u32_e32 v13, 29, v49
	v_bfe_u32 v48, v9, 2, 5
	v_lshlrev_b64 v[13:14], v13, v[6:7]
	v_cmp_eq_u32_e64 s[40:41], 0, v48
	v_sub_u32_e32 v7, 30, v49
	v_lshlrev_b32_e32 v14, 24, v9
	v_and_b32_e32 v13, 3, v13
	v_cndmask_b32_e64 v7, v48, v7, s[40:41]
	v_and_b32_e32 v14, 0x80000000, v14
	v_cndmask_b32_e64 v13, v1, v13, s[40:41]
	v_lshl_add_u32 v7, v7, 23, v14
	v_cmp_eq_u32_e64 s[40:41], 0, v1
	v_mov_b32_e32 v1, -1
	v_lshl_or_b32 v7, v13, 21, v7
	v_cmp_gt_i16_sdwa s[42:43], sext(v9), v1 src0_sel:BYTE_0 src1_sel:DWORD
	v_mov_b32_e32 v1, 0xff800000
	v_mov_b32_e32 v13, 0x7f800000
	v_cndmask_b32_e64 v1, v1, v13, s[42:43]
	v_mov_b32_e32 v13, 0x7f800001
	v_add_u32_e32 v7, 0x38000000, v7
	v_cndmask_b32_e64 v1, v13, v1, s[40:41]
	v_cndmask_b32_e32 v1, v7, v1, vcc
.LBB6_17895:                            ;   in Loop: Header=BB6_17293 Depth=3
	s_or_b64 exec, exec, s[38:39]
	v_add_f32_e32 v7, v12, v1
	v_and_b32_e32 v13, 0x7f800000, v7
	v_mov_b32_e32 v14, v33
	v_cmp_ne_u64_e32 vcc, s[76:77], v[13:14]
	v_and_b32_e32 v12, 0x7fffff, v7
	v_mov_b32_e32 v13, v33
                                        ; implicit-def: $vgpr14
	s_and_saveexec_b64 s[40:41], vcc
	s_xor_b64 s[42:43], exec, s[40:41]
	s_cbranch_execz .LBB6_17909
; %bb.17896:                            ;   in Loop: Header=BB6_17293 Depth=3
	v_and_b32_e32 v48, 0x7fffffff, v7
	v_mov_b32_e32 v49, v33
	v_cmp_gt_u64_e32 vcc, s[78:79], v[48:49]
	v_and_b32_sdwa v1, v7, s97 dst_sel:DWORD dst_unused:UNUSED_PAD src0_sel:BYTE_3 src1_sel:DWORD
                                        ; implicit-def: $vgpr14
	s_and_saveexec_b64 s[40:41], vcc
	s_xor_b64 s[38:39], exec, s[40:41]
	s_cbranch_execz .LBB6_17906
; %bb.17897:                            ;   in Loop: Header=BB6_17293 Depth=3
	v_mov_b32_e32 v14, 0
	v_cmp_ne_u32_e32 vcc, 0, v7
	s_and_saveexec_b64 s[48:49], vcc
	s_cbranch_execz .LBB6_17905
; %bb.17898:                            ;   in Loop: Header=BB6_17293 Depth=3
	v_bfe_u32 v7, v7, 23, 8
	v_cmp_gt_u32_e64 s[40:41], s47, v7
	v_sub_u32_e32 v14, 0x71, v7
	v_cmp_eq_u32_e32 vcc, 0, v7
	v_cndmask_b32_e64 v14, 0, v14, s[40:41]
	v_mov_b32_e32 v48, 0x70
	v_cndmask_b32_e32 v48, v14, v48, vcc
	v_or_b32_e32 v49, 0x800000, v12
	v_add_u32_e32 v14, 21, v48
	v_cndmask_b32_e32 v12, v49, v12, vcc
	v_lshlrev_b64 v[49:50], v14, -1
	v_add_u32_e32 v14, 20, v48
	v_bfi_b32 v49, v49, 0, v12
	v_lshlrev_b64 v[51:52], v14, 1
	v_lshrrev_b64 v[12:13], v48, v[12:13]
	v_bfi_b32 v50, v50, 0, 0
	v_cmp_eq_u64_e64 s[40:41], v[49:50], v[51:52]
	v_mov_b32_e32 v14, v13
	v_mov_b32_e32 v13, v12
	s_and_saveexec_b64 s[50:51], s[40:41]
; %bb.17899:                            ;   in Loop: Header=BB6_17293 Depth=3
	v_bfe_u32 v13, v12, 21, 1
	v_add_co_u32_e64 v13, s[40:41], v12, v13
	v_add_co_u32_e64 v13, s[40:41], -1, v13
; %bb.17900:                            ;   in Loop: Header=BB6_17293 Depth=3
	s_or_b64 exec, exec, s[50:51]
	v_add_u32_e32 v7, 0xffffff81, v7
	v_mov_b32_e32 v14, 0xffffff82
	v_cndmask_b32_e32 v7, v7, v14, vcc
	v_lshrrev_b32_e32 v14, 23, v12
	v_add3_u32 v48, v48, v7, v14
	v_add_u32_e32 v14, 14, v48
	v_and_b32_e32 v7, 0x1fffff, v13
	v_add_u32_e32 v12, v7, v12
	v_mov_b32_e32 v13, v33
	v_cmp_ne_u32_e32 vcc, 0, v14
                                        ; implicit-def: $vgpr7
	s_and_saveexec_b64 s[40:41], vcc
	s_xor_b64 s[40:41], exec, s[40:41]
; %bb.17901:                            ;   in Loop: Header=BB6_17293 Depth=3
	v_cmp_lt_u64_e32 vcc, s[88:89], v[12:13]
	v_add_u32_e32 v7, 15, v48
	v_cndmask_b32_e32 v7, v14, v7, vcc
	v_cndmask_b32_e64 v14, 0, 1, vcc
	v_lshrrev_b64 v[12:13], v14, v[12:13]
; %bb.17902:                            ;   in Loop: Header=BB6_17293 Depth=3
	s_andn2_saveexec_b64 s[40:41], s[40:41]
; %bb.17903:                            ;   in Loop: Header=BB6_17293 Depth=3
	v_bfe_u32 v7, v12, 23, 1
; %bb.17904:                            ;   in Loop: Header=BB6_17293 Depth=3
	s_or_b64 exec, exec, s[40:41]
	v_lshrrev_b64 v[12:13], 21, v[12:13]
	v_cmp_gt_i32_e32 vcc, 32, v7
	v_cndmask_b32_e32 v13, 0, v13, vcc
	v_cndmask_b32_e32 v12, 3, v12, vcc
	v_cmp_eq_u32_e32 vcc, 0, v7
	v_min_i32_e32 v7, 31, v7
	v_cmp_eq_u64_e64 s[40:41], 0, v[12:13]
	v_lshlrev_b32_e32 v7, 2, v7
	v_and_b32_e32 v7, 0xfc, v7
	v_and_or_b32 v7, v12, 3, v7
	s_and_b64 s[40:41], vcc, s[40:41]
	v_cndmask_b32_e64 v7, v7, 0, s[40:41]
	v_or_b32_e32 v14, v7, v1
.LBB6_17905:                            ;   in Loop: Header=BB6_17293 Depth=3
	s_or_b64 exec, exec, s[48:49]
                                        ; implicit-def: $vgpr1
.LBB6_17906:                            ;   in Loop: Header=BB6_17293 Depth=3
	s_andn2_saveexec_b64 s[40:41], s[38:39]
; %bb.17907:                            ;   in Loop: Header=BB6_17293 Depth=3
	v_or_b32_e32 v14, 0x7b, v1
; %bb.17908:                            ;   in Loop: Header=BB6_17293 Depth=3
	s_or_b64 exec, exec, s[40:41]
                                        ; implicit-def: $vgpr7
                                        ; implicit-def: $vgpr12_vgpr13
.LBB6_17909:                            ;   in Loop: Header=BB6_17293 Depth=3
	s_andn2_saveexec_b64 s[40:41], s[42:43]
	s_cbranch_execz .LBB6_17915
; %bb.17910:                            ;   in Loop: Header=BB6_17293 Depth=3
	v_cmp_ne_u64_e32 vcc, 0, v[12:13]
                                        ; implicit-def: $vgpr14
	s_and_saveexec_b64 s[42:43], vcc
	s_xor_b64 s[42:43], exec, s[42:43]
; %bb.17911:                            ;   in Loop: Header=BB6_17293 Depth=3
	v_or_b32_sdwa v14, v7, s44 dst_sel:DWORD dst_unused:UNUSED_PAD src0_sel:BYTE_3 src1_sel:DWORD
                                        ; implicit-def: $vgpr7
; %bb.17912:                            ;   in Loop: Header=BB6_17293 Depth=3
	s_andn2_saveexec_b64 s[42:43], s[42:43]
; %bb.17913:                            ;   in Loop: Header=BB6_17293 Depth=3
	v_cmp_lt_i32_e32 vcc, -1, v7
	v_bfrev_b32_e32 v1, 0.5
	v_mov_b32_e32 v7, 0x7c
	v_cndmask_b32_e32 v14, v1, v7, vcc
; %bb.17914:                            ;   in Loop: Header=BB6_17293 Depth=3
	s_or_b64 exec, exec, s[42:43]
.LBB6_17915:                            ;   in Loop: Header=BB6_17293 Depth=3
	s_or_b64 exec, exec, s[40:41]
	v_lshrrev_b16_e32 v12, 8, v38
	v_cmp_ne_u16_e32 vcc, 0, v12
	v_mov_b32_e32 v1, 0
	s_and_saveexec_b64 s[40:41], vcc
	s_cbranch_execz .LBB6_17923
; %bb.17916:                            ;   in Loop: Header=BB6_17293 Depth=3
	v_cmp_ne_u16_e32 vcc, s97, v12
	v_bfrev_b32_e32 v1, 1
	s_and_saveexec_b64 s[42:43], vcc
	s_cbranch_execz .LBB6_17922
; %bb.17917:                            ;   in Loop: Header=BB6_17293 Depth=3
	v_and_b32_e32 v1, 0x7c, v12
	v_and_b32_e32 v7, 3, v12
	v_cmp_ne_u32_e32 vcc, s86, v1
                                        ; implicit-def: $vgpr1
	s_and_saveexec_b64 s[62:63], vcc
	s_xor_b64 s[38:39], exec, s[62:63]
	s_cbranch_execz .LBB6_17919
; %bb.17918:                            ;   in Loop: Header=BB6_17293 Depth=3
	v_ffbh_u32_e32 v48, v7
	v_min_u32_e32 v48, 32, v48
	v_mov_b32_e32 v13, v33
	v_subrev_u32_e32 v49, 29, v48
	v_bfe_u32 v1, v12, 2, 5
	v_lshlrev_b64 v[12:13], v49, v[12:13]
	v_cmp_eq_u32_e32 vcc, 0, v1
	v_and_b32_e32 v12, 3, v12
	v_sub_u32_e32 v13, 30, v48
	v_cndmask_b32_e32 v7, v7, v12, vcc
	v_lshlrev_b32_e32 v12, 16, v38
	v_cndmask_b32_e32 v1, v1, v13, vcc
	v_and_b32_e32 v12, 0x80000000, v12
	v_lshl_add_u32 v1, v1, 23, v12
	v_lshl_or_b32 v1, v7, 21, v1
	v_add_u32_e32 v1, 0x38000000, v1
                                        ; implicit-def: $vgpr7
                                        ; implicit-def: $vgpr38
.LBB6_17919:                            ;   in Loop: Header=BB6_17293 Depth=3
	s_andn2_saveexec_b64 s[38:39], s[38:39]
; %bb.17920:                            ;   in Loop: Header=BB6_17293 Depth=3
	v_cmp_lt_i16_e32 vcc, -1, v38
	v_mov_b32_e32 v1, 0xff800000
	v_mov_b32_e32 v12, 0x7f800000
	v_cndmask_b32_e32 v1, v1, v12, vcc
	v_cmp_eq_u32_e32 vcc, 0, v7
	v_mov_b32_e32 v7, 0x7f800001
	v_cndmask_b32_e32 v1, v7, v1, vcc
; %bb.17921:                            ;   in Loop: Header=BB6_17293 Depth=3
	s_or_b64 exec, exec, s[38:39]
.LBB6_17922:                            ;   in Loop: Header=BB6_17293 Depth=3
	s_or_b64 exec, exec, s[42:43]
.LBB6_17923:                            ;   in Loop: Header=BB6_17293 Depth=3
	s_or_b64 exec, exec, s[40:41]
	v_lshrrev_b16_e32 v12, 8, v6
	v_cmp_lt_i16_e32 vcc, s44, v12
	s_mov_b64 s[40:41], 0
	s_and_saveexec_b64 s[42:43], vcc
	s_xor_b64 s[42:43], exec, s[42:43]
	s_cbranch_execz .LBB6_18282
; %bb.17924:                            ;   in Loop: Header=BB6_17293 Depth=3
	v_cmp_eq_u16_e32 vcc, s97, v12
	s_mov_b64 s[40:41], -1
	s_and_saveexec_b64 s[38:39], vcc
; %bb.17925:                            ;   in Loop: Header=BB6_17293 Depth=3
	s_xor_b64 s[40:41], exec, -1
; %bb.17926:                            ;   in Loop: Header=BB6_17293 Depth=3
	s_or_b64 exec, exec, s[38:39]
	s_and_b64 s[40:41], s[40:41], exec
	s_or_saveexec_b64 s[42:43], s[42:43]
	v_bfrev_b32_e32 v7, 1
	s_xor_b64 exec, exec, s[42:43]
	s_cbranch_execnz .LBB6_18283
.LBB6_17927:                            ;   in Loop: Header=BB6_17293 Depth=3
	s_or_b64 exec, exec, s[42:43]
	s_and_saveexec_b64 s[38:39], s[40:41]
	s_cbranch_execz .LBB6_17929
.LBB6_17928:                            ;   in Loop: Header=BB6_17293 Depth=3
	v_and_b32_e32 v7, 3, v12
	v_and_b32_e32 v48, 0x7c, v12
	v_cmp_eq_u32_e32 vcc, s86, v48
	v_ffbh_u32_e32 v48, v7
	v_min_u32_e32 v50, 32, v48
	v_mov_b32_e32 v13, v33
	v_subrev_u32_e32 v48, 29, v50
	v_bfe_u32 v38, v12, 2, 5
	v_lshlrev_b64 v[48:49], v48, v[12:13]
	v_cmp_eq_u32_e64 s[40:41], 0, v38
	v_sub_u32_e32 v13, 30, v50
	v_lshlrev_b32_e32 v12, 24, v12
	v_and_b32_e32 v48, 3, v48
	v_cndmask_b32_e64 v13, v38, v13, s[40:41]
	v_and_b32_e32 v12, 0x80000000, v12
	v_cndmask_b32_e64 v38, v7, v48, s[40:41]
	v_lshl_add_u32 v12, v13, 23, v12
	v_cmp_eq_u32_e64 s[40:41], 0, v7
	v_cmp_lt_i16_e64 s[42:43], -1, v6
	v_mov_b32_e32 v6, 0xff800000
	v_mov_b32_e32 v7, 0x7f800000
	v_lshl_or_b32 v12, v38, 21, v12
	v_cndmask_b32_e64 v6, v6, v7, s[42:43]
	v_mov_b32_e32 v7, 0x7f800001
	v_add_u32_e32 v12, 0x38000000, v12
	v_cndmask_b32_e64 v6, v7, v6, s[40:41]
	v_cndmask_b32_e32 v7, v12, v6, vcc
.LBB6_17929:                            ;   in Loop: Header=BB6_17293 Depth=3
	s_or_b64 exec, exec, s[38:39]
	v_add_f32_e32 v12, v1, v7
	v_and_b32_e32 v48, 0x7f800000, v12
	v_mov_b32_e32 v49, v33
	v_cmp_ne_u64_e32 vcc, s[76:77], v[48:49]
	v_and_b32_e32 v6, 0x7fffff, v12
	v_mov_b32_e32 v7, v33
                                        ; implicit-def: $vgpr38
	s_and_saveexec_b64 s[40:41], vcc
	s_xor_b64 s[42:43], exec, s[40:41]
	s_cbranch_execz .LBB6_17943
; %bb.17930:                            ;   in Loop: Header=BB6_17293 Depth=3
	v_and_b32_e32 v48, 0x7fffffff, v12
	v_mov_b32_e32 v49, v33
	v_cmp_gt_u64_e32 vcc, s[78:79], v[48:49]
	v_and_b32_sdwa v1, v12, s97 dst_sel:DWORD dst_unused:UNUSED_PAD src0_sel:BYTE_3 src1_sel:DWORD
                                        ; implicit-def: $vgpr38
	s_and_saveexec_b64 s[40:41], vcc
	s_xor_b64 s[38:39], exec, s[40:41]
	s_cbranch_execz .LBB6_17940
; %bb.17931:                            ;   in Loop: Header=BB6_17293 Depth=3
	v_mov_b32_e32 v38, 0
	v_cmp_ne_u32_e32 vcc, 0, v12
	s_and_saveexec_b64 s[48:49], vcc
	s_cbranch_execz .LBB6_17939
; %bb.17932:                            ;   in Loop: Header=BB6_17293 Depth=3
	v_bfe_u32 v38, v12, 23, 8
	v_cmp_gt_u32_e64 s[40:41], s47, v38
	v_sub_u32_e32 v12, 0x71, v38
	v_cmp_eq_u32_e32 vcc, 0, v38
	v_cndmask_b32_e64 v12, 0, v12, s[40:41]
	v_mov_b32_e32 v48, 0x70
	v_cndmask_b32_e32 v48, v12, v48, vcc
	v_or_b32_e32 v13, 0x800000, v6
	v_add_u32_e32 v12, 21, v48
	v_cndmask_b32_e32 v6, v13, v6, vcc
	v_lshlrev_b64 v[12:13], v12, -1
	v_add_u32_e32 v49, 20, v48
	v_bfi_b32 v12, v12, 0, v6
	v_lshlrev_b64 v[49:50], v49, 1
	v_lshrrev_b64 v[6:7], v48, v[6:7]
	v_bfi_b32 v13, v13, 0, 0
	v_cmp_eq_u64_e64 s[40:41], v[12:13], v[49:50]
	v_mov_b32_e32 v13, v7
	v_mov_b32_e32 v12, v6
	s_and_saveexec_b64 s[50:51], s[40:41]
; %bb.17933:                            ;   in Loop: Header=BB6_17293 Depth=3
	v_bfe_u32 v7, v6, 21, 1
	v_add_co_u32_e64 v7, s[40:41], v6, v7
	v_add_co_u32_e64 v12, s[40:41], -1, v7
; %bb.17934:                            ;   in Loop: Header=BB6_17293 Depth=3
	s_or_b64 exec, exec, s[50:51]
	v_add_u32_e32 v7, 0xffffff81, v38
	v_mov_b32_e32 v13, 0xffffff82
	v_cndmask_b32_e32 v7, v7, v13, vcc
	v_lshrrev_b32_e32 v13, 23, v6
	v_add3_u32 v38, v48, v7, v13
	v_add_u32_e32 v13, 14, v38
	v_and_b32_e32 v7, 0x1fffff, v12
	v_add_u32_e32 v6, v7, v6
	v_mov_b32_e32 v7, v33
	v_cmp_ne_u32_e32 vcc, 0, v13
                                        ; implicit-def: $vgpr12
	s_and_saveexec_b64 s[40:41], vcc
	s_xor_b64 s[40:41], exec, s[40:41]
; %bb.17935:                            ;   in Loop: Header=BB6_17293 Depth=3
	v_cmp_lt_u64_e32 vcc, s[88:89], v[6:7]
	v_add_u32_e32 v12, 15, v38
	v_cndmask_b32_e32 v12, v13, v12, vcc
	v_cndmask_b32_e64 v13, 0, 1, vcc
	v_lshrrev_b64 v[6:7], v13, v[6:7]
; %bb.17936:                            ;   in Loop: Header=BB6_17293 Depth=3
	s_andn2_saveexec_b64 s[40:41], s[40:41]
; %bb.17937:                            ;   in Loop: Header=BB6_17293 Depth=3
	v_bfe_u32 v12, v6, 23, 1
; %bb.17938:                            ;   in Loop: Header=BB6_17293 Depth=3
	s_or_b64 exec, exec, s[40:41]
	v_lshrrev_b64 v[6:7], 21, v[6:7]
	v_cmp_gt_i32_e32 vcc, 32, v12
	v_cndmask_b32_e32 v7, 0, v7, vcc
	v_cndmask_b32_e32 v6, 3, v6, vcc
	v_cmp_eq_u64_e64 s[40:41], 0, v[6:7]
	v_min_i32_e32 v7, 31, v12
	v_lshlrev_b32_e32 v7, 2, v7
	v_cmp_eq_u32_e32 vcc, 0, v12
	v_and_b32_e32 v7, 0xfc, v7
	v_and_or_b32 v6, v6, 3, v7
	s_and_b64 s[40:41], vcc, s[40:41]
	v_cndmask_b32_e64 v6, v6, 0, s[40:41]
	v_or_b32_e32 v38, v6, v1
.LBB6_17939:                            ;   in Loop: Header=BB6_17293 Depth=3
	s_or_b64 exec, exec, s[48:49]
                                        ; implicit-def: $vgpr1
.LBB6_17940:                            ;   in Loop: Header=BB6_17293 Depth=3
	s_andn2_saveexec_b64 s[40:41], s[38:39]
; %bb.17941:                            ;   in Loop: Header=BB6_17293 Depth=3
	v_or_b32_e32 v38, 0x7b, v1
; %bb.17942:                            ;   in Loop: Header=BB6_17293 Depth=3
	s_or_b64 exec, exec, s[40:41]
                                        ; implicit-def: $vgpr12
                                        ; implicit-def: $vgpr6_vgpr7
.LBB6_17943:                            ;   in Loop: Header=BB6_17293 Depth=3
	s_andn2_saveexec_b64 s[40:41], s[42:43]
	s_cbranch_execz .LBB6_17949
; %bb.17944:                            ;   in Loop: Header=BB6_17293 Depth=3
	v_cmp_ne_u64_e32 vcc, 0, v[6:7]
                                        ; implicit-def: $vgpr38
	s_and_saveexec_b64 s[42:43], vcc
	s_xor_b64 s[42:43], exec, s[42:43]
; %bb.17945:                            ;   in Loop: Header=BB6_17293 Depth=3
	v_or_b32_sdwa v38, v12, s44 dst_sel:DWORD dst_unused:UNUSED_PAD src0_sel:BYTE_3 src1_sel:DWORD
                                        ; implicit-def: $vgpr12
; %bb.17946:                            ;   in Loop: Header=BB6_17293 Depth=3
	s_andn2_saveexec_b64 s[42:43], s[42:43]
; %bb.17947:                            ;   in Loop: Header=BB6_17293 Depth=3
	v_cmp_lt_i32_e32 vcc, -1, v12
	v_bfrev_b32_e32 v1, 0.5
	v_mov_b32_e32 v6, 0x7c
	v_cndmask_b32_e32 v38, v1, v6, vcc
; %bb.17948:                            ;   in Loop: Header=BB6_17293 Depth=3
	s_or_b64 exec, exec, s[42:43]
.LBB6_17949:                            ;   in Loop: Header=BB6_17293 Depth=3
	s_or_b64 exec, exec, s[40:41]
	v_and_b32_sdwa v7, v0, s96 dst_sel:DWORD dst_unused:UNUSED_PAD src0_sel:WORD_1 src1_sel:DWORD
	v_lshrrev_b32_e32 v1, 16, v0
	v_cmp_ne_u16_e32 vcc, 0, v7
	v_mov_b32_e32 v6, 0
	s_and_saveexec_b64 s[40:41], vcc
	s_cbranch_execz .LBB6_17957
; %bb.17950:                            ;   in Loop: Header=BB6_17293 Depth=3
	v_cmp_ne_u16_e32 vcc, s97, v7
	v_bfrev_b32_e32 v6, 1
	s_and_saveexec_b64 s[42:43], vcc
	s_cbranch_execz .LBB6_17956
; %bb.17951:                            ;   in Loop: Header=BB6_17293 Depth=3
	v_and_b32_e32 v6, 0x7c0000, v0
	v_bfe_u32 v7, v0, 16, 2
	v_cmp_ne_u32_e32 vcc, s45, v6
                                        ; implicit-def: $vgpr6
	s_and_saveexec_b64 s[62:63], vcc
	s_xor_b64 s[38:39], exec, s[62:63]
	s_cbranch_execz .LBB6_17953
; %bb.17952:                            ;   in Loop: Header=BB6_17293 Depth=3
	v_ffbh_u32_e32 v12, v7
	v_min_u32_e32 v48, 32, v12
	v_subrev_u32_e32 v12, 29, v48
	v_lshlrev_b64 v[12:13], v12, v[1:2]
	v_bfe_u32 v6, v0, 18, 5
	v_sub_u32_e32 v1, 30, v48
	v_and_b32_e32 v12, 3, v12
	v_cmp_eq_u32_e32 vcc, 0, v6
	v_cndmask_b32_e32 v1, v6, v1, vcc
	v_cndmask_b32_e32 v6, v7, v12, vcc
	v_lshlrev_b32_e32 v7, 8, v0
	v_and_b32_e32 v7, 0x80000000, v7
	v_lshl_add_u32 v1, v1, 23, v7
	v_lshl_or_b32 v1, v6, 21, v1
	v_add_u32_e32 v6, 0x38000000, v1
                                        ; implicit-def: $vgpr7
                                        ; implicit-def: $vgpr1
.LBB6_17953:                            ;   in Loop: Header=BB6_17293 Depth=3
	s_andn2_saveexec_b64 s[38:39], s[38:39]
; %bb.17954:                            ;   in Loop: Header=BB6_17293 Depth=3
	v_mov_b32_e32 v6, -1
	v_cmp_gt_i16_sdwa vcc, sext(v1), v6 src0_sel:BYTE_0 src1_sel:DWORD
	v_mov_b32_e32 v1, 0xff800000
	v_mov_b32_e32 v6, 0x7f800000
	v_cndmask_b32_e32 v1, v1, v6, vcc
	v_cmp_eq_u32_e32 vcc, 0, v7
	v_mov_b32_e32 v6, 0x7f800001
	v_cndmask_b32_e32 v6, v6, v1, vcc
; %bb.17955:                            ;   in Loop: Header=BB6_17293 Depth=3
	s_or_b64 exec, exec, s[38:39]
.LBB6_17956:                            ;   in Loop: Header=BB6_17293 Depth=3
	s_or_b64 exec, exec, s[42:43]
.LBB6_17957:                            ;   in Loop: Header=BB6_17293 Depth=3
	s_or_b64 exec, exec, s[40:41]
	v_lshrrev_b32_e32 v1, 16, v9
	v_cmp_gt_i16_sdwa s[42:43], v1, s44 src0_sel:BYTE_0 src1_sel:DWORD
	s_mov_b64 s[40:41], 0
	s_and_saveexec_b64 s[62:63], s[42:43]
	s_xor_b64 s[42:43], exec, s[62:63]
	s_cbranch_execz .LBB6_18284
; %bb.17958:                            ;   in Loop: Header=BB6_17293 Depth=3
	v_cmp_eq_u16_sdwa s[62:63], v1, s97 src0_sel:BYTE_0 src1_sel:DWORD
	s_mov_b64 s[40:41], -1
	s_and_saveexec_b64 vcc, s[62:63]
; %bb.17959:                            ;   in Loop: Header=BB6_17293 Depth=3
	s_xor_b64 s[40:41], exec, -1
; %bb.17960:                            ;   in Loop: Header=BB6_17293 Depth=3
	s_or_b64 exec, exec, vcc
	s_and_b64 s[40:41], s[40:41], exec
	s_or_saveexec_b64 s[42:43], s[42:43]
	v_bfrev_b32_e32 v7, 1
	s_xor_b64 exec, exec, s[42:43]
	s_cbranch_execnz .LBB6_18285
.LBB6_17961:                            ;   in Loop: Header=BB6_17293 Depth=3
	s_or_b64 exec, exec, s[42:43]
	s_and_saveexec_b64 s[38:39], s[40:41]
	s_cbranch_execz .LBB6_17963
.LBB6_17962:                            ;   in Loop: Header=BB6_17293 Depth=3
	v_and_b32_e32 v7, 3, v1
	v_and_b32_e32 v12, 0x7c0000, v9
	v_cmp_eq_u32_e32 vcc, s45, v12
	v_ffbh_u32_e32 v12, v7
	v_min_u32_e32 v49, 32, v12
	v_subrev_u32_e32 v12, 29, v49
	v_bfe_u32 v48, v9, 18, 5
	v_lshlrev_b64 v[12:13], v12, v[1:2]
	v_cmp_eq_u32_e64 s[40:41], 0, v48
	v_sub_u32_e32 v13, 30, v49
	v_and_b32_e32 v12, 3, v12
	v_cndmask_b32_e64 v13, v48, v13, s[40:41]
	v_lshlrev_b32_e32 v48, 24, v1
	v_cndmask_b32_e64 v12, v7, v12, s[40:41]
	v_and_b32_e32 v48, 0x80000000, v48
	v_cmp_eq_u32_e64 s[40:41], 0, v7
	v_mov_b32_e32 v7, -1
	v_lshl_add_u32 v13, v13, 23, v48
	v_cmp_gt_i16_sdwa s[42:43], sext(v1), v7 src0_sel:BYTE_0 src1_sel:DWORD
	v_mov_b32_e32 v1, 0xff800000
	v_mov_b32_e32 v7, 0x7f800000
	v_lshl_or_b32 v12, v12, 21, v13
	v_cndmask_b32_e64 v1, v1, v7, s[42:43]
	v_mov_b32_e32 v7, 0x7f800001
	v_add_u32_e32 v12, 0x38000000, v12
	v_cndmask_b32_e64 v1, v7, v1, s[40:41]
	v_cndmask_b32_e32 v7, v12, v1, vcc
.LBB6_17963:                            ;   in Loop: Header=BB6_17293 Depth=3
	s_or_b64 exec, exec, s[38:39]
	v_add_f32_e32 v13, v6, v7
	v_and_b32_e32 v48, 0x7f800000, v13
	v_mov_b32_e32 v49, v33
	v_cmp_ne_u64_e32 vcc, s[76:77], v[48:49]
	v_and_b32_e32 v6, 0x7fffff, v13
	v_mov_b32_e32 v7, v33
                                        ; implicit-def: $vgpr12
	s_and_saveexec_b64 s[40:41], vcc
	s_xor_b64 s[42:43], exec, s[40:41]
	s_cbranch_execz .LBB6_17977
; %bb.17964:                            ;   in Loop: Header=BB6_17293 Depth=3
	v_and_b32_e32 v48, 0x7fffffff, v13
	v_mov_b32_e32 v49, v33
	v_cmp_gt_u64_e32 vcc, s[78:79], v[48:49]
	v_and_b32_sdwa v1, v13, s97 dst_sel:DWORD dst_unused:UNUSED_PAD src0_sel:BYTE_3 src1_sel:DWORD
                                        ; implicit-def: $vgpr12
	s_and_saveexec_b64 s[40:41], vcc
	s_xor_b64 s[38:39], exec, s[40:41]
	s_cbranch_execz .LBB6_17974
; %bb.17965:                            ;   in Loop: Header=BB6_17293 Depth=3
	v_mov_b32_e32 v12, 0
	v_cmp_ne_u32_e32 vcc, 0, v13
	s_and_saveexec_b64 s[48:49], vcc
	s_cbranch_execz .LBB6_17973
; %bb.17966:                            ;   in Loop: Header=BB6_17293 Depth=3
	v_bfe_u32 v48, v13, 23, 8
	v_cmp_gt_u32_e64 s[40:41], s47, v48
	v_sub_u32_e32 v12, 0x71, v48
	v_cmp_eq_u32_e32 vcc, 0, v48
	v_cndmask_b32_e64 v12, 0, v12, s[40:41]
	v_mov_b32_e32 v49, 0x70
	v_cndmask_b32_e32 v49, v12, v49, vcc
	v_or_b32_e32 v13, 0x800000, v6
	v_add_u32_e32 v12, 21, v49
	v_cndmask_b32_e32 v6, v13, v6, vcc
	v_lshlrev_b64 v[12:13], v12, -1
	v_add_u32_e32 v50, 20, v49
	v_bfi_b32 v12, v12, 0, v6
	v_lshlrev_b64 v[50:51], v50, 1
	v_lshrrev_b64 v[6:7], v49, v[6:7]
	v_bfi_b32 v13, v13, 0, 0
	v_cmp_eq_u64_e64 s[40:41], v[12:13], v[50:51]
	v_mov_b32_e32 v13, v7
	v_mov_b32_e32 v12, v6
	s_and_saveexec_b64 s[50:51], s[40:41]
; %bb.17967:                            ;   in Loop: Header=BB6_17293 Depth=3
	v_bfe_u32 v7, v6, 21, 1
	v_add_co_u32_e64 v7, s[40:41], v6, v7
	v_add_co_u32_e64 v12, s[40:41], -1, v7
; %bb.17968:                            ;   in Loop: Header=BB6_17293 Depth=3
	s_or_b64 exec, exec, s[50:51]
	v_add_u32_e32 v7, 0xffffff81, v48
	v_mov_b32_e32 v13, 0xffffff82
	v_cndmask_b32_e32 v7, v7, v13, vcc
	v_lshrrev_b32_e32 v13, 23, v6
	v_add3_u32 v48, v49, v7, v13
	v_add_u32_e32 v13, 14, v48
	v_and_b32_e32 v7, 0x1fffff, v12
	v_add_u32_e32 v6, v7, v6
	v_mov_b32_e32 v7, v33
	v_cmp_ne_u32_e32 vcc, 0, v13
                                        ; implicit-def: $vgpr12
	s_and_saveexec_b64 s[40:41], vcc
	s_xor_b64 s[40:41], exec, s[40:41]
; %bb.17969:                            ;   in Loop: Header=BB6_17293 Depth=3
	v_cmp_lt_u64_e32 vcc, s[88:89], v[6:7]
	v_add_u32_e32 v12, 15, v48
	v_cndmask_b32_e32 v12, v13, v12, vcc
	v_cndmask_b32_e64 v13, 0, 1, vcc
	v_lshrrev_b64 v[6:7], v13, v[6:7]
; %bb.17970:                            ;   in Loop: Header=BB6_17293 Depth=3
	s_andn2_saveexec_b64 s[40:41], s[40:41]
; %bb.17971:                            ;   in Loop: Header=BB6_17293 Depth=3
	v_bfe_u32 v12, v6, 23, 1
; %bb.17972:                            ;   in Loop: Header=BB6_17293 Depth=3
	s_or_b64 exec, exec, s[40:41]
	v_lshrrev_b64 v[6:7], 21, v[6:7]
	v_cmp_gt_i32_e32 vcc, 32, v12
	v_cndmask_b32_e32 v7, 0, v7, vcc
	v_cndmask_b32_e32 v6, 3, v6, vcc
	v_cmp_eq_u64_e64 s[40:41], 0, v[6:7]
	v_min_i32_e32 v7, 31, v12
	v_lshlrev_b32_e32 v7, 2, v7
	v_cmp_eq_u32_e32 vcc, 0, v12
	v_and_b32_e32 v7, 0xfc, v7
	v_and_or_b32 v6, v6, 3, v7
	s_and_b64 s[40:41], vcc, s[40:41]
	v_cndmask_b32_e64 v6, v6, 0, s[40:41]
	v_or_b32_e32 v12, v6, v1
.LBB6_17973:                            ;   in Loop: Header=BB6_17293 Depth=3
	s_or_b64 exec, exec, s[48:49]
                                        ; implicit-def: $vgpr1
.LBB6_17974:                            ;   in Loop: Header=BB6_17293 Depth=3
	s_andn2_saveexec_b64 s[40:41], s[38:39]
; %bb.17975:                            ;   in Loop: Header=BB6_17293 Depth=3
	v_or_b32_e32 v12, 0x7b, v1
; %bb.17976:                            ;   in Loop: Header=BB6_17293 Depth=3
	s_or_b64 exec, exec, s[40:41]
                                        ; implicit-def: $vgpr13
                                        ; implicit-def: $vgpr6_vgpr7
.LBB6_17977:                            ;   in Loop: Header=BB6_17293 Depth=3
	s_andn2_saveexec_b64 s[40:41], s[42:43]
	s_cbranch_execz .LBB6_17983
; %bb.17978:                            ;   in Loop: Header=BB6_17293 Depth=3
	v_cmp_ne_u64_e32 vcc, 0, v[6:7]
                                        ; implicit-def: $vgpr12
	s_and_saveexec_b64 s[42:43], vcc
	s_xor_b64 s[42:43], exec, s[42:43]
; %bb.17979:                            ;   in Loop: Header=BB6_17293 Depth=3
	v_or_b32_sdwa v12, v13, s44 dst_sel:DWORD dst_unused:UNUSED_PAD src0_sel:BYTE_3 src1_sel:DWORD
                                        ; implicit-def: $vgpr13
; %bb.17980:                            ;   in Loop: Header=BB6_17293 Depth=3
	s_andn2_saveexec_b64 s[42:43], s[42:43]
; %bb.17981:                            ;   in Loop: Header=BB6_17293 Depth=3
	v_cmp_lt_i32_e32 vcc, -1, v13
	v_bfrev_b32_e32 v1, 0.5
	v_mov_b32_e32 v6, 0x7c
	v_cndmask_b32_e32 v12, v1, v6, vcc
; %bb.17982:                            ;   in Loop: Header=BB6_17293 Depth=3
	s_or_b64 exec, exec, s[42:43]
.LBB6_17983:                            ;   in Loop: Header=BB6_17293 Depth=3
	s_or_b64 exec, exec, s[40:41]
	v_cmp_lt_u32_e32 vcc, s57, v0
	v_mov_b32_e32 v6, 0
	s_and_saveexec_b64 s[40:41], vcc
	s_cbranch_execz .LBB6_17991
; %bb.17984:                            ;   in Loop: Header=BB6_17293 Depth=3
	v_lshrrev_b32_e32 v1, 24, v0
	v_cmp_ne_u32_e32 vcc, s97, v1
	v_bfrev_b32_e32 v6, 1
	s_and_saveexec_b64 s[42:43], vcc
	s_cbranch_execz .LBB6_17990
; %bb.17985:                            ;   in Loop: Header=BB6_17293 Depth=3
	v_and_b32_e32 v6, 0x7c000000, v0
	v_bfe_u32 v7, v0, 24, 2
	v_cmp_ne_u32_e32 vcc, s68, v6
                                        ; implicit-def: $vgpr6
	s_and_saveexec_b64 s[62:63], vcc
	s_xor_b64 s[38:39], exec, s[62:63]
	s_cbranch_execz .LBB6_17987
; %bb.17986:                            ;   in Loop: Header=BB6_17293 Depth=3
	v_ffbh_u32_e32 v13, v7
	v_min_u32_e32 v13, 32, v13
	v_subrev_u32_e32 v48, 29, v13
	v_bfe_u32 v6, v0, 26, 5
	v_lshlrev_b64 v[48:49], v48, v[1:2]
	v_sub_u32_e32 v1, 30, v13
	v_cmp_eq_u32_e32 vcc, 0, v6
	v_and_b32_e32 v13, 3, v48
	v_cndmask_b32_e32 v1, v6, v1, vcc
	v_and_b32_e32 v0, 0x80000000, v0
	v_cndmask_b32_e32 v6, v7, v13, vcc
	v_lshl_add_u32 v0, v1, 23, v0
	v_lshl_or_b32 v0, v6, 21, v0
	v_add_u32_e32 v6, 0x38000000, v0
                                        ; implicit-def: $vgpr7
                                        ; implicit-def: $vgpr0_vgpr1
.LBB6_17987:                            ;   in Loop: Header=BB6_17293 Depth=3
	s_andn2_saveexec_b64 s[38:39], s[38:39]
; %bb.17988:                            ;   in Loop: Header=BB6_17293 Depth=3
	v_cmp_lt_i32_e32 vcc, -1, v0
	v_mov_b32_e32 v0, 0xff800000
	v_mov_b32_e32 v1, 0x7f800000
	v_cndmask_b32_e32 v0, v0, v1, vcc
	v_cmp_eq_u32_e32 vcc, 0, v7
	v_mov_b32_e32 v1, 0x7f800001
	v_cndmask_b32_e32 v6, v1, v0, vcc
; %bb.17989:                            ;   in Loop: Header=BB6_17293 Depth=3
	s_or_b64 exec, exec, s[38:39]
.LBB6_17990:                            ;   in Loop: Header=BB6_17293 Depth=3
	s_or_b64 exec, exec, s[42:43]
.LBB6_17991:                            ;   in Loop: Header=BB6_17293 Depth=3
	s_or_b64 exec, exec, s[40:41]
	v_bfe_u32 v1, v9, 24, 2
	v_and_b32_e32 v13, 0x7c000000, v9
	v_cmp_eq_u32_e32 vcc, s68, v13
	v_ffbh_u32_e32 v13, v1
	v_min_u32_e32 v13, 32, v13
	v_lshrrev_b32_e32 v0, 24, v9
	v_subrev_u32_e32 v48, 29, v13
	v_lshlrev_b64 v[48:49], v48, v[0:1]
	v_bfe_u32 v7, v9, 26, 5
	v_cmp_eq_u32_e64 s[40:41], 0, v7
	v_sub_u32_e32 v13, 30, v13
	v_and_b32_e32 v48, 3, v48
	v_cndmask_b32_e64 v7, v7, v13, s[40:41]
	v_cndmask_b32_e64 v13, v1, v48, s[40:41]
	v_and_b32_e32 v48, 0x80000000, v9
	v_lshl_add_u32 v7, v7, 23, v48
	v_cmp_lt_i64_e64 s[42:43], -1, v[8:9]
	v_lshl_or_b32 v7, v13, 21, v7
	v_cmp_eq_u32_e64 s[40:41], 0, v1
	v_mov_b32_e32 v1, 0xff800000
	v_mov_b32_e32 v13, 0x7f800000
	v_cndmask_b32_e64 v1, v1, v13, s[42:43]
	v_mov_b32_e32 v13, 0x7f800001
	v_add_u32_e32 v7, 0x38000000, v7
	v_cndmask_b32_e64 v1, v13, v1, s[40:41]
	v_cndmask_b32_e32 v1, v7, v1, vcc
	v_cmp_ne_u32_e32 vcc, s97, v0
	v_bfrev_b32_e32 v0, 1
	v_cndmask_b32_e32 v0, v0, v1, vcc
	v_cmp_lt_u64_e32 vcc, s[56:57], v[8:9]
	v_mov_b32_e32 v8, v33
	v_cndmask_b32_e32 v0, 0, v0, vcc
	v_add_f32_e32 v6, v0, v6
	v_and_b32_e32 v7, 0x7f800000, v6
	v_cmp_ne_u64_e32 vcc, s[76:77], v[7:8]
	v_and_b32_e32 v0, 0x7fffff, v6
	v_mov_b32_e32 v1, v33
                                        ; implicit-def: $vgpr13
	s_and_saveexec_b64 s[40:41], vcc
	s_xor_b64 s[42:43], exec, s[40:41]
	s_cbranch_execz .LBB6_18005
; %bb.17992:                            ;   in Loop: Header=BB6_17293 Depth=3
	v_and_b32_e32 v7, 0x7fffffff, v6
	v_mov_b32_e32 v8, v33
	v_cmp_gt_u64_e32 vcc, s[78:79], v[7:8]
	v_and_b32_sdwa v8, v6, s97 dst_sel:DWORD dst_unused:UNUSED_PAD src0_sel:BYTE_3 src1_sel:DWORD
                                        ; implicit-def: $vgpr13
	s_and_saveexec_b64 s[40:41], vcc
	s_xor_b64 s[38:39], exec, s[40:41]
	s_cbranch_execz .LBB6_18002
; %bb.17993:                            ;   in Loop: Header=BB6_17293 Depth=3
	v_mov_b32_e32 v13, 0
	v_cmp_ne_u32_e32 vcc, 0, v6
	s_and_saveexec_b64 s[48:49], vcc
	s_cbranch_execz .LBB6_18001
; %bb.17994:                            ;   in Loop: Header=BB6_17293 Depth=3
	v_bfe_u32 v9, v6, 23, 8
	v_cmp_gt_u32_e64 s[40:41], s47, v9
	v_sub_u32_e32 v6, 0x71, v9
	v_cmp_eq_u32_e32 vcc, 0, v9
	v_cndmask_b32_e64 v6, 0, v6, s[40:41]
	v_mov_b32_e32 v13, 0x70
	v_cndmask_b32_e32 v13, v6, v13, vcc
	v_or_b32_e32 v7, 0x800000, v0
	v_add_u32_e32 v6, 21, v13
	v_cndmask_b32_e32 v0, v7, v0, vcc
	v_lshlrev_b64 v[6:7], v6, -1
	v_add_u32_e32 v48, 20, v13
	v_bfi_b32 v6, v6, 0, v0
	v_lshlrev_b64 v[48:49], v48, 1
	v_lshrrev_b64 v[0:1], v13, v[0:1]
	v_bfi_b32 v7, v7, 0, 0
	v_cmp_eq_u64_e64 s[40:41], v[6:7], v[48:49]
	v_mov_b32_e32 v7, v1
	v_mov_b32_e32 v6, v0
	s_and_saveexec_b64 s[50:51], s[40:41]
; %bb.17995:                            ;   in Loop: Header=BB6_17293 Depth=3
	v_bfe_u32 v1, v0, 21, 1
	v_add_co_u32_e64 v1, s[40:41], v0, v1
	v_add_co_u32_e64 v6, s[40:41], -1, v1
; %bb.17996:                            ;   in Loop: Header=BB6_17293 Depth=3
	s_or_b64 exec, exec, s[50:51]
	v_add_u32_e32 v1, 0xffffff81, v9
	v_mov_b32_e32 v7, 0xffffff82
	v_cndmask_b32_e32 v1, v1, v7, vcc
	v_lshrrev_b32_e32 v7, 23, v0
	v_add3_u32 v9, v13, v1, v7
	v_add_u32_e32 v7, 14, v9
	v_and_b32_e32 v1, 0x1fffff, v6
	v_add_u32_e32 v0, v1, v0
	v_mov_b32_e32 v1, v33
	v_cmp_ne_u32_e32 vcc, 0, v7
                                        ; implicit-def: $vgpr6
	s_and_saveexec_b64 s[40:41], vcc
	s_xor_b64 s[40:41], exec, s[40:41]
; %bb.17997:                            ;   in Loop: Header=BB6_17293 Depth=3
	v_cmp_lt_u64_e32 vcc, s[88:89], v[0:1]
	v_add_u32_e32 v6, 15, v9
	v_cndmask_b32_e32 v6, v7, v6, vcc
	v_cndmask_b32_e64 v7, 0, 1, vcc
	v_lshrrev_b64 v[0:1], v7, v[0:1]
; %bb.17998:                            ;   in Loop: Header=BB6_17293 Depth=3
	s_andn2_saveexec_b64 s[40:41], s[40:41]
; %bb.17999:                            ;   in Loop: Header=BB6_17293 Depth=3
	v_bfe_u32 v6, v0, 23, 1
; %bb.18000:                            ;   in Loop: Header=BB6_17293 Depth=3
	s_or_b64 exec, exec, s[40:41]
	v_lshrrev_b64 v[0:1], 21, v[0:1]
	v_cmp_gt_i32_e32 vcc, 32, v6
	v_cndmask_b32_e32 v1, 0, v1, vcc
	v_cndmask_b32_e32 v0, 3, v0, vcc
	v_cmp_eq_u64_e64 s[40:41], 0, v[0:1]
	v_min_i32_e32 v1, 31, v6
	v_lshlrev_b32_e32 v1, 2, v1
	v_cmp_eq_u32_e32 vcc, 0, v6
	v_and_b32_e32 v1, 0xfc, v1
	v_and_or_b32 v0, v0, 3, v1
	s_and_b64 s[40:41], vcc, s[40:41]
	v_cndmask_b32_e64 v0, v0, 0, s[40:41]
	v_or_b32_e32 v13, v0, v8
.LBB6_18001:                            ;   in Loop: Header=BB6_17293 Depth=3
	s_or_b64 exec, exec, s[48:49]
                                        ; implicit-def: $vgpr8
.LBB6_18002:                            ;   in Loop: Header=BB6_17293 Depth=3
	s_andn2_saveexec_b64 s[40:41], s[38:39]
; %bb.18003:                            ;   in Loop: Header=BB6_17293 Depth=3
	v_or_b32_e32 v13, 0x7b, v8
; %bb.18004:                            ;   in Loop: Header=BB6_17293 Depth=3
	s_or_b64 exec, exec, s[40:41]
                                        ; implicit-def: $vgpr6
                                        ; implicit-def: $vgpr0_vgpr1
.LBB6_18005:                            ;   in Loop: Header=BB6_17293 Depth=3
	s_andn2_saveexec_b64 s[40:41], s[42:43]
	s_cbranch_execz .LBB6_18011
; %bb.18006:                            ;   in Loop: Header=BB6_17293 Depth=3
	v_cmp_ne_u64_e32 vcc, 0, v[0:1]
                                        ; implicit-def: $vgpr13
	s_and_saveexec_b64 s[42:43], vcc
	s_xor_b64 s[42:43], exec, s[42:43]
; %bb.18007:                            ;   in Loop: Header=BB6_17293 Depth=3
	v_or_b32_sdwa v13, v6, s44 dst_sel:DWORD dst_unused:UNUSED_PAD src0_sel:BYTE_3 src1_sel:DWORD
                                        ; implicit-def: $vgpr6
; %bb.18008:                            ;   in Loop: Header=BB6_17293 Depth=3
	s_andn2_saveexec_b64 s[42:43], s[42:43]
; %bb.18009:                            ;   in Loop: Header=BB6_17293 Depth=3
	v_cmp_lt_i32_e32 vcc, -1, v6
	v_bfrev_b32_e32 v0, 0.5
	v_mov_b32_e32 v1, 0x7c
	v_cndmask_b32_e32 v13, v0, v1, vcc
; %bb.18010:                            ;   in Loop: Header=BB6_17293 Depth=3
	s_or_b64 exec, exec, s[42:43]
.LBB6_18011:                            ;   in Loop: Header=BB6_17293 Depth=3
	s_or_b64 exec, exec, s[40:41]
	v_lshl_or_b32 v9, v34, 8, v29
	v_lshlrev_b32_e32 v0, 16, v37
	v_lshlrev_b32_e32 v1, 24, v39
	v_or3_b32 v0, v0, v1, v9
	v_mov_b32_e32 v1, v33
	v_cmp_ne_u32_e32 vcc, 0, v29
	v_mov_b32_e32 v6, 0
	s_and_saveexec_b64 s[42:43], vcc
	s_cbranch_execz .LBB6_18019
; %bb.18012:                            ;   in Loop: Header=BB6_17293 Depth=3
	v_cmp_ne_u32_e32 vcc, s97, v29
	v_bfrev_b32_e32 v6, 1
	s_and_saveexec_b64 s[38:39], vcc
	s_cbranch_execz .LBB6_18018
; %bb.18013:                            ;   in Loop: Header=BB6_17293 Depth=3
	v_and_b32_e32 v6, 0x7c, v29
	v_and_b32_e32 v7, 3, v29
	v_cmp_ne_u32_e32 vcc, s86, v6
                                        ; implicit-def: $vgpr6
	s_and_saveexec_b64 s[40:41], vcc
	s_xor_b64 s[40:41], exec, s[40:41]
	s_cbranch_execz .LBB6_18015
; %bb.18014:                            ;   in Loop: Header=BB6_17293 Depth=3
	v_ffbh_u32_e32 v8, v7
	v_min_u32_e32 v8, 32, v8
	v_subrev_u32_e32 v34, 29, v8
	v_lshlrev_b64 v[48:49], v34, v[0:1]
	v_bfe_u32 v6, v29, 2, 5
	v_sub_u32_e32 v1, 30, v8
	v_and_b32_e32 v8, 3, v48
	v_cmp_eq_u32_e32 vcc, 0, v6
	v_cndmask_b32_e32 v1, v6, v1, vcc
	v_cndmask_b32_e32 v6, v7, v8, vcc
	v_lshlrev_b32_e32 v7, 24, v29
	v_and_b32_e32 v7, 0x80000000, v7
	v_lshl_add_u32 v1, v1, 23, v7
	v_lshl_or_b32 v1, v6, 21, v1
	v_add_u32_e32 v6, 0x38000000, v1
                                        ; implicit-def: $vgpr7
                                        ; implicit-def: $vgpr29
.LBB6_18015:                            ;   in Loop: Header=BB6_17293 Depth=3
	s_andn2_saveexec_b64 s[48:49], s[40:41]
; %bb.18016:                            ;   in Loop: Header=BB6_17293 Depth=3
	v_and_b32_e32 v1, 0x80, v29
	v_cmp_eq_u32_e64 s[40:41], 0, v1
	v_mov_b32_e32 v1, 0xff800000
	v_mov_b32_e32 v6, 0x7f800000
	v_cmp_eq_u32_e32 vcc, 0, v7
	v_cndmask_b32_e64 v1, v1, v6, s[40:41]
	v_mov_b32_e32 v6, 0x7f800001
	v_cndmask_b32_e32 v6, v6, v1, vcc
; %bb.18017:                            ;   in Loop: Header=BB6_17293 Depth=3
	s_or_b64 exec, exec, s[48:49]
.LBB6_18018:                            ;   in Loop: Header=BB6_17293 Depth=3
	s_or_b64 exec, exec, s[38:39]
.LBB6_18019:                            ;   in Loop: Header=BB6_17293 Depth=3
	s_or_b64 exec, exec, s[42:43]
	v_cmp_gt_i16_sdwa s[42:43], v10, s44 src0_sel:BYTE_0 src1_sel:DWORD
	s_mov_b64 s[40:41], 0
	s_and_saveexec_b64 s[62:63], s[42:43]
	s_xor_b64 s[42:43], exec, s[62:63]
	s_cbranch_execz .LBB6_18286
; %bb.18020:                            ;   in Loop: Header=BB6_17293 Depth=3
	v_cmp_eq_u16_sdwa s[62:63], v10, s97 src0_sel:BYTE_0 src1_sel:DWORD
	s_mov_b64 s[40:41], -1
	s_and_saveexec_b64 vcc, s[62:63]
; %bb.18021:                            ;   in Loop: Header=BB6_17293 Depth=3
	s_xor_b64 s[40:41], exec, -1
; %bb.18022:                            ;   in Loop: Header=BB6_17293 Depth=3
	s_or_b64 exec, exec, vcc
	s_and_b64 s[40:41], s[40:41], exec
	s_or_saveexec_b64 s[42:43], s[42:43]
	v_bfrev_b32_e32 v1, 1
	s_xor_b64 exec, exec, s[42:43]
	s_cbranch_execnz .LBB6_18287
.LBB6_18023:                            ;   in Loop: Header=BB6_17293 Depth=3
	s_or_b64 exec, exec, s[42:43]
	s_and_saveexec_b64 s[38:39], s[40:41]
	s_cbranch_execz .LBB6_18025
.LBB6_18024:                            ;   in Loop: Header=BB6_17293 Depth=3
	v_and_b32_e32 v1, 3, v10
	v_and_b32_e32 v7, 0x7c, v10
	v_cmp_eq_u32_e32 vcc, s86, v7
	v_ffbh_u32_e32 v7, v1
	v_min_u32_e32 v34, 32, v7
	v_subrev_u32_e32 v7, 29, v34
	v_bfe_u32 v29, v10, 2, 5
	v_lshlrev_b64 v[7:8], v7, v[10:11]
	v_cmp_eq_u32_e64 s[40:41], 0, v29
	v_sub_u32_e32 v8, 30, v34
	v_cndmask_b32_e64 v8, v29, v8, s[40:41]
	v_lshlrev_b32_e32 v29, 24, v10
	v_and_b32_e32 v7, 3, v7
	v_and_b32_e32 v29, 0x80000000, v29
	v_cndmask_b32_e64 v7, v1, v7, s[40:41]
	v_lshl_add_u32 v8, v8, 23, v29
	v_cmp_eq_u32_e64 s[40:41], 0, v1
	v_mov_b32_e32 v1, -1
	v_lshl_or_b32 v7, v7, 21, v8
	v_cmp_gt_i16_sdwa s[42:43], sext(v10), v1 src0_sel:BYTE_0 src1_sel:DWORD
	v_mov_b32_e32 v1, 0xff800000
	v_mov_b32_e32 v8, 0x7f800000
	v_cndmask_b32_e64 v1, v1, v8, s[42:43]
	v_mov_b32_e32 v8, 0x7f800001
	v_add_u32_e32 v7, 0x38000000, v7
	v_cndmask_b32_e64 v1, v8, v1, s[40:41]
	v_cndmask_b32_e32 v1, v7, v1, vcc
.LBB6_18025:                            ;   in Loop: Header=BB6_17293 Depth=3
	s_or_b64 exec, exec, s[38:39]
	v_add_f32_e32 v8, v6, v1
	v_and_b32_e32 v48, 0x7f800000, v8
	v_mov_b32_e32 v49, v33
	v_cmp_ne_u64_e32 vcc, s[76:77], v[48:49]
	v_and_b32_e32 v6, 0x7fffff, v8
	v_mov_b32_e32 v7, v33
                                        ; implicit-def: $vgpr29
	s_and_saveexec_b64 s[40:41], vcc
	s_xor_b64 s[42:43], exec, s[40:41]
	s_cbranch_execz .LBB6_18039
; %bb.18026:                            ;   in Loop: Header=BB6_17293 Depth=3
	v_and_b32_e32 v48, 0x7fffffff, v8
	v_mov_b32_e32 v49, v33
	v_cmp_gt_u64_e32 vcc, s[78:79], v[48:49]
	v_and_b32_sdwa v1, v8, s97 dst_sel:DWORD dst_unused:UNUSED_PAD src0_sel:BYTE_3 src1_sel:DWORD
                                        ; implicit-def: $vgpr29
	s_and_saveexec_b64 s[40:41], vcc
	s_xor_b64 s[38:39], exec, s[40:41]
	s_cbranch_execz .LBB6_18036
; %bb.18027:                            ;   in Loop: Header=BB6_17293 Depth=3
	v_mov_b32_e32 v29, 0
	v_cmp_ne_u32_e32 vcc, 0, v8
	s_and_saveexec_b64 s[48:49], vcc
	s_cbranch_execz .LBB6_18035
; %bb.18028:                            ;   in Loop: Header=BB6_17293 Depth=3
	v_bfe_u32 v29, v8, 23, 8
	v_cmp_gt_u32_e64 s[40:41], s47, v29
	v_sub_u32_e32 v8, 0x71, v29
	v_cmp_eq_u32_e32 vcc, 0, v29
	v_cndmask_b32_e64 v8, 0, v8, s[40:41]
	v_mov_b32_e32 v34, 0x70
	v_cndmask_b32_e32 v34, v8, v34, vcc
	v_add_u32_e32 v8, 21, v34
	v_or_b32_e32 v37, 0x800000, v6
	v_lshlrev_b64 v[48:49], v8, -1
	v_cndmask_b32_e32 v6, v37, v6, vcc
	v_add_u32_e32 v8, 20, v34
	v_bfi_b32 v48, v48, 0, v6
	v_lshlrev_b64 v[50:51], v8, 1
	v_lshrrev_b64 v[6:7], v34, v[6:7]
	v_bfi_b32 v49, v49, 0, 0
	v_cmp_eq_u64_e64 s[40:41], v[48:49], v[50:51]
	v_mov_b32_e32 v8, v7
	v_mov_b32_e32 v7, v6
	s_and_saveexec_b64 s[50:51], s[40:41]
; %bb.18029:                            ;   in Loop: Header=BB6_17293 Depth=3
	v_bfe_u32 v7, v6, 21, 1
	v_add_co_u32_e64 v7, s[40:41], v6, v7
	v_add_co_u32_e64 v7, s[40:41], -1, v7
; %bb.18030:                            ;   in Loop: Header=BB6_17293 Depth=3
	s_or_b64 exec, exec, s[50:51]
	v_add_u32_e32 v8, 0xffffff81, v29
	v_mov_b32_e32 v29, 0xffffff82
	v_cndmask_b32_e32 v8, v8, v29, vcc
	v_lshrrev_b32_e32 v29, 23, v6
	v_add3_u32 v34, v34, v8, v29
	v_add_u32_e32 v29, 14, v34
	v_and_b32_e32 v7, 0x1fffff, v7
	v_add_u32_e32 v6, v7, v6
	v_mov_b32_e32 v7, v33
	v_cmp_ne_u32_e32 vcc, 0, v29
                                        ; implicit-def: $vgpr8
	s_and_saveexec_b64 s[40:41], vcc
	s_xor_b64 s[40:41], exec, s[40:41]
; %bb.18031:                            ;   in Loop: Header=BB6_17293 Depth=3
	v_cmp_lt_u64_e32 vcc, s[88:89], v[6:7]
	v_add_u32_e32 v8, 15, v34
	v_cndmask_b32_e32 v8, v29, v8, vcc
	v_cndmask_b32_e64 v29, 0, 1, vcc
	v_lshrrev_b64 v[6:7], v29, v[6:7]
; %bb.18032:                            ;   in Loop: Header=BB6_17293 Depth=3
	s_andn2_saveexec_b64 s[40:41], s[40:41]
; %bb.18033:                            ;   in Loop: Header=BB6_17293 Depth=3
	v_bfe_u32 v8, v6, 23, 1
; %bb.18034:                            ;   in Loop: Header=BB6_17293 Depth=3
	s_or_b64 exec, exec, s[40:41]
	v_lshrrev_b64 v[6:7], 21, v[6:7]
	v_cmp_gt_i32_e32 vcc, 32, v8
	v_cndmask_b32_e32 v7, 0, v7, vcc
	v_cndmask_b32_e32 v6, 3, v6, vcc
	v_cmp_eq_u64_e64 s[40:41], 0, v[6:7]
	v_min_i32_e32 v7, 31, v8
	v_lshlrev_b32_e32 v7, 2, v7
	v_cmp_eq_u32_e32 vcc, 0, v8
	v_and_b32_e32 v7, 0xfc, v7
	v_and_or_b32 v6, v6, 3, v7
	s_and_b64 s[40:41], vcc, s[40:41]
	v_cndmask_b32_e64 v6, v6, 0, s[40:41]
	v_or_b32_e32 v29, v6, v1
.LBB6_18035:                            ;   in Loop: Header=BB6_17293 Depth=3
	s_or_b64 exec, exec, s[48:49]
                                        ; implicit-def: $vgpr1
.LBB6_18036:                            ;   in Loop: Header=BB6_17293 Depth=3
	s_andn2_saveexec_b64 s[40:41], s[38:39]
; %bb.18037:                            ;   in Loop: Header=BB6_17293 Depth=3
	v_or_b32_e32 v29, 0x7b, v1
; %bb.18038:                            ;   in Loop: Header=BB6_17293 Depth=3
	s_or_b64 exec, exec, s[40:41]
                                        ; implicit-def: $vgpr8
                                        ; implicit-def: $vgpr6_vgpr7
.LBB6_18039:                            ;   in Loop: Header=BB6_17293 Depth=3
	s_andn2_saveexec_b64 s[40:41], s[42:43]
	s_cbranch_execz .LBB6_18045
; %bb.18040:                            ;   in Loop: Header=BB6_17293 Depth=3
	v_cmp_ne_u64_e32 vcc, 0, v[6:7]
                                        ; implicit-def: $vgpr29
	s_and_saveexec_b64 s[42:43], vcc
	s_xor_b64 s[42:43], exec, s[42:43]
; %bb.18041:                            ;   in Loop: Header=BB6_17293 Depth=3
	v_or_b32_sdwa v29, v8, s44 dst_sel:DWORD dst_unused:UNUSED_PAD src0_sel:BYTE_3 src1_sel:DWORD
                                        ; implicit-def: $vgpr8
; %bb.18042:                            ;   in Loop: Header=BB6_17293 Depth=3
	s_andn2_saveexec_b64 s[42:43], s[42:43]
; %bb.18043:                            ;   in Loop: Header=BB6_17293 Depth=3
	v_cmp_lt_i32_e32 vcc, -1, v8
	v_bfrev_b32_e32 v1, 0.5
	v_mov_b32_e32 v6, 0x7c
	v_cndmask_b32_e32 v29, v1, v6, vcc
; %bb.18044:                            ;   in Loop: Header=BB6_17293 Depth=3
	s_or_b64 exec, exec, s[42:43]
.LBB6_18045:                            ;   in Loop: Header=BB6_17293 Depth=3
	s_or_b64 exec, exec, s[40:41]
	v_lshrrev_b16_e32 v6, 8, v9
	v_cmp_ne_u16_e32 vcc, 0, v6
	v_mov_b32_e32 v1, 0
	s_and_saveexec_b64 s[40:41], vcc
	s_cbranch_execz .LBB6_18053
; %bb.18046:                            ;   in Loop: Header=BB6_17293 Depth=3
	v_cmp_ne_u16_e32 vcc, s97, v6
	v_bfrev_b32_e32 v1, 1
	s_and_saveexec_b64 s[42:43], vcc
	s_cbranch_execz .LBB6_18052
; %bb.18047:                            ;   in Loop: Header=BB6_17293 Depth=3
	v_and_b32_e32 v1, 0x7c, v6
	v_and_b32_e32 v8, 3, v6
	v_cmp_ne_u32_e32 vcc, s86, v1
                                        ; implicit-def: $vgpr1
	s_and_saveexec_b64 s[62:63], vcc
	s_xor_b64 s[38:39], exec, s[62:63]
	s_cbranch_execz .LBB6_18049
; %bb.18048:                            ;   in Loop: Header=BB6_17293 Depth=3
	v_ffbh_u32_e32 v34, v8
	v_min_u32_e32 v34, 32, v34
	v_mov_b32_e32 v7, v33
	v_subrev_u32_e32 v37, 29, v34
	v_bfe_u32 v1, v6, 2, 5
	v_lshlrev_b64 v[6:7], v37, v[6:7]
	v_sub_u32_e32 v7, 30, v34
	v_cmp_eq_u32_e32 vcc, 0, v1
	v_cndmask_b32_e32 v1, v1, v7, vcc
	v_lshlrev_b32_e32 v7, 16, v9
	v_and_b32_e32 v6, 3, v6
	v_and_b32_e32 v7, 0x80000000, v7
	v_cndmask_b32_e32 v6, v8, v6, vcc
	v_lshl_add_u32 v1, v1, 23, v7
	v_lshl_or_b32 v1, v6, 21, v1
	v_add_u32_e32 v1, 0x38000000, v1
                                        ; implicit-def: $vgpr8
                                        ; implicit-def: $vgpr9
.LBB6_18049:                            ;   in Loop: Header=BB6_17293 Depth=3
	s_andn2_saveexec_b64 s[38:39], s[38:39]
; %bb.18050:                            ;   in Loop: Header=BB6_17293 Depth=3
	v_cmp_lt_i16_e32 vcc, -1, v9
	v_mov_b32_e32 v1, 0xff800000
	v_mov_b32_e32 v6, 0x7f800000
	v_cndmask_b32_e32 v1, v1, v6, vcc
	v_cmp_eq_u32_e32 vcc, 0, v8
	v_mov_b32_e32 v6, 0x7f800001
	v_cndmask_b32_e32 v1, v6, v1, vcc
; %bb.18051:                            ;   in Loop: Header=BB6_17293 Depth=3
	s_or_b64 exec, exec, s[38:39]
.LBB6_18052:                            ;   in Loop: Header=BB6_17293 Depth=3
	s_or_b64 exec, exec, s[42:43]
.LBB6_18053:                            ;   in Loop: Header=BB6_17293 Depth=3
	s_or_b64 exec, exec, s[40:41]
	v_lshrrev_b16_e32 v6, 8, v10
	v_cmp_lt_i16_e32 vcc, s44, v6
	s_mov_b64 s[40:41], 0
	s_and_saveexec_b64 s[42:43], vcc
	s_xor_b64 s[42:43], exec, s[42:43]
	s_cbranch_execz .LBB6_18288
; %bb.18054:                            ;   in Loop: Header=BB6_17293 Depth=3
	v_cmp_eq_u16_e32 vcc, s97, v6
	s_mov_b64 s[40:41], -1
	s_and_saveexec_b64 s[38:39], vcc
; %bb.18055:                            ;   in Loop: Header=BB6_17293 Depth=3
	s_xor_b64 s[40:41], exec, -1
; %bb.18056:                            ;   in Loop: Header=BB6_17293 Depth=3
	s_or_b64 exec, exec, s[38:39]
	s_and_b64 s[40:41], s[40:41], exec
	s_or_saveexec_b64 s[42:43], s[42:43]
	v_bfrev_b32_e32 v7, 1
	s_xor_b64 exec, exec, s[42:43]
	s_cbranch_execnz .LBB6_18289
.LBB6_18057:                            ;   in Loop: Header=BB6_17293 Depth=3
	s_or_b64 exec, exec, s[42:43]
	s_and_saveexec_b64 s[38:39], s[40:41]
	s_cbranch_execz .LBB6_18059
.LBB6_18058:                            ;   in Loop: Header=BB6_17293 Depth=3
	v_and_b32_e32 v9, 3, v6
	v_and_b32_e32 v8, 0x7c, v6
	v_cmp_eq_u32_e32 vcc, s86, v8
	v_ffbh_u32_e32 v8, v9
	v_min_u32_e32 v37, 32, v8
	v_mov_b32_e32 v7, v33
	v_subrev_u32_e32 v8, 29, v37
	v_bfe_u32 v34, v6, 2, 5
	v_lshlrev_b64 v[7:8], v8, v[6:7]
	v_cmp_eq_u32_e64 s[40:41], 0, v34
	v_sub_u32_e32 v8, 30, v37
	v_lshlrev_b32_e32 v6, 24, v6
	v_and_b32_e32 v7, 3, v7
	v_cndmask_b32_e64 v8, v34, v8, s[40:41]
	v_and_b32_e32 v6, 0x80000000, v6
	v_cndmask_b32_e64 v7, v9, v7, s[40:41]
	v_lshl_add_u32 v6, v8, 23, v6
	v_lshl_or_b32 v6, v7, 21, v6
	v_cmp_lt_i16_e64 s[42:43], -1, v10
	v_mov_b32_e32 v7, 0xff800000
	v_mov_b32_e32 v8, 0x7f800000
	v_cmp_eq_u32_e64 s[40:41], 0, v9
	v_cndmask_b32_e64 v7, v7, v8, s[42:43]
	v_mov_b32_e32 v8, 0x7f800001
	v_add_u32_e32 v6, 0x38000000, v6
	v_cndmask_b32_e64 v7, v8, v7, s[40:41]
	v_cndmask_b32_e32 v7, v6, v7, vcc
.LBB6_18059:                            ;   in Loop: Header=BB6_17293 Depth=3
	s_or_b64 exec, exec, s[38:39]
	v_add_f32_e32 v8, v1, v7
	v_and_b32_e32 v48, 0x7f800000, v8
	v_mov_b32_e32 v49, v33
	v_cmp_ne_u64_e32 vcc, s[76:77], v[48:49]
	v_and_b32_e32 v6, 0x7fffff, v8
	v_mov_b32_e32 v7, v33
                                        ; implicit-def: $vgpr34
	s_and_saveexec_b64 s[40:41], vcc
	s_xor_b64 s[42:43], exec, s[40:41]
	s_cbranch_execz .LBB6_18073
; %bb.18060:                            ;   in Loop: Header=BB6_17293 Depth=3
	v_and_b32_e32 v48, 0x7fffffff, v8
	v_mov_b32_e32 v49, v33
	v_cmp_gt_u64_e32 vcc, s[78:79], v[48:49]
	v_and_b32_sdwa v1, v8, s97 dst_sel:DWORD dst_unused:UNUSED_PAD src0_sel:BYTE_3 src1_sel:DWORD
                                        ; implicit-def: $vgpr34
	s_and_saveexec_b64 s[40:41], vcc
	s_xor_b64 s[38:39], exec, s[40:41]
	s_cbranch_execz .LBB6_18070
; %bb.18061:                            ;   in Loop: Header=BB6_17293 Depth=3
	v_mov_b32_e32 v34, 0
	v_cmp_ne_u32_e32 vcc, 0, v8
	s_and_saveexec_b64 s[48:49], vcc
	s_cbranch_execz .LBB6_18069
; %bb.18062:                            ;   in Loop: Header=BB6_17293 Depth=3
	v_bfe_u32 v9, v8, 23, 8
	v_cmp_gt_u32_e64 s[40:41], s47, v9
	v_sub_u32_e32 v8, 0x71, v9
	v_cmp_eq_u32_e32 vcc, 0, v9
	v_cndmask_b32_e64 v8, 0, v8, s[40:41]
	v_mov_b32_e32 v34, 0x70
	v_cndmask_b32_e32 v34, v8, v34, vcc
	v_add_u32_e32 v8, 21, v34
	v_or_b32_e32 v37, 0x800000, v6
	v_lshlrev_b64 v[48:49], v8, -1
	v_cndmask_b32_e32 v6, v37, v6, vcc
	v_add_u32_e32 v8, 20, v34
	v_bfi_b32 v48, v48, 0, v6
	v_lshlrev_b64 v[50:51], v8, 1
	v_lshrrev_b64 v[6:7], v34, v[6:7]
	v_bfi_b32 v49, v49, 0, 0
	v_cmp_eq_u64_e64 s[40:41], v[48:49], v[50:51]
	v_mov_b32_e32 v8, v7
	v_mov_b32_e32 v7, v6
	s_and_saveexec_b64 s[50:51], s[40:41]
; %bb.18063:                            ;   in Loop: Header=BB6_17293 Depth=3
	v_bfe_u32 v7, v6, 21, 1
	v_add_co_u32_e64 v7, s[40:41], v6, v7
	v_add_co_u32_e64 v7, s[40:41], -1, v7
; %bb.18064:                            ;   in Loop: Header=BB6_17293 Depth=3
	s_or_b64 exec, exec, s[50:51]
	v_add_u32_e32 v8, 0xffffff81, v9
	v_mov_b32_e32 v9, 0xffffff82
	v_cndmask_b32_e32 v8, v8, v9, vcc
	v_lshrrev_b32_e32 v9, 23, v6
	v_add3_u32 v34, v34, v8, v9
	v_add_u32_e32 v9, 14, v34
	v_and_b32_e32 v7, 0x1fffff, v7
	v_add_u32_e32 v6, v7, v6
	v_mov_b32_e32 v7, v33
	v_cmp_ne_u32_e32 vcc, 0, v9
                                        ; implicit-def: $vgpr8
	s_and_saveexec_b64 s[40:41], vcc
	s_xor_b64 s[40:41], exec, s[40:41]
; %bb.18065:                            ;   in Loop: Header=BB6_17293 Depth=3
	v_cmp_lt_u64_e32 vcc, s[88:89], v[6:7]
	v_add_u32_e32 v8, 15, v34
	v_cndmask_b32_e32 v8, v9, v8, vcc
	v_cndmask_b32_e64 v9, 0, 1, vcc
	v_lshrrev_b64 v[6:7], v9, v[6:7]
; %bb.18066:                            ;   in Loop: Header=BB6_17293 Depth=3
	s_andn2_saveexec_b64 s[40:41], s[40:41]
; %bb.18067:                            ;   in Loop: Header=BB6_17293 Depth=3
	v_bfe_u32 v8, v6, 23, 1
; %bb.18068:                            ;   in Loop: Header=BB6_17293 Depth=3
	s_or_b64 exec, exec, s[40:41]
	v_lshrrev_b64 v[6:7], 21, v[6:7]
	v_cmp_gt_i32_e32 vcc, 32, v8
	v_cndmask_b32_e32 v7, 0, v7, vcc
	v_cndmask_b32_e32 v6, 3, v6, vcc
	v_cmp_eq_u64_e64 s[40:41], 0, v[6:7]
	v_min_i32_e32 v7, 31, v8
	v_lshlrev_b32_e32 v7, 2, v7
	v_cmp_eq_u32_e32 vcc, 0, v8
	v_and_b32_e32 v7, 0xfc, v7
	v_and_or_b32 v6, v6, 3, v7
	s_and_b64 s[40:41], vcc, s[40:41]
	v_cndmask_b32_e64 v6, v6, 0, s[40:41]
	v_or_b32_e32 v34, v6, v1
.LBB6_18069:                            ;   in Loop: Header=BB6_17293 Depth=3
	s_or_b64 exec, exec, s[48:49]
                                        ; implicit-def: $vgpr1
.LBB6_18070:                            ;   in Loop: Header=BB6_17293 Depth=3
	s_andn2_saveexec_b64 s[40:41], s[38:39]
; %bb.18071:                            ;   in Loop: Header=BB6_17293 Depth=3
	v_or_b32_e32 v34, 0x7b, v1
; %bb.18072:                            ;   in Loop: Header=BB6_17293 Depth=3
	s_or_b64 exec, exec, s[40:41]
                                        ; implicit-def: $vgpr8
                                        ; implicit-def: $vgpr6_vgpr7
.LBB6_18073:                            ;   in Loop: Header=BB6_17293 Depth=3
	s_andn2_saveexec_b64 s[40:41], s[42:43]
	s_cbranch_execz .LBB6_18079
; %bb.18074:                            ;   in Loop: Header=BB6_17293 Depth=3
	v_cmp_ne_u64_e32 vcc, 0, v[6:7]
                                        ; implicit-def: $vgpr34
	s_and_saveexec_b64 s[42:43], vcc
	s_xor_b64 s[42:43], exec, s[42:43]
; %bb.18075:                            ;   in Loop: Header=BB6_17293 Depth=3
	v_or_b32_sdwa v34, v8, s44 dst_sel:DWORD dst_unused:UNUSED_PAD src0_sel:BYTE_3 src1_sel:DWORD
                                        ; implicit-def: $vgpr8
; %bb.18076:                            ;   in Loop: Header=BB6_17293 Depth=3
	s_andn2_saveexec_b64 s[42:43], s[42:43]
; %bb.18077:                            ;   in Loop: Header=BB6_17293 Depth=3
	v_cmp_lt_i32_e32 vcc, -1, v8
	v_bfrev_b32_e32 v1, 0.5
	v_mov_b32_e32 v6, 0x7c
	v_cndmask_b32_e32 v34, v1, v6, vcc
; %bb.18078:                            ;   in Loop: Header=BB6_17293 Depth=3
	s_or_b64 exec, exec, s[42:43]
.LBB6_18079:                            ;   in Loop: Header=BB6_17293 Depth=3
	s_or_b64 exec, exec, s[40:41]
	v_and_b32_sdwa v7, v0, s96 dst_sel:DWORD dst_unused:UNUSED_PAD src0_sel:WORD_1 src1_sel:DWORD
	v_lshrrev_b32_e32 v1, 16, v0
	v_cmp_ne_u16_e32 vcc, 0, v7
	v_mov_b32_e32 v6, 0
	s_and_saveexec_b64 s[40:41], vcc
	s_cbranch_execz .LBB6_18087
; %bb.18080:                            ;   in Loop: Header=BB6_17293 Depth=3
	v_cmp_ne_u16_e32 vcc, s97, v7
	v_bfrev_b32_e32 v6, 1
	s_and_saveexec_b64 s[42:43], vcc
	s_cbranch_execz .LBB6_18086
; %bb.18081:                            ;   in Loop: Header=BB6_17293 Depth=3
	v_and_b32_e32 v6, 0x7c0000, v0
	v_bfe_u32 v7, v0, 16, 2
	v_cmp_ne_u32_e32 vcc, s45, v6
                                        ; implicit-def: $vgpr6
	s_and_saveexec_b64 s[62:63], vcc
	s_xor_b64 s[38:39], exec, s[62:63]
	s_cbranch_execz .LBB6_18083
; %bb.18082:                            ;   in Loop: Header=BB6_17293 Depth=3
	v_ffbh_u32_e32 v8, v7
	v_min_u32_e32 v37, 32, v8
	v_subrev_u32_e32 v8, 29, v37
	v_lshlrev_b64 v[8:9], v8, v[1:2]
	v_bfe_u32 v6, v0, 18, 5
	v_sub_u32_e32 v1, 30, v37
	v_and_b32_e32 v8, 3, v8
	v_cmp_eq_u32_e32 vcc, 0, v6
	v_cndmask_b32_e32 v1, v6, v1, vcc
	v_cndmask_b32_e32 v6, v7, v8, vcc
	v_lshlrev_b32_e32 v7, 8, v0
	v_and_b32_e32 v7, 0x80000000, v7
	v_lshl_add_u32 v1, v1, 23, v7
	v_lshl_or_b32 v1, v6, 21, v1
	v_add_u32_e32 v6, 0x38000000, v1
                                        ; implicit-def: $vgpr7
                                        ; implicit-def: $vgpr1
.LBB6_18083:                            ;   in Loop: Header=BB6_17293 Depth=3
	s_andn2_saveexec_b64 s[38:39], s[38:39]
; %bb.18084:                            ;   in Loop: Header=BB6_17293 Depth=3
	v_mov_b32_e32 v6, -1
	v_cmp_gt_i16_sdwa vcc, sext(v1), v6 src0_sel:BYTE_0 src1_sel:DWORD
	v_mov_b32_e32 v1, 0xff800000
	v_mov_b32_e32 v6, 0x7f800000
	v_cndmask_b32_e32 v1, v1, v6, vcc
	v_cmp_eq_u32_e32 vcc, 0, v7
	v_mov_b32_e32 v6, 0x7f800001
	v_cndmask_b32_e32 v6, v6, v1, vcc
; %bb.18085:                            ;   in Loop: Header=BB6_17293 Depth=3
	s_or_b64 exec, exec, s[38:39]
.LBB6_18086:                            ;   in Loop: Header=BB6_17293 Depth=3
	s_or_b64 exec, exec, s[42:43]
.LBB6_18087:                            ;   in Loop: Header=BB6_17293 Depth=3
	s_or_b64 exec, exec, s[40:41]
	v_lshrrev_b32_e32 v1, 16, v10
	v_cmp_gt_i16_sdwa s[42:43], v1, s44 src0_sel:BYTE_0 src1_sel:DWORD
	s_mov_b64 s[40:41], 0
	s_and_saveexec_b64 s[62:63], s[42:43]
	s_xor_b64 s[42:43], exec, s[62:63]
	s_cbranch_execz .LBB6_18290
; %bb.18088:                            ;   in Loop: Header=BB6_17293 Depth=3
	v_cmp_eq_u16_sdwa s[62:63], v1, s97 src0_sel:BYTE_0 src1_sel:DWORD
	s_mov_b64 s[40:41], -1
	s_and_saveexec_b64 vcc, s[62:63]
; %bb.18089:                            ;   in Loop: Header=BB6_17293 Depth=3
	s_xor_b64 s[40:41], exec, -1
; %bb.18090:                            ;   in Loop: Header=BB6_17293 Depth=3
	s_or_b64 exec, exec, vcc
	s_and_b64 s[40:41], s[40:41], exec
	s_or_saveexec_b64 s[42:43], s[42:43]
	v_bfrev_b32_e32 v7, 1
	s_xor_b64 exec, exec, s[42:43]
	s_cbranch_execnz .LBB6_18291
.LBB6_18091:                            ;   in Loop: Header=BB6_17293 Depth=3
	s_or_b64 exec, exec, s[42:43]
	s_and_saveexec_b64 s[38:39], s[40:41]
	s_cbranch_execz .LBB6_18093
.LBB6_18092:                            ;   in Loop: Header=BB6_17293 Depth=3
	v_and_b32_e32 v9, 3, v1
	v_and_b32_e32 v7, 0x7c0000, v10
	v_cmp_eq_u32_e32 vcc, s45, v7
	v_ffbh_u32_e32 v7, v9
	v_min_u32_e32 v39, 32, v7
	v_subrev_u32_e32 v7, 29, v39
	v_bfe_u32 v37, v10, 18, 5
	v_lshlrev_b64 v[7:8], v7, v[1:2]
	v_cmp_eq_u32_e64 s[40:41], 0, v37
	v_sub_u32_e32 v8, 30, v39
	v_cndmask_b32_e64 v8, v37, v8, s[40:41]
	v_lshlrev_b32_e32 v37, 24, v1
	v_and_b32_e32 v7, 3, v7
	v_and_b32_e32 v37, 0x80000000, v37
	v_cndmask_b32_e64 v7, v9, v7, s[40:41]
	v_lshl_add_u32 v8, v8, 23, v37
	v_lshl_or_b32 v7, v7, 21, v8
	v_mov_b32_e32 v8, -1
	v_cmp_gt_i16_sdwa s[42:43], sext(v1), v8 src0_sel:BYTE_0 src1_sel:DWORD
	v_mov_b32_e32 v1, 0xff800000
	v_mov_b32_e32 v8, 0x7f800000
	v_cmp_eq_u32_e64 s[40:41], 0, v9
	v_cndmask_b32_e64 v1, v1, v8, s[42:43]
	v_mov_b32_e32 v8, 0x7f800001
	v_add_u32_e32 v7, 0x38000000, v7
	v_cndmask_b32_e64 v1, v8, v1, s[40:41]
	v_cndmask_b32_e32 v7, v7, v1, vcc
.LBB6_18093:                            ;   in Loop: Header=BB6_17293 Depth=3
	s_or_b64 exec, exec, s[38:39]
	v_add_f32_e32 v8, v6, v7
	v_and_b32_e32 v48, 0x7f800000, v8
	v_mov_b32_e32 v49, v33
	v_cmp_ne_u64_e32 vcc, s[76:77], v[48:49]
	v_and_b32_e32 v6, 0x7fffff, v8
	v_mov_b32_e32 v7, v33
                                        ; implicit-def: $vgpr37
	s_and_saveexec_b64 s[40:41], vcc
	s_xor_b64 s[42:43], exec, s[40:41]
	s_cbranch_execz .LBB6_18107
; %bb.18094:                            ;   in Loop: Header=BB6_17293 Depth=3
	v_and_b32_e32 v48, 0x7fffffff, v8
	v_mov_b32_e32 v49, v33
	v_cmp_gt_u64_e32 vcc, s[78:79], v[48:49]
	v_and_b32_sdwa v1, v8, s97 dst_sel:DWORD dst_unused:UNUSED_PAD src0_sel:BYTE_3 src1_sel:DWORD
                                        ; implicit-def: $vgpr37
	s_and_saveexec_b64 s[40:41], vcc
	s_xor_b64 s[38:39], exec, s[40:41]
	s_cbranch_execz .LBB6_18104
; %bb.18095:                            ;   in Loop: Header=BB6_17293 Depth=3
	v_mov_b32_e32 v37, 0
	v_cmp_ne_u32_e32 vcc, 0, v8
	s_and_saveexec_b64 s[48:49], vcc
	s_cbranch_execz .LBB6_18103
; %bb.18096:                            ;   in Loop: Header=BB6_17293 Depth=3
	v_bfe_u32 v9, v8, 23, 8
	v_cmp_gt_u32_e64 s[40:41], s47, v9
	v_sub_u32_e32 v8, 0x71, v9
	v_cmp_eq_u32_e32 vcc, 0, v9
	v_cndmask_b32_e64 v8, 0, v8, s[40:41]
	v_mov_b32_e32 v37, 0x70
	v_cndmask_b32_e32 v37, v8, v37, vcc
	v_add_u32_e32 v8, 21, v37
	v_or_b32_e32 v39, 0x800000, v6
	v_lshlrev_b64 v[48:49], v8, -1
	v_cndmask_b32_e32 v6, v39, v6, vcc
	v_add_u32_e32 v8, 20, v37
	v_bfi_b32 v48, v48, 0, v6
	v_lshlrev_b64 v[50:51], v8, 1
	v_lshrrev_b64 v[6:7], v37, v[6:7]
	v_bfi_b32 v49, v49, 0, 0
	v_cmp_eq_u64_e64 s[40:41], v[48:49], v[50:51]
	v_mov_b32_e32 v8, v7
	v_mov_b32_e32 v7, v6
	s_and_saveexec_b64 s[50:51], s[40:41]
; %bb.18097:                            ;   in Loop: Header=BB6_17293 Depth=3
	v_bfe_u32 v7, v6, 21, 1
	v_add_co_u32_e64 v7, s[40:41], v6, v7
	v_add_co_u32_e64 v7, s[40:41], -1, v7
; %bb.18098:                            ;   in Loop: Header=BB6_17293 Depth=3
	s_or_b64 exec, exec, s[50:51]
	v_add_u32_e32 v8, 0xffffff81, v9
	v_mov_b32_e32 v9, 0xffffff82
	v_cndmask_b32_e32 v8, v8, v9, vcc
	v_lshrrev_b32_e32 v9, 23, v6
	v_add3_u32 v37, v37, v8, v9
	v_add_u32_e32 v9, 14, v37
	v_and_b32_e32 v7, 0x1fffff, v7
	v_add_u32_e32 v6, v7, v6
	v_mov_b32_e32 v7, v33
	v_cmp_ne_u32_e32 vcc, 0, v9
                                        ; implicit-def: $vgpr8
	s_and_saveexec_b64 s[40:41], vcc
	s_xor_b64 s[40:41], exec, s[40:41]
; %bb.18099:                            ;   in Loop: Header=BB6_17293 Depth=3
	v_cmp_lt_u64_e32 vcc, s[88:89], v[6:7]
	v_add_u32_e32 v8, 15, v37
	v_cndmask_b32_e32 v8, v9, v8, vcc
	v_cndmask_b32_e64 v9, 0, 1, vcc
	v_lshrrev_b64 v[6:7], v9, v[6:7]
; %bb.18100:                            ;   in Loop: Header=BB6_17293 Depth=3
	s_andn2_saveexec_b64 s[40:41], s[40:41]
; %bb.18101:                            ;   in Loop: Header=BB6_17293 Depth=3
	v_bfe_u32 v8, v6, 23, 1
; %bb.18102:                            ;   in Loop: Header=BB6_17293 Depth=3
	s_or_b64 exec, exec, s[40:41]
	v_lshrrev_b64 v[6:7], 21, v[6:7]
	v_cmp_gt_i32_e32 vcc, 32, v8
	v_cndmask_b32_e32 v7, 0, v7, vcc
	v_cndmask_b32_e32 v6, 3, v6, vcc
	v_cmp_eq_u64_e64 s[40:41], 0, v[6:7]
	v_min_i32_e32 v7, 31, v8
	v_lshlrev_b32_e32 v7, 2, v7
	v_cmp_eq_u32_e32 vcc, 0, v8
	v_and_b32_e32 v7, 0xfc, v7
	v_and_or_b32 v6, v6, 3, v7
	s_and_b64 s[40:41], vcc, s[40:41]
	v_cndmask_b32_e64 v6, v6, 0, s[40:41]
	v_or_b32_e32 v37, v6, v1
.LBB6_18103:                            ;   in Loop: Header=BB6_17293 Depth=3
	s_or_b64 exec, exec, s[48:49]
                                        ; implicit-def: $vgpr1
.LBB6_18104:                            ;   in Loop: Header=BB6_17293 Depth=3
	s_andn2_saveexec_b64 s[40:41], s[38:39]
; %bb.18105:                            ;   in Loop: Header=BB6_17293 Depth=3
	v_or_b32_e32 v37, 0x7b, v1
; %bb.18106:                            ;   in Loop: Header=BB6_17293 Depth=3
	s_or_b64 exec, exec, s[40:41]
                                        ; implicit-def: $vgpr8
                                        ; implicit-def: $vgpr6_vgpr7
.LBB6_18107:                            ;   in Loop: Header=BB6_17293 Depth=3
	s_andn2_saveexec_b64 s[40:41], s[42:43]
	s_cbranch_execz .LBB6_18113
; %bb.18108:                            ;   in Loop: Header=BB6_17293 Depth=3
	v_cmp_ne_u64_e32 vcc, 0, v[6:7]
                                        ; implicit-def: $vgpr37
	s_and_saveexec_b64 s[42:43], vcc
	s_xor_b64 s[42:43], exec, s[42:43]
; %bb.18109:                            ;   in Loop: Header=BB6_17293 Depth=3
	v_or_b32_sdwa v37, v8, s44 dst_sel:DWORD dst_unused:UNUSED_PAD src0_sel:BYTE_3 src1_sel:DWORD
                                        ; implicit-def: $vgpr8
; %bb.18110:                            ;   in Loop: Header=BB6_17293 Depth=3
	s_andn2_saveexec_b64 s[42:43], s[42:43]
; %bb.18111:                            ;   in Loop: Header=BB6_17293 Depth=3
	v_cmp_lt_i32_e32 vcc, -1, v8
	v_bfrev_b32_e32 v1, 0.5
	v_mov_b32_e32 v6, 0x7c
	v_cndmask_b32_e32 v37, v1, v6, vcc
; %bb.18112:                            ;   in Loop: Header=BB6_17293 Depth=3
	s_or_b64 exec, exec, s[42:43]
.LBB6_18113:                            ;   in Loop: Header=BB6_17293 Depth=3
	s_or_b64 exec, exec, s[40:41]
	v_cmp_lt_u32_e32 vcc, s57, v0
	v_mov_b32_e32 v6, 0
	s_and_saveexec_b64 s[40:41], vcc
	s_cbranch_execz .LBB6_18121
; %bb.18114:                            ;   in Loop: Header=BB6_17293 Depth=3
	v_lshrrev_b32_e32 v1, 24, v0
	v_cmp_ne_u32_e32 vcc, s97, v1
	v_bfrev_b32_e32 v6, 1
	s_and_saveexec_b64 s[42:43], vcc
	s_cbranch_execz .LBB6_18120
; %bb.18115:                            ;   in Loop: Header=BB6_17293 Depth=3
	v_and_b32_e32 v6, 0x7c000000, v0
	v_bfe_u32 v7, v0, 24, 2
	v_cmp_ne_u32_e32 vcc, s68, v6
                                        ; implicit-def: $vgpr6
	s_and_saveexec_b64 s[62:63], vcc
	s_xor_b64 s[38:39], exec, s[62:63]
	s_cbranch_execz .LBB6_18117
; %bb.18116:                            ;   in Loop: Header=BB6_17293 Depth=3
	v_ffbh_u32_e32 v8, v7
	v_min_u32_e32 v39, 32, v8
	v_subrev_u32_e32 v8, 29, v39
	v_bfe_u32 v6, v0, 26, 5
	v_lshlrev_b64 v[8:9], v8, v[1:2]
	v_sub_u32_e32 v1, 30, v39
	v_cmp_eq_u32_e32 vcc, 0, v6
	v_and_b32_e32 v8, 3, v8
	v_cndmask_b32_e32 v1, v6, v1, vcc
	v_and_b32_e32 v0, 0x80000000, v0
	v_cndmask_b32_e32 v6, v7, v8, vcc
	v_lshl_add_u32 v0, v1, 23, v0
	v_lshl_or_b32 v0, v6, 21, v0
	v_add_u32_e32 v6, 0x38000000, v0
                                        ; implicit-def: $vgpr7
                                        ; implicit-def: $vgpr0_vgpr1
.LBB6_18117:                            ;   in Loop: Header=BB6_17293 Depth=3
	s_andn2_saveexec_b64 s[38:39], s[38:39]
; %bb.18118:                            ;   in Loop: Header=BB6_17293 Depth=3
	v_cmp_lt_i32_e32 vcc, -1, v0
	v_mov_b32_e32 v0, 0xff800000
	v_mov_b32_e32 v1, 0x7f800000
	v_cndmask_b32_e32 v0, v0, v1, vcc
	v_cmp_eq_u32_e32 vcc, 0, v7
	v_mov_b32_e32 v1, 0x7f800001
	v_cndmask_b32_e32 v6, v1, v0, vcc
; %bb.18119:                            ;   in Loop: Header=BB6_17293 Depth=3
	s_or_b64 exec, exec, s[38:39]
.LBB6_18120:                            ;   in Loop: Header=BB6_17293 Depth=3
	s_or_b64 exec, exec, s[42:43]
.LBB6_18121:                            ;   in Loop: Header=BB6_17293 Depth=3
	s_or_b64 exec, exec, s[40:41]
	v_bfe_u32 v1, v10, 24, 2
	v_and_b32_e32 v7, 0x7c000000, v10
	v_cmp_eq_u32_e32 vcc, s68, v7
	v_ffbh_u32_e32 v7, v1
	v_min_u32_e32 v39, 32, v7
	v_lshrrev_b32_e32 v0, 24, v10
	v_subrev_u32_e32 v7, 29, v39
	v_bfe_u32 v9, v10, 26, 5
	v_lshlrev_b64 v[7:8], v7, v[0:1]
	v_cmp_eq_u32_e64 s[40:41], 0, v9
	v_sub_u32_e32 v8, 30, v39
	v_and_b32_e32 v7, 3, v7
	v_cndmask_b32_e64 v8, v9, v8, s[40:41]
	v_and_b32_e32 v9, 0x80000000, v10
	v_cndmask_b32_e64 v7, v1, v7, s[40:41]
	v_lshl_add_u32 v8, v8, 23, v9
	v_lshl_or_b32 v7, v7, 21, v8
	v_cmp_eq_u32_e64 s[40:41], 0, v1
	v_cmp_lt_i32_e64 s[42:43], -1, v10
	v_mov_b32_e32 v1, 0xff800000
	v_mov_b32_e32 v8, 0x7f800000
	v_cndmask_b32_e64 v1, v1, v8, s[42:43]
	v_mov_b32_e32 v8, 0x7f800001
	v_add_u32_e32 v7, 0x38000000, v7
	v_cndmask_b32_e64 v1, v8, v1, s[40:41]
	v_cndmask_b32_e32 v1, v7, v1, vcc
	v_cmp_ne_u32_e32 vcc, s97, v0
	v_bfrev_b32_e32 v0, 1
	v_cndmask_b32_e32 v0, v0, v1, vcc
	v_cmp_lt_u32_e32 vcc, s57, v10
	v_cndmask_b32_e32 v0, 0, v0, vcc
	v_add_f32_e32 v6, v0, v6
	v_and_b32_e32 v7, 0x7f800000, v6
	v_mov_b32_e32 v8, v33
	v_cmp_ne_u64_e32 vcc, s[76:77], v[7:8]
	v_and_b32_e32 v0, 0x7fffff, v6
	v_mov_b32_e32 v1, v33
                                        ; implicit-def: $vgpr39
	s_and_saveexec_b64 s[40:41], vcc
	s_xor_b64 s[42:43], exec, s[40:41]
	s_cbranch_execz .LBB6_18135
; %bb.18122:                            ;   in Loop: Header=BB6_17293 Depth=3
	v_and_b32_e32 v7, 0x7fffffff, v6
	v_mov_b32_e32 v8, v33
	v_cmp_gt_u64_e32 vcc, s[78:79], v[7:8]
	v_and_b32_sdwa v8, v6, s97 dst_sel:DWORD dst_unused:UNUSED_PAD src0_sel:BYTE_3 src1_sel:DWORD
                                        ; implicit-def: $vgpr39
	s_and_saveexec_b64 s[40:41], vcc
	s_xor_b64 s[38:39], exec, s[40:41]
	s_cbranch_execz .LBB6_18132
; %bb.18123:                            ;   in Loop: Header=BB6_17293 Depth=3
	v_mov_b32_e32 v39, 0
	v_cmp_ne_u32_e32 vcc, 0, v6
	s_and_saveexec_b64 s[48:49], vcc
	s_cbranch_execz .LBB6_18131
; %bb.18124:                            ;   in Loop: Header=BB6_17293 Depth=3
	v_bfe_u32 v9, v6, 23, 8
	v_cmp_gt_u32_e64 s[40:41], s47, v9
	v_sub_u32_e32 v6, 0x71, v9
	v_cmp_eq_u32_e32 vcc, 0, v9
	v_cndmask_b32_e64 v6, 0, v6, s[40:41]
	v_mov_b32_e32 v39, 0x70
	v_cndmask_b32_e32 v39, v6, v39, vcc
	v_or_b32_e32 v7, 0x800000, v0
	v_add_u32_e32 v6, 21, v39
	v_cndmask_b32_e32 v0, v7, v0, vcc
	v_lshlrev_b64 v[6:7], v6, -1
	v_add_u32_e32 v48, 20, v39
	v_bfi_b32 v6, v6, 0, v0
	v_lshlrev_b64 v[48:49], v48, 1
	v_lshrrev_b64 v[0:1], v39, v[0:1]
	v_bfi_b32 v7, v7, 0, 0
	v_cmp_eq_u64_e64 s[40:41], v[6:7], v[48:49]
	v_mov_b32_e32 v7, v1
	v_mov_b32_e32 v6, v0
	s_and_saveexec_b64 s[50:51], s[40:41]
; %bb.18125:                            ;   in Loop: Header=BB6_17293 Depth=3
	v_bfe_u32 v1, v0, 21, 1
	v_add_co_u32_e64 v1, s[40:41], v0, v1
	v_add_co_u32_e64 v6, s[40:41], -1, v1
; %bb.18126:                            ;   in Loop: Header=BB6_17293 Depth=3
	s_or_b64 exec, exec, s[50:51]
	v_add_u32_e32 v1, 0xffffff81, v9
	v_mov_b32_e32 v7, 0xffffff82
	v_cndmask_b32_e32 v1, v1, v7, vcc
	v_lshrrev_b32_e32 v7, 23, v0
	v_add3_u32 v9, v39, v1, v7
	v_add_u32_e32 v7, 14, v9
	v_and_b32_e32 v1, 0x1fffff, v6
	v_add_u32_e32 v0, v1, v0
	v_mov_b32_e32 v1, v33
	v_cmp_ne_u32_e32 vcc, 0, v7
                                        ; implicit-def: $vgpr6
	s_and_saveexec_b64 s[40:41], vcc
	s_xor_b64 s[40:41], exec, s[40:41]
; %bb.18127:                            ;   in Loop: Header=BB6_17293 Depth=3
	v_cmp_lt_u64_e32 vcc, s[88:89], v[0:1]
	v_add_u32_e32 v6, 15, v9
	v_cndmask_b32_e32 v6, v7, v6, vcc
	v_cndmask_b32_e64 v7, 0, 1, vcc
	v_lshrrev_b64 v[0:1], v7, v[0:1]
; %bb.18128:                            ;   in Loop: Header=BB6_17293 Depth=3
	s_andn2_saveexec_b64 s[40:41], s[40:41]
; %bb.18129:                            ;   in Loop: Header=BB6_17293 Depth=3
	v_bfe_u32 v6, v0, 23, 1
; %bb.18130:                            ;   in Loop: Header=BB6_17293 Depth=3
	s_or_b64 exec, exec, s[40:41]
	v_lshrrev_b64 v[0:1], 21, v[0:1]
	v_cmp_gt_i32_e32 vcc, 32, v6
	v_cndmask_b32_e32 v1, 0, v1, vcc
	v_cndmask_b32_e32 v0, 3, v0, vcc
	v_cmp_eq_u64_e64 s[40:41], 0, v[0:1]
	v_min_i32_e32 v1, 31, v6
	v_lshlrev_b32_e32 v1, 2, v1
	v_cmp_eq_u32_e32 vcc, 0, v6
	v_and_b32_e32 v1, 0xfc, v1
	v_and_or_b32 v0, v0, 3, v1
	s_and_b64 s[40:41], vcc, s[40:41]
	v_cndmask_b32_e64 v0, v0, 0, s[40:41]
	v_or_b32_e32 v39, v0, v8
.LBB6_18131:                            ;   in Loop: Header=BB6_17293 Depth=3
	s_or_b64 exec, exec, s[48:49]
                                        ; implicit-def: $vgpr8
.LBB6_18132:                            ;   in Loop: Header=BB6_17293 Depth=3
	s_andn2_saveexec_b64 s[40:41], s[38:39]
; %bb.18133:                            ;   in Loop: Header=BB6_17293 Depth=3
	v_or_b32_e32 v39, 0x7b, v8
; %bb.18134:                            ;   in Loop: Header=BB6_17293 Depth=3
	s_or_b64 exec, exec, s[40:41]
                                        ; implicit-def: $vgpr6
                                        ; implicit-def: $vgpr0_vgpr1
.LBB6_18135:                            ;   in Loop: Header=BB6_17293 Depth=3
	s_andn2_saveexec_b64 s[40:41], s[42:43]
	s_cbranch_execz .LBB6_18141
; %bb.18136:                            ;   in Loop: Header=BB6_17293 Depth=3
	v_cmp_ne_u64_e32 vcc, 0, v[0:1]
                                        ; implicit-def: $vgpr39
	s_and_saveexec_b64 s[42:43], vcc
	s_xor_b64 s[42:43], exec, s[42:43]
; %bb.18137:                            ;   in Loop: Header=BB6_17293 Depth=3
	v_or_b32_sdwa v39, v6, s44 dst_sel:DWORD dst_unused:UNUSED_PAD src0_sel:BYTE_3 src1_sel:DWORD
                                        ; implicit-def: $vgpr6
; %bb.18138:                            ;   in Loop: Header=BB6_17293 Depth=3
	s_andn2_saveexec_b64 s[42:43], s[42:43]
; %bb.18139:                            ;   in Loop: Header=BB6_17293 Depth=3
	v_cmp_lt_i32_e32 vcc, -1, v6
	v_bfrev_b32_e32 v0, 0.5
	v_mov_b32_e32 v1, 0x7c
	v_cndmask_b32_e32 v39, v0, v1, vcc
; %bb.18140:                            ;   in Loop: Header=BB6_17293 Depth=3
	s_or_b64 exec, exec, s[42:43]
.LBB6_18141:                            ;   in Loop: Header=BB6_17293 Depth=3
	s_or_b64 exec, exec, s[40:41]
	v_lshlrev_b32_e32 v0, 24, v36
	v_lshlrev_b32_e32 v1, 16, v32
	v_lshl_or_b32 v30, v30, 8, v27
	v_or3_b32 v0, v1, v0, v30
	v_mov_b32_e32 v1, v33
	v_cmp_ne_u32_e32 vcc, 0, v27
	v_mov_b32_e32 v8, 0
	s_and_saveexec_b64 s[42:43], vcc
	s_cbranch_execz .LBB6_18149
; %bb.18142:                            ;   in Loop: Header=BB6_17293 Depth=3
	v_cmp_ne_u32_e32 vcc, s97, v27
	v_bfrev_b32_e32 v8, 1
	s_and_saveexec_b64 s[38:39], vcc
	s_cbranch_execz .LBB6_18148
; %bb.18143:                            ;   in Loop: Header=BB6_17293 Depth=3
	v_and_b32_e32 v7, 0x7c, v27
	v_and_b32_e32 v6, 3, v27
	v_cmp_ne_u32_e32 vcc, s86, v7
                                        ; implicit-def: $vgpr8
	s_and_saveexec_b64 s[40:41], vcc
	s_xor_b64 s[40:41], exec, s[40:41]
	s_cbranch_execz .LBB6_18145
; %bb.18144:                            ;   in Loop: Header=BB6_17293 Depth=3
	v_ffbh_u32_e32 v7, v6
	v_min_u32_e32 v32, 32, v7
	v_subrev_u32_e32 v7, 29, v32
	v_lshlrev_b64 v[7:8], v7, v[0:1]
	v_bfe_u32 v9, v27, 2, 5
	v_and_b32_e32 v7, 3, v7
	v_cmp_eq_u32_e32 vcc, 0, v9
	v_sub_u32_e32 v1, 30, v32
	v_cndmask_b32_e32 v6, v6, v7, vcc
	v_lshlrev_b32_e32 v7, 24, v27
	v_cndmask_b32_e32 v1, v9, v1, vcc
	v_and_b32_e32 v7, 0x80000000, v7
	v_lshl_add_u32 v1, v1, 23, v7
	v_lshl_or_b32 v1, v6, 21, v1
	v_add_u32_e32 v8, 0x38000000, v1
                                        ; implicit-def: $vgpr6
                                        ; implicit-def: $vgpr27
.LBB6_18145:                            ;   in Loop: Header=BB6_17293 Depth=3
	s_andn2_saveexec_b64 s[48:49], s[40:41]
; %bb.18146:                            ;   in Loop: Header=BB6_17293 Depth=3
	v_and_b32_e32 v1, 0x80, v27
	v_cmp_eq_u32_e32 vcc, 0, v6
	v_cmp_eq_u32_e64 s[40:41], 0, v1
	v_mov_b32_e32 v1, 0xff800000
	v_mov_b32_e32 v6, 0x7f800000
	v_cndmask_b32_e64 v1, v1, v6, s[40:41]
	v_mov_b32_e32 v6, 0x7f800001
	v_cndmask_b32_e32 v8, v6, v1, vcc
; %bb.18147:                            ;   in Loop: Header=BB6_17293 Depth=3
	s_or_b64 exec, exec, s[48:49]
.LBB6_18148:                            ;   in Loop: Header=BB6_17293 Depth=3
	s_or_b64 exec, exec, s[38:39]
.LBB6_18149:                            ;   in Loop: Header=BB6_17293 Depth=3
	s_or_b64 exec, exec, s[42:43]
	v_cmp_gt_i16_sdwa s[42:43], v11, s44 src0_sel:BYTE_0 src1_sel:DWORD
	s_mov_b64 s[40:41], 0
	s_and_saveexec_b64 s[62:63], s[42:43]
	s_xor_b64 s[42:43], exec, s[62:63]
	s_cbranch_execz .LBB6_18153
; %bb.18150:                            ;   in Loop: Header=BB6_17293 Depth=3
	v_cmp_eq_u16_sdwa s[62:63], v11, s97 src0_sel:BYTE_0 src1_sel:DWORD
	s_mov_b64 s[40:41], -1
	s_and_saveexec_b64 vcc, s[62:63]
; %bb.18151:                            ;   in Loop: Header=BB6_17293 Depth=3
	s_xor_b64 s[40:41], exec, -1
; %bb.18152:                            ;   in Loop: Header=BB6_17293 Depth=3
	s_or_b64 exec, exec, vcc
	s_and_b64 s[40:41], s[40:41], exec
.LBB6_18153:                            ;   in Loop: Header=BB6_17293 Depth=3
	s_or_saveexec_b64 s[42:43], s[42:43]
	v_bfrev_b32_e32 v1, 1
	s_xor_b64 exec, exec, s[42:43]
; %bb.18154:                            ;   in Loop: Header=BB6_17293 Depth=3
	v_cmp_ne_u16_sdwa s[62:63], v11, v33 src0_sel:BYTE_0 src1_sel:DWORD
	s_andn2_b64 s[40:41], s[40:41], exec
	s_and_b64 s[62:63], s[62:63], exec
	v_mov_b32_e32 v1, 0
	s_or_b64 s[40:41], s[40:41], s[62:63]
; %bb.18155:                            ;   in Loop: Header=BB6_17293 Depth=3
	s_or_b64 exec, exec, s[42:43]
	v_mov_b32_e32 v6, v11
	v_mov_b32_e32 v7, v33
	s_and_saveexec_b64 s[38:39], s[40:41]
	s_cbranch_execz .LBB6_18157
; %bb.18156:                            ;   in Loop: Header=BB6_17293 Depth=3
	v_and_b32_e32 v1, 3, v11
	v_and_b32_e32 v27, 0x7c, v11
	v_cmp_eq_u32_e32 vcc, s86, v27
	v_ffbh_u32_e32 v27, v1
	v_min_u32_e32 v27, 32, v27
	v_subrev_u32_e32 v32, 29, v27
	v_lshlrev_b64 v[48:49], v32, v[6:7]
	v_bfe_u32 v9, v11, 2, 5
	v_cmp_eq_u32_e64 s[40:41], 0, v9
	v_sub_u32_e32 v7, 30, v27
	v_and_b32_e32 v27, 3, v48
	v_cndmask_b32_e64 v7, v9, v7, s[40:41]
	v_cndmask_b32_e64 v9, v1, v27, s[40:41]
	v_lshlrev_b32_e32 v27, 24, v11
	v_and_b32_e32 v27, 0x80000000, v27
	v_lshl_add_u32 v7, v7, 23, v27
	v_cmp_eq_u32_e64 s[40:41], 0, v1
	v_mov_b32_e32 v1, -1
	v_lshl_or_b32 v7, v9, 21, v7
	v_cmp_gt_i16_sdwa s[42:43], sext(v11), v1 src0_sel:BYTE_0 src1_sel:DWORD
	v_mov_b32_e32 v1, 0xff800000
	v_mov_b32_e32 v9, 0x7f800000
	v_cndmask_b32_e64 v1, v1, v9, s[42:43]
	v_mov_b32_e32 v9, 0x7f800001
	v_add_u32_e32 v7, 0x38000000, v7
	v_cndmask_b32_e64 v1, v9, v1, s[40:41]
	v_cndmask_b32_e32 v1, v7, v1, vcc
.LBB6_18157:                            ;   in Loop: Header=BB6_17293 Depth=3
	s_or_b64 exec, exec, s[38:39]
	v_add_f32_e32 v9, v8, v1
	v_and_b32_e32 v48, 0x7f800000, v9
	v_mov_b32_e32 v49, v33
	v_cmp_ne_u64_e32 vcc, s[76:77], v[48:49]
	v_and_b32_e32 v7, 0x7fffff, v9
	v_mov_b32_e32 v8, v33
                                        ; implicit-def: $vgpr27
	s_and_saveexec_b64 s[40:41], vcc
	s_xor_b64 s[42:43], exec, s[40:41]
	s_cbranch_execz .LBB6_18171
; %bb.18158:                            ;   in Loop: Header=BB6_17293 Depth=3
	v_and_b32_e32 v48, 0x7fffffff, v9
	v_mov_b32_e32 v49, v33
	v_cmp_gt_u64_e32 vcc, s[78:79], v[48:49]
	v_and_b32_sdwa v1, v9, s97 dst_sel:DWORD dst_unused:UNUSED_PAD src0_sel:BYTE_3 src1_sel:DWORD
                                        ; implicit-def: $vgpr27
	s_and_saveexec_b64 s[40:41], vcc
	s_xor_b64 s[38:39], exec, s[40:41]
	s_cbranch_execz .LBB6_18168
; %bb.18159:                            ;   in Loop: Header=BB6_17293 Depth=3
	v_mov_b32_e32 v27, 0
	v_cmp_ne_u32_e32 vcc, 0, v9
	s_and_saveexec_b64 s[48:49], vcc
	s_cbranch_execz .LBB6_18167
; %bb.18160:                            ;   in Loop: Header=BB6_17293 Depth=3
	v_bfe_u32 v27, v9, 23, 8
	v_cmp_gt_u32_e64 s[40:41], s47, v27
	v_sub_u32_e32 v9, 0x71, v27
	v_cmp_eq_u32_e32 vcc, 0, v27
	v_cndmask_b32_e64 v9, 0, v9, s[40:41]
	v_mov_b32_e32 v32, 0x70
	v_cndmask_b32_e32 v32, v9, v32, vcc
	v_add_u32_e32 v9, 21, v32
	v_or_b32_e32 v36, 0x800000, v7
	v_lshlrev_b64 v[48:49], v9, -1
	v_cndmask_b32_e32 v7, v36, v7, vcc
	v_add_u32_e32 v9, 20, v32
	v_bfi_b32 v48, v48, 0, v7
	v_lshlrev_b64 v[50:51], v9, 1
	v_lshrrev_b64 v[7:8], v32, v[7:8]
	v_bfi_b32 v49, v49, 0, 0
	v_cmp_eq_u64_e64 s[40:41], v[48:49], v[50:51]
	v_mov_b32_e32 v9, v8
	v_mov_b32_e32 v8, v7
	s_and_saveexec_b64 s[50:51], s[40:41]
; %bb.18161:                            ;   in Loop: Header=BB6_17293 Depth=3
	v_bfe_u32 v8, v7, 21, 1
	v_add_co_u32_e64 v8, s[40:41], v7, v8
	v_add_co_u32_e64 v8, s[40:41], -1, v8
; %bb.18162:                            ;   in Loop: Header=BB6_17293 Depth=3
	s_or_b64 exec, exec, s[50:51]
	v_add_u32_e32 v9, 0xffffff81, v27
	v_mov_b32_e32 v27, 0xffffff82
	v_cndmask_b32_e32 v9, v9, v27, vcc
	v_lshrrev_b32_e32 v27, 23, v7
	v_add3_u32 v32, v32, v9, v27
	v_add_u32_e32 v27, 14, v32
	v_and_b32_e32 v8, 0x1fffff, v8
	v_add_u32_e32 v7, v8, v7
	v_mov_b32_e32 v8, v33
	v_cmp_ne_u32_e32 vcc, 0, v27
                                        ; implicit-def: $vgpr9
	s_and_saveexec_b64 s[40:41], vcc
	s_xor_b64 s[40:41], exec, s[40:41]
; %bb.18163:                            ;   in Loop: Header=BB6_17293 Depth=3
	v_cmp_lt_u64_e32 vcc, s[88:89], v[7:8]
	v_add_u32_e32 v9, 15, v32
	v_cndmask_b32_e32 v9, v27, v9, vcc
	v_cndmask_b32_e64 v27, 0, 1, vcc
	v_lshrrev_b64 v[7:8], v27, v[7:8]
; %bb.18164:                            ;   in Loop: Header=BB6_17293 Depth=3
	s_andn2_saveexec_b64 s[40:41], s[40:41]
; %bb.18165:                            ;   in Loop: Header=BB6_17293 Depth=3
	v_bfe_u32 v9, v7, 23, 1
; %bb.18166:                            ;   in Loop: Header=BB6_17293 Depth=3
	s_or_b64 exec, exec, s[40:41]
	v_lshrrev_b64 v[7:8], 21, v[7:8]
	v_cmp_gt_i32_e32 vcc, 32, v9
	v_cndmask_b32_e32 v8, 0, v8, vcc
	v_cndmask_b32_e32 v7, 3, v7, vcc
	v_cmp_eq_u64_e64 s[40:41], 0, v[7:8]
	v_min_i32_e32 v8, 31, v9
	v_lshlrev_b32_e32 v8, 2, v8
	v_cmp_eq_u32_e32 vcc, 0, v9
	v_and_b32_e32 v8, 0xfc, v8
	v_and_or_b32 v7, v7, 3, v8
	s_and_b64 s[40:41], vcc, s[40:41]
	v_cndmask_b32_e64 v7, v7, 0, s[40:41]
	v_or_b32_e32 v27, v7, v1
.LBB6_18167:                            ;   in Loop: Header=BB6_17293 Depth=3
	s_or_b64 exec, exec, s[48:49]
                                        ; implicit-def: $vgpr1
.LBB6_18168:                            ;   in Loop: Header=BB6_17293 Depth=3
	s_andn2_saveexec_b64 s[40:41], s[38:39]
; %bb.18169:                            ;   in Loop: Header=BB6_17293 Depth=3
	v_or_b32_e32 v27, 0x7b, v1
; %bb.18170:                            ;   in Loop: Header=BB6_17293 Depth=3
	s_or_b64 exec, exec, s[40:41]
                                        ; implicit-def: $vgpr9
                                        ; implicit-def: $vgpr7_vgpr8
.LBB6_18171:                            ;   in Loop: Header=BB6_17293 Depth=3
	s_andn2_saveexec_b64 s[40:41], s[42:43]
	s_cbranch_execz .LBB6_18177
; %bb.18172:                            ;   in Loop: Header=BB6_17293 Depth=3
	v_cmp_ne_u64_e32 vcc, 0, v[7:8]
                                        ; implicit-def: $vgpr27
	s_and_saveexec_b64 s[42:43], vcc
	s_xor_b64 s[42:43], exec, s[42:43]
; %bb.18173:                            ;   in Loop: Header=BB6_17293 Depth=3
	v_or_b32_sdwa v27, v9, s44 dst_sel:DWORD dst_unused:UNUSED_PAD src0_sel:BYTE_3 src1_sel:DWORD
                                        ; implicit-def: $vgpr9
; %bb.18174:                            ;   in Loop: Header=BB6_17293 Depth=3
	s_andn2_saveexec_b64 s[42:43], s[42:43]
; %bb.18175:                            ;   in Loop: Header=BB6_17293 Depth=3
	v_cmp_lt_i32_e32 vcc, -1, v9
	v_bfrev_b32_e32 v1, 0.5
	v_mov_b32_e32 v7, 0x7c
	v_cndmask_b32_e32 v27, v1, v7, vcc
; %bb.18176:                            ;   in Loop: Header=BB6_17293 Depth=3
	s_or_b64 exec, exec, s[42:43]
.LBB6_18177:                            ;   in Loop: Header=BB6_17293 Depth=3
	s_or_b64 exec, exec, s[40:41]
	v_lshrrev_b16_e32 v7, 8, v30
	v_cmp_ne_u16_e32 vcc, 0, v7
	v_mov_b32_e32 v1, 0
	s_and_saveexec_b64 s[40:41], vcc
	s_cbranch_execz .LBB6_18185
; %bb.18178:                            ;   in Loop: Header=BB6_17293 Depth=3
	v_cmp_ne_u16_e32 vcc, s97, v7
	v_bfrev_b32_e32 v1, 1
	s_and_saveexec_b64 s[42:43], vcc
	s_cbranch_execz .LBB6_18184
; %bb.18179:                            ;   in Loop: Header=BB6_17293 Depth=3
	v_and_b32_e32 v1, 0x7c, v7
	v_and_b32_e32 v9, 3, v7
	v_cmp_ne_u32_e32 vcc, s86, v1
                                        ; implicit-def: $vgpr1
	s_and_saveexec_b64 s[62:63], vcc
	s_xor_b64 s[38:39], exec, s[62:63]
	s_cbranch_execz .LBB6_18181
; %bb.18180:                            ;   in Loop: Header=BB6_17293 Depth=3
	v_ffbh_u32_e32 v32, v9
	v_min_u32_e32 v32, 32, v32
	v_mov_b32_e32 v8, v33
	v_subrev_u32_e32 v36, 29, v32
	v_bfe_u32 v1, v7, 2, 5
	v_lshlrev_b64 v[7:8], v36, v[7:8]
	v_sub_u32_e32 v8, 30, v32
	v_cmp_eq_u32_e32 vcc, 0, v1
	v_cndmask_b32_e32 v1, v1, v8, vcc
	v_lshlrev_b32_e32 v8, 16, v30
	v_and_b32_e32 v7, 3, v7
	v_and_b32_e32 v8, 0x80000000, v8
	v_cndmask_b32_e32 v7, v9, v7, vcc
	v_lshl_add_u32 v1, v1, 23, v8
	v_lshl_or_b32 v1, v7, 21, v1
	v_add_u32_e32 v1, 0x38000000, v1
                                        ; implicit-def: $vgpr9
                                        ; implicit-def: $vgpr30
.LBB6_18181:                            ;   in Loop: Header=BB6_17293 Depth=3
	s_andn2_saveexec_b64 s[38:39], s[38:39]
; %bb.18182:                            ;   in Loop: Header=BB6_17293 Depth=3
	v_cmp_lt_i16_e32 vcc, -1, v30
	v_mov_b32_e32 v1, 0xff800000
	v_mov_b32_e32 v7, 0x7f800000
	v_cndmask_b32_e32 v1, v1, v7, vcc
	v_cmp_eq_u32_e32 vcc, 0, v9
	v_mov_b32_e32 v7, 0x7f800001
	v_cndmask_b32_e32 v1, v7, v1, vcc
; %bb.18183:                            ;   in Loop: Header=BB6_17293 Depth=3
	s_or_b64 exec, exec, s[38:39]
.LBB6_18184:                            ;   in Loop: Header=BB6_17293 Depth=3
	s_or_b64 exec, exec, s[42:43]
.LBB6_18185:                            ;   in Loop: Header=BB6_17293 Depth=3
	s_or_b64 exec, exec, s[40:41]
	v_lshrrev_b16_e32 v7, 8, v6
	v_cmp_lt_i16_e32 vcc, s44, v7
	s_mov_b64 s[40:41], 0
	s_and_saveexec_b64 s[42:43], vcc
	s_xor_b64 s[42:43], exec, s[42:43]
	s_cbranch_execz .LBB6_18292
; %bb.18186:                            ;   in Loop: Header=BB6_17293 Depth=3
	v_cmp_eq_u16_e32 vcc, s97, v7
	s_mov_b64 s[40:41], -1
	s_and_saveexec_b64 s[38:39], vcc
; %bb.18187:                            ;   in Loop: Header=BB6_17293 Depth=3
	s_xor_b64 s[40:41], exec, -1
; %bb.18188:                            ;   in Loop: Header=BB6_17293 Depth=3
	s_or_b64 exec, exec, s[38:39]
	s_and_b64 s[40:41], s[40:41], exec
	s_or_saveexec_b64 s[42:43], s[42:43]
	v_bfrev_b32_e32 v8, 1
	s_xor_b64 exec, exec, s[42:43]
	s_cbranch_execnz .LBB6_18293
.LBB6_18189:                            ;   in Loop: Header=BB6_17293 Depth=3
	s_or_b64 exec, exec, s[42:43]
	s_and_saveexec_b64 s[38:39], s[40:41]
	s_cbranch_execz .LBB6_18191
.LBB6_18190:                            ;   in Loop: Header=BB6_17293 Depth=3
	v_and_b32_e32 v30, 3, v7
	v_and_b32_e32 v9, 0x7c, v7
	v_cmp_eq_u32_e32 vcc, s86, v9
	v_ffbh_u32_e32 v9, v30
	v_min_u32_e32 v36, 32, v9
	v_mov_b32_e32 v8, v33
	v_subrev_u32_e32 v9, 29, v36
	v_bfe_u32 v32, v7, 2, 5
	v_lshlrev_b64 v[8:9], v9, v[7:8]
	v_cmp_eq_u32_e64 s[40:41], 0, v32
	v_sub_u32_e32 v9, 30, v36
	v_lshlrev_b32_e32 v7, 24, v7
	v_and_b32_e32 v8, 3, v8
	v_cndmask_b32_e64 v9, v32, v9, s[40:41]
	v_and_b32_e32 v7, 0x80000000, v7
	v_cndmask_b32_e64 v8, v30, v8, s[40:41]
	v_lshl_add_u32 v7, v9, 23, v7
	v_lshl_or_b32 v7, v8, 21, v7
	v_cmp_lt_i16_e64 s[42:43], -1, v6
	v_mov_b32_e32 v6, 0xff800000
	v_mov_b32_e32 v8, 0x7f800000
	v_cmp_eq_u32_e64 s[40:41], 0, v30
	v_cndmask_b32_e64 v6, v6, v8, s[42:43]
	v_mov_b32_e32 v8, 0x7f800001
	v_add_u32_e32 v7, 0x38000000, v7
	v_cndmask_b32_e64 v6, v8, v6, s[40:41]
	v_cndmask_b32_e32 v8, v7, v6, vcc
.LBB6_18191:                            ;   in Loop: Header=BB6_17293 Depth=3
	s_or_b64 exec, exec, s[38:39]
	v_add_f32_e32 v8, v1, v8
	v_and_b32_e32 v48, 0x7f800000, v8
	v_mov_b32_e32 v49, v33
	v_cmp_ne_u64_e32 vcc, s[76:77], v[48:49]
	v_and_b32_e32 v6, 0x7fffff, v8
	v_mov_b32_e32 v7, v33
                                        ; implicit-def: $vgpr30
	s_and_saveexec_b64 s[40:41], vcc
	s_xor_b64 s[42:43], exec, s[40:41]
	s_cbranch_execz .LBB6_18205
; %bb.18192:                            ;   in Loop: Header=BB6_17293 Depth=3
	v_and_b32_e32 v48, 0x7fffffff, v8
	v_mov_b32_e32 v49, v33
	v_cmp_gt_u64_e32 vcc, s[78:79], v[48:49]
	v_and_b32_sdwa v1, v8, s97 dst_sel:DWORD dst_unused:UNUSED_PAD src0_sel:BYTE_3 src1_sel:DWORD
                                        ; implicit-def: $vgpr30
	s_and_saveexec_b64 s[40:41], vcc
	s_xor_b64 s[38:39], exec, s[40:41]
	s_cbranch_execz .LBB6_18202
; %bb.18193:                            ;   in Loop: Header=BB6_17293 Depth=3
	v_mov_b32_e32 v30, 0
	v_cmp_ne_u32_e32 vcc, 0, v8
	s_and_saveexec_b64 s[48:49], vcc
	s_cbranch_execz .LBB6_18201
; %bb.18194:                            ;   in Loop: Header=BB6_17293 Depth=3
	v_bfe_u32 v9, v8, 23, 8
	v_cmp_gt_u32_e64 s[40:41], s47, v9
	v_sub_u32_e32 v8, 0x71, v9
	v_cmp_eq_u32_e32 vcc, 0, v9
	v_cndmask_b32_e64 v8, 0, v8, s[40:41]
	v_mov_b32_e32 v30, 0x70
	v_cndmask_b32_e32 v30, v8, v30, vcc
	v_add_u32_e32 v8, 21, v30
	v_or_b32_e32 v32, 0x800000, v6
	v_lshlrev_b64 v[48:49], v8, -1
	v_cndmask_b32_e32 v6, v32, v6, vcc
	v_add_u32_e32 v8, 20, v30
	v_bfi_b32 v48, v48, 0, v6
	v_lshlrev_b64 v[50:51], v8, 1
	v_lshrrev_b64 v[6:7], v30, v[6:7]
	v_bfi_b32 v49, v49, 0, 0
	v_cmp_eq_u64_e64 s[40:41], v[48:49], v[50:51]
	v_mov_b32_e32 v8, v7
	v_mov_b32_e32 v7, v6
	s_and_saveexec_b64 s[50:51], s[40:41]
; %bb.18195:                            ;   in Loop: Header=BB6_17293 Depth=3
	v_bfe_u32 v7, v6, 21, 1
	v_add_co_u32_e64 v7, s[40:41], v6, v7
	v_add_co_u32_e64 v7, s[40:41], -1, v7
; %bb.18196:                            ;   in Loop: Header=BB6_17293 Depth=3
	s_or_b64 exec, exec, s[50:51]
	v_add_u32_e32 v8, 0xffffff81, v9
	v_mov_b32_e32 v9, 0xffffff82
	v_cndmask_b32_e32 v8, v8, v9, vcc
	v_lshrrev_b32_e32 v9, 23, v6
	v_add3_u32 v30, v30, v8, v9
	v_add_u32_e32 v9, 14, v30
	v_and_b32_e32 v7, 0x1fffff, v7
	v_add_u32_e32 v6, v7, v6
	v_mov_b32_e32 v7, v33
	v_cmp_ne_u32_e32 vcc, 0, v9
                                        ; implicit-def: $vgpr8
	s_and_saveexec_b64 s[40:41], vcc
	s_xor_b64 s[40:41], exec, s[40:41]
; %bb.18197:                            ;   in Loop: Header=BB6_17293 Depth=3
	v_cmp_lt_u64_e32 vcc, s[88:89], v[6:7]
	v_add_u32_e32 v8, 15, v30
	v_cndmask_b32_e32 v8, v9, v8, vcc
	v_cndmask_b32_e64 v9, 0, 1, vcc
	v_lshrrev_b64 v[6:7], v9, v[6:7]
; %bb.18198:                            ;   in Loop: Header=BB6_17293 Depth=3
	s_andn2_saveexec_b64 s[40:41], s[40:41]
; %bb.18199:                            ;   in Loop: Header=BB6_17293 Depth=3
	v_bfe_u32 v8, v6, 23, 1
; %bb.18200:                            ;   in Loop: Header=BB6_17293 Depth=3
	s_or_b64 exec, exec, s[40:41]
	v_lshrrev_b64 v[6:7], 21, v[6:7]
	v_cmp_gt_i32_e32 vcc, 32, v8
	v_cndmask_b32_e32 v7, 0, v7, vcc
	v_cndmask_b32_e32 v6, 3, v6, vcc
	v_cmp_eq_u64_e64 s[40:41], 0, v[6:7]
	v_min_i32_e32 v7, 31, v8
	v_lshlrev_b32_e32 v7, 2, v7
	v_cmp_eq_u32_e32 vcc, 0, v8
	v_and_b32_e32 v7, 0xfc, v7
	v_and_or_b32 v6, v6, 3, v7
	s_and_b64 s[40:41], vcc, s[40:41]
	v_cndmask_b32_e64 v6, v6, 0, s[40:41]
	v_or_b32_e32 v30, v6, v1
.LBB6_18201:                            ;   in Loop: Header=BB6_17293 Depth=3
	s_or_b64 exec, exec, s[48:49]
                                        ; implicit-def: $vgpr1
.LBB6_18202:                            ;   in Loop: Header=BB6_17293 Depth=3
	s_andn2_saveexec_b64 s[40:41], s[38:39]
; %bb.18203:                            ;   in Loop: Header=BB6_17293 Depth=3
	v_or_b32_e32 v30, 0x7b, v1
; %bb.18204:                            ;   in Loop: Header=BB6_17293 Depth=3
	s_or_b64 exec, exec, s[40:41]
                                        ; implicit-def: $vgpr8
                                        ; implicit-def: $vgpr6_vgpr7
.LBB6_18205:                            ;   in Loop: Header=BB6_17293 Depth=3
	s_andn2_saveexec_b64 s[40:41], s[42:43]
	s_cbranch_execz .LBB6_18211
; %bb.18206:                            ;   in Loop: Header=BB6_17293 Depth=3
	v_cmp_ne_u64_e32 vcc, 0, v[6:7]
                                        ; implicit-def: $vgpr30
	s_and_saveexec_b64 s[42:43], vcc
	s_xor_b64 s[42:43], exec, s[42:43]
; %bb.18207:                            ;   in Loop: Header=BB6_17293 Depth=3
	v_or_b32_sdwa v30, v8, s44 dst_sel:DWORD dst_unused:UNUSED_PAD src0_sel:BYTE_3 src1_sel:DWORD
                                        ; implicit-def: $vgpr8
; %bb.18208:                            ;   in Loop: Header=BB6_17293 Depth=3
	s_andn2_saveexec_b64 s[42:43], s[42:43]
; %bb.18209:                            ;   in Loop: Header=BB6_17293 Depth=3
	v_cmp_lt_i32_e32 vcc, -1, v8
	v_bfrev_b32_e32 v1, 0.5
	v_mov_b32_e32 v6, 0x7c
	v_cndmask_b32_e32 v30, v1, v6, vcc
; %bb.18210:                            ;   in Loop: Header=BB6_17293 Depth=3
	s_or_b64 exec, exec, s[42:43]
.LBB6_18211:                            ;   in Loop: Header=BB6_17293 Depth=3
	s_or_b64 exec, exec, s[40:41]
	v_and_b32_sdwa v7, v0, s96 dst_sel:DWORD dst_unused:UNUSED_PAD src0_sel:WORD_1 src1_sel:DWORD
	v_lshrrev_b32_e32 v1, 16, v0
	v_cmp_ne_u16_e32 vcc, 0, v7
	v_mov_b32_e32 v6, 0
	s_and_saveexec_b64 s[40:41], vcc
	s_cbranch_execz .LBB6_18219
; %bb.18212:                            ;   in Loop: Header=BB6_17293 Depth=3
	v_cmp_ne_u16_e32 vcc, s97, v7
	v_bfrev_b32_e32 v6, 1
	s_and_saveexec_b64 s[42:43], vcc
	s_cbranch_execz .LBB6_18218
; %bb.18213:                            ;   in Loop: Header=BB6_17293 Depth=3
	v_and_b32_e32 v6, 0x7c0000, v0
	v_bfe_u32 v7, v0, 16, 2
	v_cmp_ne_u32_e32 vcc, s45, v6
                                        ; implicit-def: $vgpr6
	s_and_saveexec_b64 s[62:63], vcc
	s_xor_b64 s[38:39], exec, s[62:63]
	s_cbranch_execz .LBB6_18215
; %bb.18214:                            ;   in Loop: Header=BB6_17293 Depth=3
	v_ffbh_u32_e32 v8, v7
	v_min_u32_e32 v32, 32, v8
	v_subrev_u32_e32 v8, 29, v32
	v_lshlrev_b64 v[8:9], v8, v[1:2]
	v_bfe_u32 v6, v0, 18, 5
	v_sub_u32_e32 v1, 30, v32
	v_and_b32_e32 v8, 3, v8
	v_cmp_eq_u32_e32 vcc, 0, v6
	v_cndmask_b32_e32 v1, v6, v1, vcc
	v_cndmask_b32_e32 v6, v7, v8, vcc
	v_lshlrev_b32_e32 v7, 8, v0
	v_and_b32_e32 v7, 0x80000000, v7
	v_lshl_add_u32 v1, v1, 23, v7
	v_lshl_or_b32 v1, v6, 21, v1
	v_add_u32_e32 v6, 0x38000000, v1
                                        ; implicit-def: $vgpr7
                                        ; implicit-def: $vgpr1
.LBB6_18215:                            ;   in Loop: Header=BB6_17293 Depth=3
	s_andn2_saveexec_b64 s[38:39], s[38:39]
; %bb.18216:                            ;   in Loop: Header=BB6_17293 Depth=3
	v_mov_b32_e32 v6, -1
	v_cmp_gt_i16_sdwa vcc, sext(v1), v6 src0_sel:BYTE_0 src1_sel:DWORD
	v_mov_b32_e32 v1, 0xff800000
	v_mov_b32_e32 v6, 0x7f800000
	v_cndmask_b32_e32 v1, v1, v6, vcc
	v_cmp_eq_u32_e32 vcc, 0, v7
	v_mov_b32_e32 v6, 0x7f800001
	v_cndmask_b32_e32 v6, v6, v1, vcc
; %bb.18217:                            ;   in Loop: Header=BB6_17293 Depth=3
	s_or_b64 exec, exec, s[38:39]
.LBB6_18218:                            ;   in Loop: Header=BB6_17293 Depth=3
	s_or_b64 exec, exec, s[42:43]
.LBB6_18219:                            ;   in Loop: Header=BB6_17293 Depth=3
	s_or_b64 exec, exec, s[40:41]
	v_lshrrev_b32_e32 v1, 16, v11
	v_cmp_gt_i16_sdwa s[42:43], v1, s44 src0_sel:BYTE_0 src1_sel:DWORD
	s_mov_b64 s[40:41], 0
	s_and_saveexec_b64 s[62:63], s[42:43]
	s_xor_b64 s[42:43], exec, s[62:63]
	s_cbranch_execz .LBB6_18294
; %bb.18220:                            ;   in Loop: Header=BB6_17293 Depth=3
	v_cmp_eq_u16_sdwa s[62:63], v1, s97 src0_sel:BYTE_0 src1_sel:DWORD
	s_mov_b64 s[40:41], -1
	s_and_saveexec_b64 vcc, s[62:63]
; %bb.18221:                            ;   in Loop: Header=BB6_17293 Depth=3
	s_xor_b64 s[40:41], exec, -1
; %bb.18222:                            ;   in Loop: Header=BB6_17293 Depth=3
	s_or_b64 exec, exec, vcc
	s_and_b64 s[40:41], s[40:41], exec
	s_or_saveexec_b64 s[42:43], s[42:43]
	v_bfrev_b32_e32 v7, 1
	s_xor_b64 exec, exec, s[42:43]
	s_cbranch_execnz .LBB6_18295
.LBB6_18223:                            ;   in Loop: Header=BB6_17293 Depth=3
	s_or_b64 exec, exec, s[42:43]
	s_and_saveexec_b64 s[38:39], s[40:41]
	s_cbranch_execz .LBB6_18225
.LBB6_18224:                            ;   in Loop: Header=BB6_17293 Depth=3
	v_and_b32_e32 v9, 3, v1
	v_and_b32_e32 v7, 0x7c0000, v11
	v_cmp_eq_u32_e32 vcc, s45, v7
	v_ffbh_u32_e32 v7, v9
	v_min_u32_e32 v36, 32, v7
	v_subrev_u32_e32 v7, 29, v36
	v_bfe_u32 v32, v11, 18, 5
	v_lshlrev_b64 v[7:8], v7, v[1:2]
	v_cmp_eq_u32_e64 s[40:41], 0, v32
	v_sub_u32_e32 v8, 30, v36
	v_cndmask_b32_e64 v8, v32, v8, s[40:41]
	v_lshlrev_b32_e32 v32, 24, v1
	v_and_b32_e32 v7, 3, v7
	v_and_b32_e32 v32, 0x80000000, v32
	v_cndmask_b32_e64 v7, v9, v7, s[40:41]
	v_lshl_add_u32 v8, v8, 23, v32
	v_lshl_or_b32 v7, v7, 21, v8
	v_mov_b32_e32 v8, -1
	v_cmp_gt_i16_sdwa s[42:43], sext(v1), v8 src0_sel:BYTE_0 src1_sel:DWORD
	v_mov_b32_e32 v1, 0xff800000
	v_mov_b32_e32 v8, 0x7f800000
	v_cmp_eq_u32_e64 s[40:41], 0, v9
	v_cndmask_b32_e64 v1, v1, v8, s[42:43]
	v_mov_b32_e32 v8, 0x7f800001
	v_add_u32_e32 v7, 0x38000000, v7
	v_cndmask_b32_e64 v1, v8, v1, s[40:41]
	v_cndmask_b32_e32 v7, v7, v1, vcc
.LBB6_18225:                            ;   in Loop: Header=BB6_17293 Depth=3
	s_or_b64 exec, exec, s[38:39]
	v_add_f32_e32 v8, v6, v7
	v_and_b32_e32 v48, 0x7f800000, v8
	v_mov_b32_e32 v49, v33
	v_cmp_ne_u64_e32 vcc, s[76:77], v[48:49]
	v_and_b32_e32 v6, 0x7fffff, v8
	v_mov_b32_e32 v7, v33
                                        ; implicit-def: $vgpr32
	s_and_saveexec_b64 s[40:41], vcc
	s_xor_b64 s[42:43], exec, s[40:41]
	s_cbranch_execz .LBB6_18239
; %bb.18226:                            ;   in Loop: Header=BB6_17293 Depth=3
	v_and_b32_e32 v48, 0x7fffffff, v8
	v_mov_b32_e32 v49, v33
	v_cmp_gt_u64_e32 vcc, s[78:79], v[48:49]
	v_and_b32_sdwa v1, v8, s97 dst_sel:DWORD dst_unused:UNUSED_PAD src0_sel:BYTE_3 src1_sel:DWORD
                                        ; implicit-def: $vgpr32
	s_and_saveexec_b64 s[40:41], vcc
	s_xor_b64 s[38:39], exec, s[40:41]
	s_cbranch_execz .LBB6_18236
; %bb.18227:                            ;   in Loop: Header=BB6_17293 Depth=3
	v_mov_b32_e32 v32, 0
	v_cmp_ne_u32_e32 vcc, 0, v8
	s_and_saveexec_b64 s[48:49], vcc
	s_cbranch_execz .LBB6_18235
; %bb.18228:                            ;   in Loop: Header=BB6_17293 Depth=3
	v_bfe_u32 v9, v8, 23, 8
	v_cmp_gt_u32_e64 s[40:41], s47, v9
	v_sub_u32_e32 v8, 0x71, v9
	v_cmp_eq_u32_e32 vcc, 0, v9
	v_cndmask_b32_e64 v8, 0, v8, s[40:41]
	v_mov_b32_e32 v32, 0x70
	v_cndmask_b32_e32 v32, v8, v32, vcc
	v_add_u32_e32 v8, 21, v32
	v_or_b32_e32 v36, 0x800000, v6
	v_lshlrev_b64 v[48:49], v8, -1
	v_cndmask_b32_e32 v6, v36, v6, vcc
	v_add_u32_e32 v8, 20, v32
	v_bfi_b32 v48, v48, 0, v6
	v_lshlrev_b64 v[50:51], v8, 1
	v_lshrrev_b64 v[6:7], v32, v[6:7]
	v_bfi_b32 v49, v49, 0, 0
	v_cmp_eq_u64_e64 s[40:41], v[48:49], v[50:51]
	v_mov_b32_e32 v8, v7
	v_mov_b32_e32 v7, v6
	s_and_saveexec_b64 s[50:51], s[40:41]
; %bb.18229:                            ;   in Loop: Header=BB6_17293 Depth=3
	v_bfe_u32 v7, v6, 21, 1
	v_add_co_u32_e64 v7, s[40:41], v6, v7
	v_add_co_u32_e64 v7, s[40:41], -1, v7
; %bb.18230:                            ;   in Loop: Header=BB6_17293 Depth=3
	s_or_b64 exec, exec, s[50:51]
	v_add_u32_e32 v8, 0xffffff81, v9
	v_mov_b32_e32 v9, 0xffffff82
	v_cndmask_b32_e32 v8, v8, v9, vcc
	v_lshrrev_b32_e32 v9, 23, v6
	v_add3_u32 v32, v32, v8, v9
	v_add_u32_e32 v9, 14, v32
	v_and_b32_e32 v7, 0x1fffff, v7
	v_add_u32_e32 v6, v7, v6
	v_mov_b32_e32 v7, v33
	v_cmp_ne_u32_e32 vcc, 0, v9
                                        ; implicit-def: $vgpr8
	s_and_saveexec_b64 s[40:41], vcc
	s_xor_b64 s[40:41], exec, s[40:41]
; %bb.18231:                            ;   in Loop: Header=BB6_17293 Depth=3
	v_cmp_lt_u64_e32 vcc, s[88:89], v[6:7]
	v_add_u32_e32 v8, 15, v32
	v_cndmask_b32_e32 v8, v9, v8, vcc
	v_cndmask_b32_e64 v9, 0, 1, vcc
	v_lshrrev_b64 v[6:7], v9, v[6:7]
; %bb.18232:                            ;   in Loop: Header=BB6_17293 Depth=3
	s_andn2_saveexec_b64 s[40:41], s[40:41]
; %bb.18233:                            ;   in Loop: Header=BB6_17293 Depth=3
	v_bfe_u32 v8, v6, 23, 1
; %bb.18234:                            ;   in Loop: Header=BB6_17293 Depth=3
	s_or_b64 exec, exec, s[40:41]
	v_lshrrev_b64 v[6:7], 21, v[6:7]
	v_cmp_gt_i32_e32 vcc, 32, v8
	v_cndmask_b32_e32 v7, 0, v7, vcc
	v_cndmask_b32_e32 v6, 3, v6, vcc
	v_cmp_eq_u64_e64 s[40:41], 0, v[6:7]
	v_min_i32_e32 v7, 31, v8
	v_lshlrev_b32_e32 v7, 2, v7
	v_cmp_eq_u32_e32 vcc, 0, v8
	v_and_b32_e32 v7, 0xfc, v7
	v_and_or_b32 v6, v6, 3, v7
	s_and_b64 s[40:41], vcc, s[40:41]
	v_cndmask_b32_e64 v6, v6, 0, s[40:41]
	v_or_b32_e32 v32, v6, v1
.LBB6_18235:                            ;   in Loop: Header=BB6_17293 Depth=3
	s_or_b64 exec, exec, s[48:49]
                                        ; implicit-def: $vgpr1
.LBB6_18236:                            ;   in Loop: Header=BB6_17293 Depth=3
	s_andn2_saveexec_b64 s[40:41], s[38:39]
; %bb.18237:                            ;   in Loop: Header=BB6_17293 Depth=3
	v_or_b32_e32 v32, 0x7b, v1
; %bb.18238:                            ;   in Loop: Header=BB6_17293 Depth=3
	s_or_b64 exec, exec, s[40:41]
                                        ; implicit-def: $vgpr8
                                        ; implicit-def: $vgpr6_vgpr7
.LBB6_18239:                            ;   in Loop: Header=BB6_17293 Depth=3
	s_andn2_saveexec_b64 s[40:41], s[42:43]
	s_cbranch_execz .LBB6_18245
; %bb.18240:                            ;   in Loop: Header=BB6_17293 Depth=3
	v_cmp_ne_u64_e32 vcc, 0, v[6:7]
                                        ; implicit-def: $vgpr32
	s_and_saveexec_b64 s[42:43], vcc
	s_xor_b64 s[42:43], exec, s[42:43]
; %bb.18241:                            ;   in Loop: Header=BB6_17293 Depth=3
	v_or_b32_sdwa v32, v8, s44 dst_sel:DWORD dst_unused:UNUSED_PAD src0_sel:BYTE_3 src1_sel:DWORD
                                        ; implicit-def: $vgpr8
; %bb.18242:                            ;   in Loop: Header=BB6_17293 Depth=3
	s_andn2_saveexec_b64 s[42:43], s[42:43]
; %bb.18243:                            ;   in Loop: Header=BB6_17293 Depth=3
	v_cmp_lt_i32_e32 vcc, -1, v8
	v_bfrev_b32_e32 v1, 0.5
	v_mov_b32_e32 v6, 0x7c
	v_cndmask_b32_e32 v32, v1, v6, vcc
; %bb.18244:                            ;   in Loop: Header=BB6_17293 Depth=3
	s_or_b64 exec, exec, s[42:43]
.LBB6_18245:                            ;   in Loop: Header=BB6_17293 Depth=3
	s_or_b64 exec, exec, s[40:41]
	v_cmp_lt_u32_e32 vcc, s57, v0
	v_mov_b32_e32 v6, 0
	s_and_saveexec_b64 s[40:41], vcc
	s_cbranch_execz .LBB6_18253
; %bb.18246:                            ;   in Loop: Header=BB6_17293 Depth=3
	v_lshrrev_b32_e32 v1, 24, v0
	v_cmp_ne_u32_e32 vcc, s97, v1
	v_bfrev_b32_e32 v6, 1
	s_and_saveexec_b64 s[42:43], vcc
	s_cbranch_execz .LBB6_18252
; %bb.18247:                            ;   in Loop: Header=BB6_17293 Depth=3
	v_and_b32_e32 v6, 0x7c000000, v0
	v_bfe_u32 v7, v0, 24, 2
	v_cmp_ne_u32_e32 vcc, s68, v6
                                        ; implicit-def: $vgpr6
	s_and_saveexec_b64 s[62:63], vcc
	s_xor_b64 s[38:39], exec, s[62:63]
	s_cbranch_execz .LBB6_18249
; %bb.18248:                            ;   in Loop: Header=BB6_17293 Depth=3
	v_ffbh_u32_e32 v8, v7
	v_min_u32_e32 v36, 32, v8
	v_subrev_u32_e32 v8, 29, v36
	v_bfe_u32 v6, v0, 26, 5
	v_lshlrev_b64 v[8:9], v8, v[1:2]
	v_sub_u32_e32 v1, 30, v36
	v_cmp_eq_u32_e32 vcc, 0, v6
	v_and_b32_e32 v8, 3, v8
	v_cndmask_b32_e32 v1, v6, v1, vcc
	v_and_b32_e32 v0, 0x80000000, v0
	v_cndmask_b32_e32 v6, v7, v8, vcc
	v_lshl_add_u32 v0, v1, 23, v0
	v_lshl_or_b32 v0, v6, 21, v0
	v_add_u32_e32 v6, 0x38000000, v0
                                        ; implicit-def: $vgpr7
                                        ; implicit-def: $vgpr0_vgpr1
.LBB6_18249:                            ;   in Loop: Header=BB6_17293 Depth=3
	s_andn2_saveexec_b64 s[38:39], s[38:39]
; %bb.18250:                            ;   in Loop: Header=BB6_17293 Depth=3
	v_cmp_lt_i32_e32 vcc, -1, v0
	v_mov_b32_e32 v0, 0xff800000
	v_mov_b32_e32 v1, 0x7f800000
	v_cndmask_b32_e32 v0, v0, v1, vcc
	v_cmp_eq_u32_e32 vcc, 0, v7
	v_mov_b32_e32 v1, 0x7f800001
	v_cndmask_b32_e32 v6, v1, v0, vcc
; %bb.18251:                            ;   in Loop: Header=BB6_17293 Depth=3
	s_or_b64 exec, exec, s[38:39]
.LBB6_18252:                            ;   in Loop: Header=BB6_17293 Depth=3
	s_or_b64 exec, exec, s[42:43]
.LBB6_18253:                            ;   in Loop: Header=BB6_17293 Depth=3
	s_or_b64 exec, exec, s[40:41]
	v_bfe_u32 v1, v11, 24, 2
	v_and_b32_e32 v7, 0x7c000000, v11
	v_cmp_eq_u32_e32 vcc, s68, v7
	v_ffbh_u32_e32 v7, v1
	v_min_u32_e32 v36, 32, v7
	v_lshrrev_b32_e32 v0, 24, v11
	v_subrev_u32_e32 v7, 29, v36
	v_bfe_u32 v9, v11, 26, 5
	v_lshlrev_b64 v[7:8], v7, v[0:1]
	v_cmp_eq_u32_e64 s[40:41], 0, v9
	v_sub_u32_e32 v8, 30, v36
	v_and_b32_e32 v7, 3, v7
	v_cndmask_b32_e64 v8, v9, v8, s[40:41]
	v_and_b32_e32 v9, 0x80000000, v11
	v_cndmask_b32_e64 v7, v1, v7, s[40:41]
	v_lshl_add_u32 v8, v8, 23, v9
	v_cmp_lt_i64_e64 s[42:43], -1, v[10:11]
	v_lshl_or_b32 v7, v7, 21, v8
	v_cmp_eq_u32_e64 s[40:41], 0, v1
	v_mov_b32_e32 v1, 0xff800000
	v_mov_b32_e32 v8, 0x7f800000
	v_cndmask_b32_e64 v1, v1, v8, s[42:43]
	v_mov_b32_e32 v8, 0x7f800001
	v_add_u32_e32 v7, 0x38000000, v7
	v_cndmask_b32_e64 v1, v8, v1, s[40:41]
	v_cndmask_b32_e32 v1, v7, v1, vcc
	v_cmp_ne_u32_e32 vcc, s97, v0
	v_bfrev_b32_e32 v0, 1
	v_cndmask_b32_e32 v0, v0, v1, vcc
	v_cmp_lt_u64_e32 vcc, s[56:57], v[10:11]
	v_mov_b32_e32 v9, v33
	v_cndmask_b32_e32 v0, 0, v0, vcc
	v_add_f32_e32 v7, v0, v6
	v_and_b32_e32 v8, 0x7f800000, v7
	v_cmp_ne_u64_e32 vcc, s[76:77], v[8:9]
	v_and_b32_e32 v0, 0x7fffff, v7
	v_mov_b32_e32 v1, v33
                                        ; implicit-def: $vgpr6
	s_and_saveexec_b64 s[40:41], vcc
	s_xor_b64 s[42:43], exec, s[40:41]
	s_cbranch_execz .LBB6_18267
; %bb.18254:                            ;   in Loop: Header=BB6_17293 Depth=3
	v_and_b32_e32 v8, 0x7fffffff, v7
	v_mov_b32_e32 v9, v33
	v_cmp_gt_u64_e32 vcc, s[78:79], v[8:9]
	v_and_b32_sdwa v8, v7, s97 dst_sel:DWORD dst_unused:UNUSED_PAD src0_sel:BYTE_3 src1_sel:DWORD
                                        ; implicit-def: $vgpr6
	s_and_saveexec_b64 s[40:41], vcc
	s_xor_b64 s[38:39], exec, s[40:41]
	s_cbranch_execz .LBB6_18264
; %bb.18255:                            ;   in Loop: Header=BB6_17293 Depth=3
	v_mov_b32_e32 v6, 0
	v_cmp_ne_u32_e32 vcc, 0, v7
	s_and_saveexec_b64 s[48:49], vcc
	s_cbranch_execz .LBB6_18263
; %bb.18256:                            ;   in Loop: Header=BB6_17293 Depth=3
	v_bfe_u32 v9, v7, 23, 8
	v_cmp_gt_u32_e64 s[40:41], s47, v9
	v_sub_u32_e32 v6, 0x71, v9
	v_cmp_eq_u32_e32 vcc, 0, v9
	v_cndmask_b32_e64 v6, 0, v6, s[40:41]
	v_mov_b32_e32 v10, 0x70
	v_cndmask_b32_e32 v10, v6, v10, vcc
	v_or_b32_e32 v7, 0x800000, v0
	v_add_u32_e32 v6, 21, v10
	v_cndmask_b32_e32 v0, v7, v0, vcc
	v_lshlrev_b64 v[6:7], v6, -1
	v_add_u32_e32 v11, 20, v10
	v_bfi_b32 v6, v6, 0, v0
	v_lshlrev_b64 v[48:49], v11, 1
	v_lshrrev_b64 v[0:1], v10, v[0:1]
	v_bfi_b32 v7, v7, 0, 0
	v_cmp_eq_u64_e64 s[40:41], v[6:7], v[48:49]
	v_mov_b32_e32 v7, v1
	v_mov_b32_e32 v6, v0
	s_and_saveexec_b64 s[50:51], s[40:41]
; %bb.18257:                            ;   in Loop: Header=BB6_17293 Depth=3
	v_bfe_u32 v1, v0, 21, 1
	v_add_co_u32_e64 v1, s[40:41], v0, v1
	v_add_co_u32_e64 v6, s[40:41], -1, v1
; %bb.18258:                            ;   in Loop: Header=BB6_17293 Depth=3
	s_or_b64 exec, exec, s[50:51]
	v_add_u32_e32 v1, 0xffffff81, v9
	v_mov_b32_e32 v7, 0xffffff82
	v_cndmask_b32_e32 v1, v1, v7, vcc
	v_lshrrev_b32_e32 v7, 23, v0
	v_add3_u32 v9, v10, v1, v7
	v_add_u32_e32 v7, 14, v9
	v_and_b32_e32 v1, 0x1fffff, v6
	v_add_u32_e32 v0, v1, v0
	v_mov_b32_e32 v1, v33
	v_cmp_ne_u32_e32 vcc, 0, v7
                                        ; implicit-def: $vgpr6
	s_and_saveexec_b64 s[40:41], vcc
	s_xor_b64 s[40:41], exec, s[40:41]
; %bb.18259:                            ;   in Loop: Header=BB6_17293 Depth=3
	v_cmp_lt_u64_e32 vcc, s[88:89], v[0:1]
	v_add_u32_e32 v6, 15, v9
	v_cndmask_b32_e32 v6, v7, v6, vcc
	v_cndmask_b32_e64 v7, 0, 1, vcc
	v_lshrrev_b64 v[0:1], v7, v[0:1]
; %bb.18260:                            ;   in Loop: Header=BB6_17293 Depth=3
	s_andn2_saveexec_b64 s[40:41], s[40:41]
; %bb.18261:                            ;   in Loop: Header=BB6_17293 Depth=3
	v_bfe_u32 v6, v0, 23, 1
; %bb.18262:                            ;   in Loop: Header=BB6_17293 Depth=3
	s_or_b64 exec, exec, s[40:41]
	v_lshrrev_b64 v[0:1], 21, v[0:1]
	v_cmp_gt_i32_e32 vcc, 32, v6
	v_cndmask_b32_e32 v1, 0, v1, vcc
	v_cndmask_b32_e32 v0, 3, v0, vcc
	v_cmp_eq_u64_e64 s[40:41], 0, v[0:1]
	v_min_i32_e32 v1, 31, v6
	v_lshlrev_b32_e32 v1, 2, v1
	v_cmp_eq_u32_e32 vcc, 0, v6
	v_and_b32_e32 v1, 0xfc, v1
	v_and_or_b32 v0, v0, 3, v1
	s_and_b64 s[40:41], vcc, s[40:41]
	v_cndmask_b32_e64 v0, v0, 0, s[40:41]
	v_or_b32_e32 v6, v0, v8
.LBB6_18263:                            ;   in Loop: Header=BB6_17293 Depth=3
	s_or_b64 exec, exec, s[48:49]
                                        ; implicit-def: $vgpr8
.LBB6_18264:                            ;   in Loop: Header=BB6_17293 Depth=3
	s_andn2_saveexec_b64 s[40:41], s[38:39]
; %bb.18265:                            ;   in Loop: Header=BB6_17293 Depth=3
	v_or_b32_e32 v6, 0x7b, v8
; %bb.18266:                            ;   in Loop: Header=BB6_17293 Depth=3
	s_or_b64 exec, exec, s[40:41]
                                        ; implicit-def: $vgpr7
                                        ; implicit-def: $vgpr0_vgpr1
.LBB6_18267:                            ;   in Loop: Header=BB6_17293 Depth=3
	s_andn2_saveexec_b64 s[40:41], s[42:43]
	s_cbranch_execz .LBB6_18273
; %bb.18268:                            ;   in Loop: Header=BB6_17293 Depth=3
	v_cmp_ne_u64_e32 vcc, 0, v[0:1]
                                        ; implicit-def: $vgpr6
	s_and_saveexec_b64 s[42:43], vcc
	s_xor_b64 s[42:43], exec, s[42:43]
; %bb.18269:                            ;   in Loop: Header=BB6_17293 Depth=3
	v_or_b32_sdwa v6, v7, s44 dst_sel:DWORD dst_unused:UNUSED_PAD src0_sel:BYTE_3 src1_sel:DWORD
                                        ; implicit-def: $vgpr7
; %bb.18270:                            ;   in Loop: Header=BB6_17293 Depth=3
	s_andn2_saveexec_b64 s[42:43], s[42:43]
; %bb.18271:                            ;   in Loop: Header=BB6_17293 Depth=3
	v_cmp_lt_i32_e32 vcc, -1, v7
	v_bfrev_b32_e32 v0, 0.5
	v_mov_b32_e32 v1, 0x7c
	v_cndmask_b32_e32 v6, v0, v1, vcc
; %bb.18272:                            ;   in Loop: Header=BB6_17293 Depth=3
	s_or_b64 exec, exec, s[42:43]
.LBB6_18273:                            ;   in Loop: Header=BB6_17293 Depth=3
	s_or_b64 exec, exec, s[40:41]
	v_lshl_or_b32 v0, v38, 8, v14
	v_lshlrev_b32_e32 v1, 16, v12
	v_lshlrev_b32_e32 v7, 24, v13
	v_or3_b32 v9, v0, v1, v7
	v_lshl_or_b32 v0, v28, 8, v26
	v_lshlrev_b32_e32 v1, 16, v31
	v_lshlrev_b32_e32 v7, 24, v35
	v_or3_b32 v8, v0, v1, v7
	;; [unrolled: 4-line block ×3, first 2 shown]
	v_lshlrev_b32_e32 v0, 24, v6
	v_lshlrev_b32_e32 v1, 16, v32
	v_lshl_or_b32 v6, v30, 8, v27
	v_or3_b32 v11, v6, v1, v0
	s_mov_b64 s[48:49], 0
	s_mov_b64 s[38:39], -1
.LBB6_18274:                            ;   Parent Loop BB6_47 Depth=1
                                        ;     Parent Loop BB6_13101 Depth=2
                                        ;       Parent Loop BB6_17293 Depth=3
                                        ; =>      This Inner Loop Header: Depth=4
	s_cmp_eq_u32 s48, 1
	s_cselect_b64 s[40:41], -1, 0
	v_cndmask_b32_e64 v1, v22, v24, s[40:41]
	v_cndmask_b32_e64 v0, v21, v23, s[40:41]
	global_store_dwordx4 v[0:1], v[8:11], off glc slc
	v_add_co_u32_e32 v0, vcc, 0x400, v0
	s_cmp_eq_u32 s48, 0
	v_addc_co_u32_e32 v1, vcc, 0, v1, vcc
	s_cselect_b64 vcc, -1, 0
	s_and_b64 s[42:43], exec, s[38:39]
	s_mov_b64 s[48:49], 1
	v_cndmask_b32_e64 v23, v23, v0, s[40:41]
	s_mov_b64 s[38:39], 0
	v_cndmask_b32_e64 v24, v24, v1, s[40:41]
	v_cndmask_b32_e32 v22, v22, v1, vcc
	v_cndmask_b32_e32 v21, v21, v0, vcc
	s_mov_b64 vcc, s[42:43]
	s_cbranch_vccnz .LBB6_18274
; %bb.18275:                            ;   in Loop: Header=BB6_17293 Depth=3
	buffer_load_dword v0, off, s[0:3], s33 offset:492 ; 4-byte Folded Reload
	buffer_load_dword v1, off, s[0:3], s33 offset:496 ; 4-byte Folded Reload
	s_waitcnt vmcnt(1)
	v_add_co_u32_e32 v2, vcc, v2, v0
	s_waitcnt vmcnt(0)
	v_addc_co_u32_e32 v3, vcc, v3, v1, vcc
	v_add_co_u32_e32 v4, vcc, v4, v0
	buffer_load_dword v0, off, s[0:3], s33 offset:484 ; 4-byte Folded Reload
	v_addc_co_u32_e32 v5, vcc, v5, v1, vcc
	buffer_load_dword v1, off, s[0:3], s33 offset:488 ; 4-byte Folded Reload
	s_waitcnt vmcnt(1)
	v_add_co_u32_e32 v21, vcc, v21, v0
	s_waitcnt vmcnt(0)
	v_addc_co_u32_e32 v22, vcc, v22, v1, vcc
	v_add_co_u32_e32 v23, vcc, v23, v0
	buffer_load_dword v0, off, s[0:3], s33 offset:444 ; 4-byte Folded Reload
	v_addc_co_u32_e32 v24, vcc, v24, v1, vcc
	s_waitcnt vmcnt(0)
	v_sub_u32_e32 v20, v20, v0
	buffer_load_dword v0, off, s[0:3], s33 offset:284 ; 4-byte Folded Reload
	v_cmp_gt_i32_e32 vcc, 16, v20
	s_or_b64 s[36:37], vcc, s[36:37]
	s_waitcnt vmcnt(0)
	v_sub_u32_e32 v19, v19, v0
	s_andn2_b64 exec, exec, s[36:37]
	s_cbranch_execnz .LBB6_17293
	s_branch .LBB6_18296
.LBB6_18276:                            ;   in Loop: Header=BB6_17293 Depth=3
	s_or_saveexec_b64 s[42:43], s[42:43]
	v_bfrev_b32_e32 v1, 1
	s_xor_b64 exec, exec, s[42:43]
	s_cbranch_execz .LBB6_17761
.LBB6_18277:                            ;   in Loop: Header=BB6_17293 Depth=3
	v_cmp_ne_u16_sdwa s[62:63], v8, v33 src0_sel:BYTE_0 src1_sel:DWORD
	s_andn2_b64 s[40:41], s[40:41], exec
	s_and_b64 s[62:63], s[62:63], exec
	v_mov_b32_e32 v1, 0
	s_or_b64 s[40:41], s[40:41], s[62:63]
	s_or_b64 exec, exec, s[42:43]
	s_and_saveexec_b64 s[38:39], s[40:41]
	s_cbranch_execnz .LBB6_17762
	s_branch .LBB6_17763
.LBB6_18278:                            ;   in Loop: Header=BB6_17293 Depth=3
	s_or_saveexec_b64 s[42:43], s[42:43]
	v_bfrev_b32_e32 v7, 1
	s_xor_b64 exec, exec, s[42:43]
	s_cbranch_execz .LBB6_17795
.LBB6_18279:                            ;   in Loop: Header=BB6_17293 Depth=3
	v_cmp_ne_u16_e32 vcc, 0, v6
	s_andn2_b64 s[40:41], s[40:41], exec
	s_and_b64 s[62:63], vcc, exec
	v_mov_b32_e32 v7, 0
	s_or_b64 s[40:41], s[40:41], s[62:63]
	s_or_b64 exec, exec, s[42:43]
	s_and_saveexec_b64 s[38:39], s[40:41]
	s_cbranch_execnz .LBB6_17796
	s_branch .LBB6_17797
.LBB6_18280:                            ;   in Loop: Header=BB6_17293 Depth=3
	s_or_saveexec_b64 s[42:43], s[42:43]
	v_bfrev_b32_e32 v7, 1
	s_xor_b64 exec, exec, s[42:43]
	s_cbranch_execz .LBB6_17829
.LBB6_18281:                            ;   in Loop: Header=BB6_17293 Depth=3
	v_cmp_ne_u16_sdwa s[62:63], v1, v33 src0_sel:BYTE_0 src1_sel:DWORD
	s_andn2_b64 s[40:41], s[40:41], exec
	s_and_b64 s[62:63], s[62:63], exec
	v_mov_b32_e32 v7, 0
	s_or_b64 s[40:41], s[40:41], s[62:63]
	s_or_b64 exec, exec, s[42:43]
	s_and_saveexec_b64 s[38:39], s[40:41]
	s_cbranch_execnz .LBB6_17830
	s_branch .LBB6_17831
.LBB6_18282:                            ;   in Loop: Header=BB6_17293 Depth=3
	s_or_saveexec_b64 s[42:43], s[42:43]
	v_bfrev_b32_e32 v7, 1
	s_xor_b64 exec, exec, s[42:43]
	s_cbranch_execz .LBB6_17927
.LBB6_18283:                            ;   in Loop: Header=BB6_17293 Depth=3
	v_cmp_ne_u16_e32 vcc, 0, v12
	s_andn2_b64 s[40:41], s[40:41], exec
	s_and_b64 s[62:63], vcc, exec
	v_mov_b32_e32 v7, 0
	s_or_b64 s[40:41], s[40:41], s[62:63]
	s_or_b64 exec, exec, s[42:43]
	s_and_saveexec_b64 s[38:39], s[40:41]
	s_cbranch_execnz .LBB6_17928
	s_branch .LBB6_17929
.LBB6_18284:                            ;   in Loop: Header=BB6_17293 Depth=3
	s_or_saveexec_b64 s[42:43], s[42:43]
	v_bfrev_b32_e32 v7, 1
	s_xor_b64 exec, exec, s[42:43]
	s_cbranch_execz .LBB6_17961
.LBB6_18285:                            ;   in Loop: Header=BB6_17293 Depth=3
	v_cmp_ne_u16_sdwa s[62:63], v1, v33 src0_sel:BYTE_0 src1_sel:DWORD
	s_andn2_b64 s[40:41], s[40:41], exec
	s_and_b64 s[62:63], s[62:63], exec
	v_mov_b32_e32 v7, 0
	s_or_b64 s[40:41], s[40:41], s[62:63]
	s_or_b64 exec, exec, s[42:43]
	s_and_saveexec_b64 s[38:39], s[40:41]
	s_cbranch_execnz .LBB6_17962
	s_branch .LBB6_17963
.LBB6_18286:                            ;   in Loop: Header=BB6_17293 Depth=3
	s_or_saveexec_b64 s[42:43], s[42:43]
	v_bfrev_b32_e32 v1, 1
	s_xor_b64 exec, exec, s[42:43]
	s_cbranch_execz .LBB6_18023
.LBB6_18287:                            ;   in Loop: Header=BB6_17293 Depth=3
	v_cmp_ne_u16_sdwa s[62:63], v10, v33 src0_sel:BYTE_0 src1_sel:DWORD
	s_andn2_b64 s[40:41], s[40:41], exec
	s_and_b64 s[62:63], s[62:63], exec
	v_mov_b32_e32 v1, 0
	s_or_b64 s[40:41], s[40:41], s[62:63]
	s_or_b64 exec, exec, s[42:43]
	s_and_saveexec_b64 s[38:39], s[40:41]
	s_cbranch_execnz .LBB6_18024
	s_branch .LBB6_18025
.LBB6_18288:                            ;   in Loop: Header=BB6_17293 Depth=3
	s_or_saveexec_b64 s[42:43], s[42:43]
	v_bfrev_b32_e32 v7, 1
	s_xor_b64 exec, exec, s[42:43]
	s_cbranch_execz .LBB6_18057
.LBB6_18289:                            ;   in Loop: Header=BB6_17293 Depth=3
	v_cmp_ne_u16_e32 vcc, 0, v6
	s_andn2_b64 s[40:41], s[40:41], exec
	s_and_b64 s[62:63], vcc, exec
	v_mov_b32_e32 v7, 0
	s_or_b64 s[40:41], s[40:41], s[62:63]
	s_or_b64 exec, exec, s[42:43]
	s_and_saveexec_b64 s[38:39], s[40:41]
	s_cbranch_execnz .LBB6_18058
	s_branch .LBB6_18059
.LBB6_18290:                            ;   in Loop: Header=BB6_17293 Depth=3
	s_or_saveexec_b64 s[42:43], s[42:43]
	v_bfrev_b32_e32 v7, 1
	s_xor_b64 exec, exec, s[42:43]
	s_cbranch_execz .LBB6_18091
.LBB6_18291:                            ;   in Loop: Header=BB6_17293 Depth=3
	v_cmp_ne_u16_sdwa s[62:63], v1, v33 src0_sel:BYTE_0 src1_sel:DWORD
	s_andn2_b64 s[40:41], s[40:41], exec
	s_and_b64 s[62:63], s[62:63], exec
	v_mov_b32_e32 v7, 0
	s_or_b64 s[40:41], s[40:41], s[62:63]
	s_or_b64 exec, exec, s[42:43]
	s_and_saveexec_b64 s[38:39], s[40:41]
	s_cbranch_execnz .LBB6_18092
	s_branch .LBB6_18093
.LBB6_18292:                            ;   in Loop: Header=BB6_17293 Depth=3
	s_or_saveexec_b64 s[42:43], s[42:43]
	v_bfrev_b32_e32 v8, 1
	s_xor_b64 exec, exec, s[42:43]
	s_cbranch_execz .LBB6_18189
.LBB6_18293:                            ;   in Loop: Header=BB6_17293 Depth=3
	v_cmp_ne_u16_e32 vcc, 0, v7
	s_andn2_b64 s[40:41], s[40:41], exec
	s_and_b64 s[62:63], vcc, exec
	v_mov_b32_e32 v8, 0
	s_or_b64 s[40:41], s[40:41], s[62:63]
	s_or_b64 exec, exec, s[42:43]
	s_and_saveexec_b64 s[38:39], s[40:41]
	s_cbranch_execnz .LBB6_18190
	s_branch .LBB6_18191
.LBB6_18294:                            ;   in Loop: Header=BB6_17293 Depth=3
	s_or_saveexec_b64 s[42:43], s[42:43]
	v_bfrev_b32_e32 v7, 1
	s_xor_b64 exec, exec, s[42:43]
	s_cbranch_execz .LBB6_18223
.LBB6_18295:                            ;   in Loop: Header=BB6_17293 Depth=3
	v_cmp_ne_u16_sdwa s[62:63], v1, v33 src0_sel:BYTE_0 src1_sel:DWORD
	s_andn2_b64 s[40:41], s[40:41], exec
	s_and_b64 s[62:63], s[62:63], exec
	v_mov_b32_e32 v7, 0
	s_or_b64 s[40:41], s[40:41], s[62:63]
	s_or_b64 exec, exec, s[42:43]
	s_and_saveexec_b64 s[38:39], s[40:41]
	s_cbranch_execnz .LBB6_18224
	s_branch .LBB6_18225
.LBB6_18296:                            ;   in Loop: Header=BB6_13101 Depth=2
	s_or_b64 exec, exec, s[36:37]
.LBB6_18297:                            ;   in Loop: Header=BB6_13101 Depth=2
	s_or_b64 exec, exec, s[34:35]
	buffer_load_dword v0, off, s[0:3], s33 offset:452 ; 4-byte Folded Reload
	v_cmp_lt_i32_e32 vcc, 0, v19
	s_waitcnt vmcnt(0)
	v_and_b32_e32 v0, 15, v0
	v_sub_u32_e32 v1, v18, v0
	v_cndmask_b32_e64 v3, v18, v0, s[28:29]
	buffer_load_dword v0, off, s[0:3], s33 offset:284 ; 4-byte Folded Reload
	v_cndmask_b32_e64 v1, 0, v1, s[28:29]
	v_add3_u32 v5, v17, v15, v1
	s_waitcnt vmcnt(0)
	v_cndmask_b32_e32 v0, 0, v0, vcc
	v_sub_u32_e32 v0, v0, v19
	v_cmp_ne_u32_e32 vcc, 0, v3
	v_lshl_add_u32 v2, v0, 6, v16
	s_and_b64 s[28:29], vcc, exec
.LBB6_18298:                            ;   in Loop: Header=BB6_13101 Depth=2
	s_or_b64 exec, exec, s[30:31]
	s_and_saveexec_b64 s[42:43], s[28:29]
	s_cbranch_execz .LBB6_20697
.LBB6_18299:                            ;   in Loop: Header=BB6_13101 Depth=2
	s_waitcnt vmcnt(0)
	v_ashrrev_i32_e32 v0, 31, v2
	v_ashrrev_i32_e32 v1, 31, v3
	v_lshrrev_b32_e32 v0, 26, v0
	v_lshrrev_b32_e32 v1, 21, v1
	v_add_u32_e32 v0, v2, v0
	v_add_u32_e32 v1, v3, v1
	v_ashrrev_i32_e32 v4, 6, v0
	v_ashrrev_i32_e32 v1, 11, v1
	v_sub_u32_e32 v34, v1, v4
	v_cmp_lt_i32_e32 vcc, 0, v34
	s_and_saveexec_b64 s[40:41], vcc
	s_cbranch_execz .LBB6_20613
; %bb.18300:                            ;   in Loop: Header=BB6_13101 Depth=2
	v_and_b32_e32 v0, 0xffffffc0, v0
	buffer_store_dword v1, off, s[0:3], s33 offset:312 ; 4-byte Folded Spill
	buffer_store_dword v3, off, s[0:3], s33 offset:300 ; 4-byte Folded Spill
	;; [unrolled: 1-line block ×3, first 2 shown]
	v_sub_u32_e32 v0, v2, v0
	buffer_store_dword v4, off, s[0:3], s33 offset:308 ; 4-byte Folded Spill
	v_lshlrev_b32_e32 v1, 11, v4
	buffer_store_dword v5, off, s[0:3], s33 offset:296 ; 4-byte Folded Spill
	v_add3_u32 v2, v5, v0, v1
	buffer_load_dword v0, off, s[0:3], s33 offset:508 ; 4-byte Folded Reload
	buffer_load_dword v1, off, s[0:3], s33 offset:512 ; 4-byte Folded Reload
	v_ashrrev_i32_e32 v3, 31, v2
	s_trap 2
	s_mov_b64 s[30:31], 0
	s_waitcnt vmcnt(1)
	v_add_co_u32_e32 v8, vcc, v2, v0
	s_waitcnt vmcnt(0)
	v_addc_co_u32_e32 v9, vcc, v3, v1, vcc
	ds_read_b64 v[0:1], v0
	buffer_load_dword v4, off, s[0:3], s33 offset:516 ; 4-byte Folded Reload
	buffer_load_dword v5, off, s[0:3], s33 offset:520 ; 4-byte Folded Reload
	v_add_co_u32_e32 v10, vcc, v2, v40
	v_addc_co_u32_e32 v11, vcc, v3, v41, vcc
	s_waitcnt vmcnt(1)
	v_add_co_u32_e32 v12, vcc, v2, v4
	s_waitcnt vmcnt(0)
	v_addc_co_u32_e32 v13, vcc, v3, v5, vcc
	s_waitcnt lgkmcnt(0)
	v_add_co_u32_e32 v14, vcc, v0, v2
	v_addc_co_u32_e32 v15, vcc, v1, v3, vcc
	s_branch .LBB6_18303
.LBB6_18301:                            ;   in Loop: Header=BB6_18303 Depth=3
	s_or_b64 exec, exec, s[34:35]
.LBB6_18302:                            ;   in Loop: Header=BB6_18303 Depth=3
	s_or_b64 exec, exec, s[28:29]
	flat_store_byte v[8:9], v44 glc slc
	flat_store_byte v[8:9], v37 offset:64 glc slc
	flat_store_byte v[8:9], v32 offset:128 glc slc
	;; [unrolled: 1-line block ×31, first 2 shown]
	flat_store_byte v[10:11], v44 glc slc
	flat_store_byte v[10:11], v37 offset:64 glc slc
	flat_store_byte v[10:11], v32 offset:128 glc slc
	;; [unrolled: 1-line block ×31, first 2 shown]
	buffer_load_dword v1, off, s[0:3], s33 offset:396 ; 4-byte Folded Reload
	buffer_load_dword v0, off, s[0:3], s33 offset:284 ; 4-byte Folded Reload
	s_waitcnt vmcnt(0)
	v_add_co_u32_e32 v12, vcc, v12, v1
	v_addc_co_u32_e32 v13, vcc, 0, v13, vcc
	v_add_co_u32_e32 v14, vcc, v14, v1
	v_addc_co_u32_e32 v15, vcc, 0, v15, vcc
	;; [unrolled: 2-line block ×3, first 2 shown]
	v_sub_u32_e32 v34, v34, v0
	v_cmp_gt_i32_e32 vcc, 1, v34
	s_or_b64 s[30:31], vcc, s[30:31]
	v_add_co_u32_e32 v10, vcc, v10, v1
	v_addc_co_u32_e32 v11, vcc, 0, v11, vcc
	s_andn2_b64 exec, exec, s[30:31]
	s_cbranch_execz .LBB6_20612
.LBB6_18303:                            ;   Parent Loop BB6_47 Depth=1
                                        ;     Parent Loop BB6_13101 Depth=2
                                        ; =>    This Inner Loop Header: Depth=3
	s_trap 2
	ds_read_b64 v[0:1], v0
	v_mov_b32_e32 v4, 0
	s_waitcnt lgkmcnt(0)
	v_cmp_eq_u32_sdwa s[62:63], v0, v33 src0_sel:BYTE_0 src1_sel:DWORD
	v_readfirstlane_b32 s28, v0
	v_readfirstlane_b32 s29, v1
	v_mov_b32_e32 v1, 0
	s_and_b64 vcc, exec, s[62:63]
	s_cbranch_vccnz .LBB6_18309
; %bb.18304:                            ;   in Loop: Header=BB6_18303 Depth=3
	s_bfe_i32 s63, s28, 0x80000
	s_and_b32 s62, 0xffff, s63
	s_cmpk_eq_u32 s62, 0xff80
	v_bfrev_b32_e32 v4, 1
	s_cbranch_scc1 .LBB6_18309
; %bb.18305:                            ;   in Loop: Header=BB6_18303 Depth=3
	s_and_b32 s62, s28, 3
	s_and_b32 s34, s28, 0x7c
	s_mov_b64 vcc, -1
	s_cmpk_lg_i32 s34, 0x7c
	s_sext_i32_i16 s63, s63
                                        ; implicit-def: $sgpr34
	s_cbranch_scc0 .LBB6_18307
; %bb.18306:                            ;   in Loop: Header=BB6_18303 Depth=3
	s_flbit_i32_b32 vcc_hi, s62
	s_min_u32 vcc_hi, vcc_hi, 32
	s_sub_i32 s34, vcc_hi, 29
	s_bfe_u32 vcc_lo, s28, 0x50002
	s_lshl_b64 s[28:29], s[28:29], s34
	s_sub_i32 s29, 30, vcc_hi
	s_and_b32 s28, s28, 3
	s_cmp_eq_u32 vcc_lo, 0
	s_cselect_b32 s29, s29, vcc_lo
	s_cselect_b32 s28, s28, s62
	s_and_b32 vcc_lo, s63, 0x80000000
	s_lshl_b32 s29, s29, 23
	s_add_i32 s29, s29, vcc_lo
	s_lshl_b32 s28, s28, 21
	s_or_b32 s28, s29, s28
	s_add_i32 s34, s28, 0x38000000
	s_mov_b64 vcc, 0
.LBB6_18307:                            ;   in Loop: Header=BB6_18303 Depth=3
	s_andn2_b64 vcc, exec, vcc
	v_mov_b32_e32 v4, s34
	s_cbranch_vccnz .LBB6_18309
; %bb.18308:                            ;   in Loop: Header=BB6_18303 Depth=3
	s_cmp_eq_u32 s62, 0
	s_cselect_b64 vcc, -1, 0
	s_cmp_gt_i32 s63, -1
	s_cselect_b64 s[28:29], -1, 0
	v_mov_b32_e32 v0, 0xff800000
	v_mov_b32_e32 v2, 0x7f800000
	v_cndmask_b32_e64 v0, v0, v2, s[28:29]
	v_mov_b32_e32 v2, 0x7f800001
	v_cndmask_b32_e32 v4, v2, v0, vcc
.LBB6_18309:                            ;   in Loop: Header=BB6_18303 Depth=3
	flat_load_sbyte v0, v[12:13] glc slc
	s_waitcnt vmcnt(0) lgkmcnt(0)
	v_cmp_ne_u16_e32 vcc, 0, v0
	s_and_saveexec_b64 s[28:29], vcc
	s_cbranch_execz .LBB6_18317
; %bb.18310:                            ;   in Loop: Header=BB6_18303 Depth=3
	v_cmp_ne_u16_e32 vcc, s46, v0
	v_bfrev_b32_e32 v1, 1
	s_and_saveexec_b64 s[34:35], vcc
	s_cbranch_execz .LBB6_18316
; %bb.18311:                            ;   in Loop: Header=BB6_18303 Depth=3
	v_and_b32_e32 v1, 0x7c, v0
	v_and_b32_e32 v2, 3, v0
	v_cmp_ne_u32_e32 vcc, s86, v1
                                        ; implicit-def: $vgpr1
	s_and_saveexec_b64 s[62:63], vcc
	s_xor_b64 s[36:37], exec, s[62:63]
	s_cbranch_execz .LBB6_18313
; %bb.18312:                            ;   in Loop: Header=BB6_18303 Depth=3
	v_ffbh_u32_e32 v5, v2
	v_min_u32_e32 v7, 32, v5
	v_and_b32_e32 v3, 0xff, v0
	v_mov_b32_e32 v1, v33
	v_subrev_u32_e32 v5, 29, v7
	v_bfe_u32 v3, v3, 2, 5
	v_lshlrev_b64 v[5:6], v5, v[0:1]
	v_sub_u32_e32 v1, 30, v7
	v_cmp_eq_u32_e32 vcc, 0, v3
	v_and_b32_e32 v5, 3, v5
	v_cndmask_b32_e32 v1, v3, v1, vcc
	v_and_b32_sdwa v0, sext(v0), s87 dst_sel:DWORD dst_unused:UNUSED_PAD src0_sel:WORD_0 src1_sel:DWORD
	v_cndmask_b32_e32 v2, v2, v5, vcc
	v_lshl_add_u32 v0, v1, 23, v0
	v_lshl_or_b32 v0, v2, 21, v0
	v_add_u32_e32 v1, 0x38000000, v0
                                        ; implicit-def: $vgpr2
                                        ; implicit-def: $vgpr0
.LBB6_18313:                            ;   in Loop: Header=BB6_18303 Depth=3
	s_andn2_saveexec_b64 s[36:37], s[36:37]
; %bb.18314:                            ;   in Loop: Header=BB6_18303 Depth=3
	v_cmp_lt_i16_e32 vcc, -1, v0
	v_mov_b32_e32 v0, 0xff800000
	v_mov_b32_e32 v1, 0x7f800000
	v_cndmask_b32_e32 v0, v0, v1, vcc
	v_cmp_eq_u32_e32 vcc, 0, v2
	v_mov_b32_e32 v1, 0x7f800001
	v_cndmask_b32_e32 v1, v1, v0, vcc
; %bb.18315:                            ;   in Loop: Header=BB6_18303 Depth=3
	s_or_b64 exec, exec, s[36:37]
.LBB6_18316:                            ;   in Loop: Header=BB6_18303 Depth=3
	s_or_b64 exec, exec, s[34:35]
.LBB6_18317:                            ;   in Loop: Header=BB6_18303 Depth=3
	s_or_b64 exec, exec, s[28:29]
	v_mul_f32_e32 v2, v4, v1
	v_and_b32_e32 v5, 0x7f800000, v2
	v_mov_b32_e32 v6, v33
	v_cmp_ne_u64_e32 vcc, s[76:77], v[5:6]
	v_and_b32_e32 v0, 0x7fffff, v2
	v_mov_b32_e32 v1, v33
                                        ; implicit-def: $vgpr36
	s_and_saveexec_b64 s[28:29], vcc
	s_xor_b64 s[34:35], exec, s[28:29]
	s_cbranch_execz .LBB6_18335
; %bb.18318:                            ;   in Loop: Header=BB6_18303 Depth=3
	v_and_b32_e32 v5, 0x7fffffff, v2
	v_mov_b32_e32 v6, v33
	v_cmp_gt_u64_e32 vcc, s[78:79], v[5:6]
	v_and_b32_sdwa v3, v2, s97 dst_sel:DWORD dst_unused:UNUSED_PAD src0_sel:BYTE_3 src1_sel:DWORD
                                        ; implicit-def: $vgpr36
	s_and_saveexec_b64 s[28:29], vcc
	s_xor_b64 s[36:37], exec, s[28:29]
	s_cbranch_execz .LBB6_18332
; %bb.18319:                            ;   in Loop: Header=BB6_18303 Depth=3
	v_cmp_ne_u32_e32 vcc, 0, v2
	v_mov_b32_e32 v36, 0
	s_and_saveexec_b64 s[38:39], vcc
	s_cbranch_execz .LBB6_18331
; %bb.18320:                            ;   in Loop: Header=BB6_18303 Depth=3
	v_bfe_u32 v5, v2, 23, 8
	v_cmp_gt_u32_e64 s[28:29], s47, v5
	v_sub_u32_e32 v2, 0x71, v5
	v_cmp_eq_u32_e32 vcc, 0, v5
	v_cndmask_b32_e64 v2, 0, v2, s[28:29]
	v_mov_b32_e32 v6, 0x70
	v_cndmask_b32_e32 v6, v2, v6, vcc
	v_add_u32_e32 v2, 21, v6
	v_or_b32_e32 v7, 0x800000, v0
	v_lshlrev_b64 v[16:17], v2, -1
	v_cndmask_b32_e32 v0, v7, v0, vcc
	v_add_u32_e32 v2, 20, v6
	v_bfi_b32 v16, v16, 0, v0
	v_lshlrev_b64 v[18:19], v2, 1
	v_lshrrev_b64 v[0:1], v6, v[0:1]
	v_bfi_b32 v17, v17, 0, 0
	v_cmp_eq_u64_e64 s[28:29], v[16:17], v[18:19]
	v_mov_b32_e32 v2, v1
	v_mov_b32_e32 v1, v0
	s_and_saveexec_b64 s[48:49], s[28:29]
; %bb.18321:                            ;   in Loop: Header=BB6_18303 Depth=3
	v_bfe_u32 v1, v0, 21, 1
	v_add_co_u32_e64 v1, s[28:29], v0, v1
	v_add_co_u32_e64 v1, s[28:29], -1, v1
; %bb.18322:                            ;   in Loop: Header=BB6_18303 Depth=3
	s_or_b64 exec, exec, s[48:49]
	v_add_u32_e32 v2, 0xffffff81, v5
	v_mov_b32_e32 v5, 0xffffff82
	v_cndmask_b32_e32 v2, v2, v5, vcc
	v_lshrrev_b32_e32 v5, 23, v0
	v_add3_u32 v6, v6, v2, v5
	v_add_u32_e32 v5, 14, v6
	v_and_b32_e32 v1, 0x1fffff, v1
	v_add_u32_e32 v0, v1, v0
	v_mov_b32_e32 v1, v33
	v_cmp_ne_u32_e32 vcc, 0, v5
                                        ; implicit-def: $vgpr2
	s_and_saveexec_b64 s[28:29], vcc
	s_xor_b64 s[28:29], exec, s[28:29]
; %bb.18323:                            ;   in Loop: Header=BB6_18303 Depth=3
	v_cmp_lt_u64_e32 vcc, s[88:89], v[0:1]
	v_add_u32_e32 v2, 15, v6
	v_cndmask_b32_e32 v2, v5, v2, vcc
	v_cndmask_b32_e64 v5, 0, 1, vcc
	v_lshrrev_b64 v[0:1], v5, v[0:1]
; %bb.18324:                            ;   in Loop: Header=BB6_18303 Depth=3
	s_andn2_saveexec_b64 s[28:29], s[28:29]
; %bb.18325:                            ;   in Loop: Header=BB6_18303 Depth=3
	v_bfe_u32 v2, v0, 23, 1
; %bb.18326:                            ;   in Loop: Header=BB6_18303 Depth=3
	s_or_b64 exec, exec, s[28:29]
	v_lshrrev_b64 v[0:1], 21, v[0:1]
	v_cmp_gt_i32_e32 vcc, 32, v2
	v_cndmask_b32_e32 v1, 0, v1, vcc
	v_cndmask_b32_e32 v0, 3, v0, vcc
	v_cmp_ne_u64_e32 vcc, 0, v[0:1]
	v_cmp_ne_u32_e64 s[28:29], 0, v2
	s_or_b64 s[28:29], s[28:29], vcc
                                        ; implicit-def: $vgpr36
	s_and_saveexec_b64 s[62:63], s[28:29]
	s_xor_b64 s[28:29], exec, s[62:63]
; %bb.18327:                            ;   in Loop: Header=BB6_18303 Depth=3
	v_min_i32_e32 v1, 31, v2
	v_lshl_or_b32 v1, v1, 2, v3
	v_and_or_b32 v36, v0, 3, v1
                                        ; implicit-def: $vgpr3
; %bb.18328:                            ;   in Loop: Header=BB6_18303 Depth=3
	s_andn2_saveexec_b64 s[28:29], s[28:29]
; %bb.18329:                            ;   in Loop: Header=BB6_18303 Depth=3
	v_mov_b32_e32 v36, v3
; %bb.18330:                            ;   in Loop: Header=BB6_18303 Depth=3
	s_or_b64 exec, exec, s[28:29]
.LBB6_18331:                            ;   in Loop: Header=BB6_18303 Depth=3
	s_or_b64 exec, exec, s[38:39]
                                        ; implicit-def: $vgpr3
.LBB6_18332:                            ;   in Loop: Header=BB6_18303 Depth=3
	s_andn2_saveexec_b64 s[28:29], s[36:37]
; %bb.18333:                            ;   in Loop: Header=BB6_18303 Depth=3
	v_or_b32_e32 v36, 0x7b, v3
; %bb.18334:                            ;   in Loop: Header=BB6_18303 Depth=3
	s_or_b64 exec, exec, s[28:29]
                                        ; implicit-def: $vgpr2
                                        ; implicit-def: $vgpr0_vgpr1
.LBB6_18335:                            ;   in Loop: Header=BB6_18303 Depth=3
	s_andn2_saveexec_b64 s[28:29], s[34:35]
	s_cbranch_execz .LBB6_18341
; %bb.18336:                            ;   in Loop: Header=BB6_18303 Depth=3
	v_cmp_ne_u64_e32 vcc, 0, v[0:1]
                                        ; implicit-def: $vgpr36
	s_and_saveexec_b64 s[62:63], vcc
	s_xor_b64 vcc, exec, s[62:63]
; %bb.18337:                            ;   in Loop: Header=BB6_18303 Depth=3
	v_or_b32_sdwa v36, v2, s44 dst_sel:DWORD dst_unused:UNUSED_PAD src0_sel:BYTE_3 src1_sel:DWORD
                                        ; implicit-def: $vgpr2
; %bb.18338:                            ;   in Loop: Header=BB6_18303 Depth=3
	s_andn2_saveexec_b64 s[34:35], vcc
; %bb.18339:                            ;   in Loop: Header=BB6_18303 Depth=3
	v_cmp_lt_i32_e32 vcc, -1, v2
	v_mov_b32_e32 v0, 0x7c
	v_cndmask_b32_e32 v36, -4, v0, vcc
; %bb.18340:                            ;   in Loop: Header=BB6_18303 Depth=3
	s_or_b64 exec, exec, s[34:35]
.LBB6_18341:                            ;   in Loop: Header=BB6_18303 Depth=3
	s_or_b64 exec, exec, s[28:29]
	flat_load_sbyte v0, v[12:13] offset:64 glc slc
	v_mov_b32_e32 v1, 0
	s_waitcnt vmcnt(0) lgkmcnt(0)
	v_cmp_ne_u16_e32 vcc, 0, v0
	s_and_saveexec_b64 s[28:29], vcc
	s_cbranch_execz .LBB6_18349
; %bb.18342:                            ;   in Loop: Header=BB6_18303 Depth=3
	v_cmp_ne_u16_e32 vcc, s46, v0
	v_bfrev_b32_e32 v1, 1
	s_and_saveexec_b64 s[34:35], vcc
	s_cbranch_execz .LBB6_18348
; %bb.18343:                            ;   in Loop: Header=BB6_18303 Depth=3
	v_and_b32_e32 v1, 0x7c, v0
	v_and_b32_e32 v2, 3, v0
	v_cmp_ne_u32_e32 vcc, s86, v1
                                        ; implicit-def: $vgpr1
	s_and_saveexec_b64 s[62:63], vcc
	s_xor_b64 s[36:37], exec, s[62:63]
	s_cbranch_execz .LBB6_18345
; %bb.18344:                            ;   in Loop: Header=BB6_18303 Depth=3
	v_ffbh_u32_e32 v5, v2
	v_min_u32_e32 v7, 32, v5
	v_and_b32_e32 v3, 0xff, v0
	v_mov_b32_e32 v1, v33
	v_subrev_u32_e32 v5, 29, v7
	v_bfe_u32 v3, v3, 2, 5
	v_lshlrev_b64 v[5:6], v5, v[0:1]
	v_sub_u32_e32 v1, 30, v7
	v_cmp_eq_u32_e32 vcc, 0, v3
	v_and_b32_e32 v5, 3, v5
	v_cndmask_b32_e32 v1, v3, v1, vcc
	v_and_b32_sdwa v0, sext(v0), s87 dst_sel:DWORD dst_unused:UNUSED_PAD src0_sel:WORD_0 src1_sel:DWORD
	v_cndmask_b32_e32 v2, v2, v5, vcc
	v_lshl_add_u32 v0, v1, 23, v0
	v_lshl_or_b32 v0, v2, 21, v0
	v_add_u32_e32 v1, 0x38000000, v0
                                        ; implicit-def: $vgpr2
                                        ; implicit-def: $vgpr0
.LBB6_18345:                            ;   in Loop: Header=BB6_18303 Depth=3
	s_andn2_saveexec_b64 s[36:37], s[36:37]
; %bb.18346:                            ;   in Loop: Header=BB6_18303 Depth=3
	v_cmp_lt_i16_e32 vcc, -1, v0
	v_mov_b32_e32 v0, 0xff800000
	v_mov_b32_e32 v1, 0x7f800000
	v_cndmask_b32_e32 v0, v0, v1, vcc
	v_cmp_eq_u32_e32 vcc, 0, v2
	v_mov_b32_e32 v1, 0x7f800001
	v_cndmask_b32_e32 v1, v1, v0, vcc
; %bb.18347:                            ;   in Loop: Header=BB6_18303 Depth=3
	s_or_b64 exec, exec, s[36:37]
.LBB6_18348:                            ;   in Loop: Header=BB6_18303 Depth=3
	s_or_b64 exec, exec, s[34:35]
.LBB6_18349:                            ;   in Loop: Header=BB6_18303 Depth=3
	s_or_b64 exec, exec, s[28:29]
	v_mul_f32_e32 v2, v4, v1
	v_and_b32_e32 v5, 0x7f800000, v2
	v_mov_b32_e32 v6, v33
	v_cmp_ne_u64_e32 vcc, s[76:77], v[5:6]
	v_and_b32_e32 v0, 0x7fffff, v2
	v_mov_b32_e32 v1, v33
                                        ; implicit-def: $vgpr53
	s_and_saveexec_b64 s[28:29], vcc
	s_xor_b64 s[34:35], exec, s[28:29]
	s_cbranch_execz .LBB6_18367
; %bb.18350:                            ;   in Loop: Header=BB6_18303 Depth=3
	v_and_b32_e32 v5, 0x7fffffff, v2
	v_mov_b32_e32 v6, v33
	v_cmp_gt_u64_e32 vcc, s[78:79], v[5:6]
	v_and_b32_sdwa v3, v2, s97 dst_sel:DWORD dst_unused:UNUSED_PAD src0_sel:BYTE_3 src1_sel:DWORD
                                        ; implicit-def: $vgpr53
	s_and_saveexec_b64 s[28:29], vcc
	s_xor_b64 s[36:37], exec, s[28:29]
	s_cbranch_execz .LBB6_18364
; %bb.18351:                            ;   in Loop: Header=BB6_18303 Depth=3
	v_cmp_ne_u32_e32 vcc, 0, v2
	v_mov_b32_e32 v53, 0
	s_and_saveexec_b64 s[38:39], vcc
	s_cbranch_execz .LBB6_18363
; %bb.18352:                            ;   in Loop: Header=BB6_18303 Depth=3
	v_bfe_u32 v5, v2, 23, 8
	v_cmp_gt_u32_e64 s[28:29], s47, v5
	v_sub_u32_e32 v2, 0x71, v5
	v_cmp_eq_u32_e32 vcc, 0, v5
	v_cndmask_b32_e64 v2, 0, v2, s[28:29]
	v_mov_b32_e32 v6, 0x70
	v_cndmask_b32_e32 v6, v2, v6, vcc
	v_add_u32_e32 v2, 21, v6
	v_or_b32_e32 v7, 0x800000, v0
	v_lshlrev_b64 v[16:17], v2, -1
	v_cndmask_b32_e32 v0, v7, v0, vcc
	v_add_u32_e32 v2, 20, v6
	v_bfi_b32 v16, v16, 0, v0
	v_lshlrev_b64 v[18:19], v2, 1
	v_lshrrev_b64 v[0:1], v6, v[0:1]
	v_bfi_b32 v17, v17, 0, 0
	v_cmp_eq_u64_e64 s[28:29], v[16:17], v[18:19]
	v_mov_b32_e32 v2, v1
	v_mov_b32_e32 v1, v0
	s_and_saveexec_b64 s[48:49], s[28:29]
; %bb.18353:                            ;   in Loop: Header=BB6_18303 Depth=3
	v_bfe_u32 v1, v0, 21, 1
	v_add_co_u32_e64 v1, s[28:29], v0, v1
	v_add_co_u32_e64 v1, s[28:29], -1, v1
; %bb.18354:                            ;   in Loop: Header=BB6_18303 Depth=3
	s_or_b64 exec, exec, s[48:49]
	v_add_u32_e32 v2, 0xffffff81, v5
	v_mov_b32_e32 v5, 0xffffff82
	v_cndmask_b32_e32 v2, v2, v5, vcc
	v_lshrrev_b32_e32 v5, 23, v0
	v_add3_u32 v6, v6, v2, v5
	v_add_u32_e32 v5, 14, v6
	v_and_b32_e32 v1, 0x1fffff, v1
	v_add_u32_e32 v0, v1, v0
	v_mov_b32_e32 v1, v33
	v_cmp_ne_u32_e32 vcc, 0, v5
                                        ; implicit-def: $vgpr2
	s_and_saveexec_b64 s[28:29], vcc
	s_xor_b64 s[28:29], exec, s[28:29]
; %bb.18355:                            ;   in Loop: Header=BB6_18303 Depth=3
	v_cmp_lt_u64_e32 vcc, s[88:89], v[0:1]
	v_add_u32_e32 v2, 15, v6
	v_cndmask_b32_e32 v2, v5, v2, vcc
	v_cndmask_b32_e64 v5, 0, 1, vcc
	v_lshrrev_b64 v[0:1], v5, v[0:1]
; %bb.18356:                            ;   in Loop: Header=BB6_18303 Depth=3
	s_andn2_saveexec_b64 s[28:29], s[28:29]
; %bb.18357:                            ;   in Loop: Header=BB6_18303 Depth=3
	v_bfe_u32 v2, v0, 23, 1
; %bb.18358:                            ;   in Loop: Header=BB6_18303 Depth=3
	s_or_b64 exec, exec, s[28:29]
	v_lshrrev_b64 v[0:1], 21, v[0:1]
	v_cmp_gt_i32_e32 vcc, 32, v2
	v_cndmask_b32_e32 v1, 0, v1, vcc
	v_cndmask_b32_e32 v0, 3, v0, vcc
	v_cmp_ne_u64_e32 vcc, 0, v[0:1]
	v_cmp_ne_u32_e64 s[28:29], 0, v2
	s_or_b64 s[28:29], s[28:29], vcc
                                        ; implicit-def: $vgpr53
	s_and_saveexec_b64 s[62:63], s[28:29]
	s_xor_b64 s[28:29], exec, s[62:63]
; %bb.18359:                            ;   in Loop: Header=BB6_18303 Depth=3
	v_min_i32_e32 v1, 31, v2
	v_lshl_or_b32 v1, v1, 2, v3
	v_and_or_b32 v53, v0, 3, v1
                                        ; implicit-def: $vgpr3
; %bb.18360:                            ;   in Loop: Header=BB6_18303 Depth=3
	s_andn2_saveexec_b64 s[28:29], s[28:29]
; %bb.18361:                            ;   in Loop: Header=BB6_18303 Depth=3
	v_mov_b32_e32 v53, v3
; %bb.18362:                            ;   in Loop: Header=BB6_18303 Depth=3
	s_or_b64 exec, exec, s[28:29]
.LBB6_18363:                            ;   in Loop: Header=BB6_18303 Depth=3
	s_or_b64 exec, exec, s[38:39]
                                        ; implicit-def: $vgpr3
.LBB6_18364:                            ;   in Loop: Header=BB6_18303 Depth=3
	s_andn2_saveexec_b64 s[28:29], s[36:37]
; %bb.18365:                            ;   in Loop: Header=BB6_18303 Depth=3
	v_or_b32_e32 v53, 0x7b, v3
; %bb.18366:                            ;   in Loop: Header=BB6_18303 Depth=3
	s_or_b64 exec, exec, s[28:29]
                                        ; implicit-def: $vgpr2
                                        ; implicit-def: $vgpr0_vgpr1
.LBB6_18367:                            ;   in Loop: Header=BB6_18303 Depth=3
	s_andn2_saveexec_b64 s[28:29], s[34:35]
	s_cbranch_execz .LBB6_18373
; %bb.18368:                            ;   in Loop: Header=BB6_18303 Depth=3
	v_cmp_ne_u64_e32 vcc, 0, v[0:1]
                                        ; implicit-def: $vgpr53
	s_and_saveexec_b64 s[62:63], vcc
	s_xor_b64 vcc, exec, s[62:63]
; %bb.18369:                            ;   in Loop: Header=BB6_18303 Depth=3
	v_or_b32_sdwa v53, v2, s44 dst_sel:DWORD dst_unused:UNUSED_PAD src0_sel:BYTE_3 src1_sel:DWORD
                                        ; implicit-def: $vgpr2
; %bb.18370:                            ;   in Loop: Header=BB6_18303 Depth=3
	s_andn2_saveexec_b64 s[34:35], vcc
; %bb.18371:                            ;   in Loop: Header=BB6_18303 Depth=3
	v_cmp_lt_i32_e32 vcc, -1, v2
	v_mov_b32_e32 v0, 0x7c
	v_cndmask_b32_e32 v53, -4, v0, vcc
; %bb.18372:                            ;   in Loop: Header=BB6_18303 Depth=3
	s_or_b64 exec, exec, s[34:35]
.LBB6_18373:                            ;   in Loop: Header=BB6_18303 Depth=3
	s_or_b64 exec, exec, s[28:29]
	flat_load_sbyte v0, v[12:13] offset:128 glc slc
	v_mov_b32_e32 v1, 0
	s_waitcnt vmcnt(0) lgkmcnt(0)
	v_cmp_ne_u16_e32 vcc, 0, v0
	s_and_saveexec_b64 s[28:29], vcc
	s_cbranch_execz .LBB6_18381
; %bb.18374:                            ;   in Loop: Header=BB6_18303 Depth=3
	v_cmp_ne_u16_e32 vcc, s46, v0
	v_bfrev_b32_e32 v1, 1
	s_and_saveexec_b64 s[34:35], vcc
	s_cbranch_execz .LBB6_18380
; %bb.18375:                            ;   in Loop: Header=BB6_18303 Depth=3
	v_and_b32_e32 v1, 0x7c, v0
	v_and_b32_e32 v2, 3, v0
	v_cmp_ne_u32_e32 vcc, s86, v1
                                        ; implicit-def: $vgpr1
	s_and_saveexec_b64 s[62:63], vcc
	s_xor_b64 s[36:37], exec, s[62:63]
	s_cbranch_execz .LBB6_18377
; %bb.18376:                            ;   in Loop: Header=BB6_18303 Depth=3
	v_ffbh_u32_e32 v5, v2
	v_min_u32_e32 v7, 32, v5
	v_and_b32_e32 v3, 0xff, v0
	v_mov_b32_e32 v1, v33
	v_subrev_u32_e32 v5, 29, v7
	v_bfe_u32 v3, v3, 2, 5
	v_lshlrev_b64 v[5:6], v5, v[0:1]
	v_sub_u32_e32 v1, 30, v7
	v_cmp_eq_u32_e32 vcc, 0, v3
	v_and_b32_e32 v5, 3, v5
	v_cndmask_b32_e32 v1, v3, v1, vcc
	v_and_b32_sdwa v0, sext(v0), s87 dst_sel:DWORD dst_unused:UNUSED_PAD src0_sel:WORD_0 src1_sel:DWORD
	v_cndmask_b32_e32 v2, v2, v5, vcc
	v_lshl_add_u32 v0, v1, 23, v0
	v_lshl_or_b32 v0, v2, 21, v0
	v_add_u32_e32 v1, 0x38000000, v0
                                        ; implicit-def: $vgpr2
                                        ; implicit-def: $vgpr0
.LBB6_18377:                            ;   in Loop: Header=BB6_18303 Depth=3
	s_andn2_saveexec_b64 s[36:37], s[36:37]
; %bb.18378:                            ;   in Loop: Header=BB6_18303 Depth=3
	v_cmp_lt_i16_e32 vcc, -1, v0
	v_mov_b32_e32 v0, 0xff800000
	v_mov_b32_e32 v1, 0x7f800000
	v_cndmask_b32_e32 v0, v0, v1, vcc
	v_cmp_eq_u32_e32 vcc, 0, v2
	v_mov_b32_e32 v1, 0x7f800001
	v_cndmask_b32_e32 v1, v1, v0, vcc
; %bb.18379:                            ;   in Loop: Header=BB6_18303 Depth=3
	s_or_b64 exec, exec, s[36:37]
.LBB6_18380:                            ;   in Loop: Header=BB6_18303 Depth=3
	s_or_b64 exec, exec, s[34:35]
.LBB6_18381:                            ;   in Loop: Header=BB6_18303 Depth=3
	s_or_b64 exec, exec, s[28:29]
	v_mul_f32_e32 v2, v4, v1
	v_and_b32_e32 v5, 0x7f800000, v2
	v_mov_b32_e32 v6, v33
	v_cmp_ne_u64_e32 vcc, s[76:77], v[5:6]
	v_and_b32_e32 v0, 0x7fffff, v2
	v_mov_b32_e32 v1, v33
                                        ; implicit-def: $vgpr31
	s_and_saveexec_b64 s[28:29], vcc
	s_xor_b64 s[34:35], exec, s[28:29]
	s_cbranch_execz .LBB6_18399
; %bb.18382:                            ;   in Loop: Header=BB6_18303 Depth=3
	v_and_b32_e32 v5, 0x7fffffff, v2
	v_mov_b32_e32 v6, v33
	v_cmp_gt_u64_e32 vcc, s[78:79], v[5:6]
	v_and_b32_sdwa v3, v2, s97 dst_sel:DWORD dst_unused:UNUSED_PAD src0_sel:BYTE_3 src1_sel:DWORD
                                        ; implicit-def: $vgpr31
	s_and_saveexec_b64 s[28:29], vcc
	s_xor_b64 s[36:37], exec, s[28:29]
	s_cbranch_execz .LBB6_18396
; %bb.18383:                            ;   in Loop: Header=BB6_18303 Depth=3
	v_cmp_ne_u32_e32 vcc, 0, v2
	v_mov_b32_e32 v31, 0
	s_and_saveexec_b64 s[38:39], vcc
	s_cbranch_execz .LBB6_18395
; %bb.18384:                            ;   in Loop: Header=BB6_18303 Depth=3
	v_bfe_u32 v5, v2, 23, 8
	v_cmp_gt_u32_e64 s[28:29], s47, v5
	v_sub_u32_e32 v2, 0x71, v5
	v_cmp_eq_u32_e32 vcc, 0, v5
	v_cndmask_b32_e64 v2, 0, v2, s[28:29]
	v_mov_b32_e32 v6, 0x70
	v_cndmask_b32_e32 v6, v2, v6, vcc
	v_add_u32_e32 v2, 21, v6
	v_or_b32_e32 v7, 0x800000, v0
	v_lshlrev_b64 v[16:17], v2, -1
	v_cndmask_b32_e32 v0, v7, v0, vcc
	v_add_u32_e32 v2, 20, v6
	v_bfi_b32 v16, v16, 0, v0
	v_lshlrev_b64 v[18:19], v2, 1
	v_lshrrev_b64 v[0:1], v6, v[0:1]
	v_bfi_b32 v17, v17, 0, 0
	v_cmp_eq_u64_e64 s[28:29], v[16:17], v[18:19]
	v_mov_b32_e32 v2, v1
	v_mov_b32_e32 v1, v0
	s_and_saveexec_b64 s[48:49], s[28:29]
; %bb.18385:                            ;   in Loop: Header=BB6_18303 Depth=3
	v_bfe_u32 v1, v0, 21, 1
	v_add_co_u32_e64 v1, s[28:29], v0, v1
	v_add_co_u32_e64 v1, s[28:29], -1, v1
; %bb.18386:                            ;   in Loop: Header=BB6_18303 Depth=3
	s_or_b64 exec, exec, s[48:49]
	v_add_u32_e32 v2, 0xffffff81, v5
	v_mov_b32_e32 v5, 0xffffff82
	v_cndmask_b32_e32 v2, v2, v5, vcc
	v_lshrrev_b32_e32 v5, 23, v0
	v_add3_u32 v6, v6, v2, v5
	v_add_u32_e32 v5, 14, v6
	v_and_b32_e32 v1, 0x1fffff, v1
	v_add_u32_e32 v0, v1, v0
	v_mov_b32_e32 v1, v33
	v_cmp_ne_u32_e32 vcc, 0, v5
                                        ; implicit-def: $vgpr2
	s_and_saveexec_b64 s[28:29], vcc
	s_xor_b64 s[28:29], exec, s[28:29]
; %bb.18387:                            ;   in Loop: Header=BB6_18303 Depth=3
	v_cmp_lt_u64_e32 vcc, s[88:89], v[0:1]
	v_add_u32_e32 v2, 15, v6
	v_cndmask_b32_e32 v2, v5, v2, vcc
	v_cndmask_b32_e64 v5, 0, 1, vcc
	v_lshrrev_b64 v[0:1], v5, v[0:1]
; %bb.18388:                            ;   in Loop: Header=BB6_18303 Depth=3
	s_andn2_saveexec_b64 s[28:29], s[28:29]
; %bb.18389:                            ;   in Loop: Header=BB6_18303 Depth=3
	v_bfe_u32 v2, v0, 23, 1
; %bb.18390:                            ;   in Loop: Header=BB6_18303 Depth=3
	s_or_b64 exec, exec, s[28:29]
	v_lshrrev_b64 v[0:1], 21, v[0:1]
	v_cmp_gt_i32_e32 vcc, 32, v2
	v_cndmask_b32_e32 v1, 0, v1, vcc
	v_cndmask_b32_e32 v0, 3, v0, vcc
	v_cmp_ne_u64_e32 vcc, 0, v[0:1]
	v_cmp_ne_u32_e64 s[28:29], 0, v2
	s_or_b64 s[28:29], s[28:29], vcc
                                        ; implicit-def: $vgpr31
	s_and_saveexec_b64 s[62:63], s[28:29]
	s_xor_b64 s[28:29], exec, s[62:63]
; %bb.18391:                            ;   in Loop: Header=BB6_18303 Depth=3
	v_min_i32_e32 v1, 31, v2
	v_lshl_or_b32 v1, v1, 2, v3
	v_and_or_b32 v31, v0, 3, v1
                                        ; implicit-def: $vgpr3
; %bb.18392:                            ;   in Loop: Header=BB6_18303 Depth=3
	s_andn2_saveexec_b64 s[28:29], s[28:29]
; %bb.18393:                            ;   in Loop: Header=BB6_18303 Depth=3
	v_mov_b32_e32 v31, v3
; %bb.18394:                            ;   in Loop: Header=BB6_18303 Depth=3
	s_or_b64 exec, exec, s[28:29]
.LBB6_18395:                            ;   in Loop: Header=BB6_18303 Depth=3
	s_or_b64 exec, exec, s[38:39]
                                        ; implicit-def: $vgpr3
.LBB6_18396:                            ;   in Loop: Header=BB6_18303 Depth=3
	s_andn2_saveexec_b64 s[28:29], s[36:37]
; %bb.18397:                            ;   in Loop: Header=BB6_18303 Depth=3
	v_or_b32_e32 v31, 0x7b, v3
; %bb.18398:                            ;   in Loop: Header=BB6_18303 Depth=3
	s_or_b64 exec, exec, s[28:29]
                                        ; implicit-def: $vgpr2
                                        ; implicit-def: $vgpr0_vgpr1
.LBB6_18399:                            ;   in Loop: Header=BB6_18303 Depth=3
	s_andn2_saveexec_b64 s[28:29], s[34:35]
	s_cbranch_execz .LBB6_18405
; %bb.18400:                            ;   in Loop: Header=BB6_18303 Depth=3
	v_cmp_ne_u64_e32 vcc, 0, v[0:1]
                                        ; implicit-def: $vgpr31
	s_and_saveexec_b64 s[62:63], vcc
	s_xor_b64 vcc, exec, s[62:63]
; %bb.18401:                            ;   in Loop: Header=BB6_18303 Depth=3
	v_or_b32_sdwa v31, v2, s44 dst_sel:DWORD dst_unused:UNUSED_PAD src0_sel:BYTE_3 src1_sel:DWORD
                                        ; implicit-def: $vgpr2
; %bb.18402:                            ;   in Loop: Header=BB6_18303 Depth=3
	s_andn2_saveexec_b64 s[34:35], vcc
; %bb.18403:                            ;   in Loop: Header=BB6_18303 Depth=3
	v_cmp_lt_i32_e32 vcc, -1, v2
	v_mov_b32_e32 v0, 0x7c
	v_cndmask_b32_e32 v31, -4, v0, vcc
; %bb.18404:                            ;   in Loop: Header=BB6_18303 Depth=3
	s_or_b64 exec, exec, s[34:35]
.LBB6_18405:                            ;   in Loop: Header=BB6_18303 Depth=3
	s_or_b64 exec, exec, s[28:29]
	flat_load_sbyte v0, v[12:13] offset:192 glc slc
	v_mov_b32_e32 v1, 0
	s_waitcnt vmcnt(0) lgkmcnt(0)
	v_cmp_ne_u16_e32 vcc, 0, v0
	s_and_saveexec_b64 s[28:29], vcc
	s_cbranch_execz .LBB6_18413
; %bb.18406:                            ;   in Loop: Header=BB6_18303 Depth=3
	v_cmp_ne_u16_e32 vcc, s46, v0
	v_bfrev_b32_e32 v1, 1
	s_and_saveexec_b64 s[34:35], vcc
	s_cbranch_execz .LBB6_18412
; %bb.18407:                            ;   in Loop: Header=BB6_18303 Depth=3
	v_and_b32_e32 v1, 0x7c, v0
	v_and_b32_e32 v2, 3, v0
	v_cmp_ne_u32_e32 vcc, s86, v1
                                        ; implicit-def: $vgpr1
	s_and_saveexec_b64 s[62:63], vcc
	s_xor_b64 s[36:37], exec, s[62:63]
	s_cbranch_execz .LBB6_18409
; %bb.18408:                            ;   in Loop: Header=BB6_18303 Depth=3
	v_ffbh_u32_e32 v5, v2
	v_min_u32_e32 v7, 32, v5
	v_and_b32_e32 v3, 0xff, v0
	v_mov_b32_e32 v1, v33
	v_subrev_u32_e32 v5, 29, v7
	v_bfe_u32 v3, v3, 2, 5
	v_lshlrev_b64 v[5:6], v5, v[0:1]
	v_sub_u32_e32 v1, 30, v7
	v_cmp_eq_u32_e32 vcc, 0, v3
	v_and_b32_e32 v5, 3, v5
	v_cndmask_b32_e32 v1, v3, v1, vcc
	v_and_b32_sdwa v0, sext(v0), s87 dst_sel:DWORD dst_unused:UNUSED_PAD src0_sel:WORD_0 src1_sel:DWORD
	v_cndmask_b32_e32 v2, v2, v5, vcc
	v_lshl_add_u32 v0, v1, 23, v0
	v_lshl_or_b32 v0, v2, 21, v0
	v_add_u32_e32 v1, 0x38000000, v0
                                        ; implicit-def: $vgpr2
                                        ; implicit-def: $vgpr0
.LBB6_18409:                            ;   in Loop: Header=BB6_18303 Depth=3
	s_andn2_saveexec_b64 s[36:37], s[36:37]
; %bb.18410:                            ;   in Loop: Header=BB6_18303 Depth=3
	v_cmp_lt_i16_e32 vcc, -1, v0
	v_mov_b32_e32 v0, 0xff800000
	v_mov_b32_e32 v1, 0x7f800000
	v_cndmask_b32_e32 v0, v0, v1, vcc
	v_cmp_eq_u32_e32 vcc, 0, v2
	v_mov_b32_e32 v1, 0x7f800001
	v_cndmask_b32_e32 v1, v1, v0, vcc
; %bb.18411:                            ;   in Loop: Header=BB6_18303 Depth=3
	s_or_b64 exec, exec, s[36:37]
.LBB6_18412:                            ;   in Loop: Header=BB6_18303 Depth=3
	s_or_b64 exec, exec, s[34:35]
.LBB6_18413:                            ;   in Loop: Header=BB6_18303 Depth=3
	s_or_b64 exec, exec, s[28:29]
	v_mul_f32_e32 v2, v4, v1
	v_and_b32_e32 v5, 0x7f800000, v2
	v_mov_b32_e32 v6, v33
	v_cmp_ne_u64_e32 vcc, s[76:77], v[5:6]
	v_and_b32_e32 v0, 0x7fffff, v2
	v_mov_b32_e32 v1, v33
                                        ; implicit-def: $vgpr3
	buffer_store_dword v3, off, s[0:3], s33 offset:268 ; 4-byte Folded Spill
	s_nop 0
	buffer_store_dword v4, off, s[0:3], s33 offset:272 ; 4-byte Folded Spill
	s_and_saveexec_b64 s[28:29], vcc
	s_xor_b64 s[34:35], exec, s[28:29]
	s_cbranch_execz .LBB6_18431
; %bb.18414:                            ;   in Loop: Header=BB6_18303 Depth=3
	v_and_b32_e32 v5, 0x7fffffff, v2
	v_mov_b32_e32 v6, v33
	v_cmp_gt_u64_e32 vcc, s[78:79], v[5:6]
	v_and_b32_sdwa v3, v2, s97 dst_sel:DWORD dst_unused:UNUSED_PAD src0_sel:BYTE_3 src1_sel:DWORD
                                        ; implicit-def: $vgpr5
	buffer_store_dword v5, off, s[0:3], s33 offset:268 ; 4-byte Folded Spill
	s_nop 0
	buffer_store_dword v6, off, s[0:3], s33 offset:272 ; 4-byte Folded Spill
	s_and_saveexec_b64 s[28:29], vcc
	s_xor_b64 s[36:37], exec, s[28:29]
	s_cbranch_execz .LBB6_18428
; %bb.18415:                            ;   in Loop: Header=BB6_18303 Depth=3
	v_cmp_ne_u32_e32 vcc, 0, v2
	v_mov_b32_e32 v5, 0
	buffer_store_dword v5, off, s[0:3], s33 offset:268 ; 4-byte Folded Spill
	s_nop 0
	buffer_store_dword v6, off, s[0:3], s33 offset:272 ; 4-byte Folded Spill
	s_and_saveexec_b64 s[38:39], vcc
	s_cbranch_execz .LBB6_18427
; %bb.18416:                            ;   in Loop: Header=BB6_18303 Depth=3
	v_bfe_u32 v5, v2, 23, 8
	v_cmp_gt_u32_e64 s[28:29], s47, v5
	v_sub_u32_e32 v2, 0x71, v5
	v_cmp_eq_u32_e32 vcc, 0, v5
	v_cndmask_b32_e64 v2, 0, v2, s[28:29]
	v_mov_b32_e32 v6, 0x70
	v_cndmask_b32_e32 v6, v2, v6, vcc
	v_add_u32_e32 v2, 21, v6
	v_or_b32_e32 v7, 0x800000, v0
	v_lshlrev_b64 v[16:17], v2, -1
	v_cndmask_b32_e32 v0, v7, v0, vcc
	v_add_u32_e32 v2, 20, v6
	v_bfi_b32 v16, v16, 0, v0
	v_lshlrev_b64 v[18:19], v2, 1
	v_lshrrev_b64 v[0:1], v6, v[0:1]
	v_bfi_b32 v17, v17, 0, 0
	v_cmp_eq_u64_e64 s[28:29], v[16:17], v[18:19]
	v_mov_b32_e32 v2, v1
	v_mov_b32_e32 v1, v0
	s_and_saveexec_b64 s[48:49], s[28:29]
; %bb.18417:                            ;   in Loop: Header=BB6_18303 Depth=3
	v_bfe_u32 v1, v0, 21, 1
	v_add_co_u32_e64 v1, s[28:29], v0, v1
	v_add_co_u32_e64 v1, s[28:29], -1, v1
; %bb.18418:                            ;   in Loop: Header=BB6_18303 Depth=3
	s_or_b64 exec, exec, s[48:49]
	v_add_u32_e32 v2, 0xffffff81, v5
	v_mov_b32_e32 v5, 0xffffff82
	v_cndmask_b32_e32 v2, v2, v5, vcc
	v_lshrrev_b32_e32 v5, 23, v0
	v_add3_u32 v6, v6, v2, v5
	v_add_u32_e32 v5, 14, v6
	v_and_b32_e32 v1, 0x1fffff, v1
	v_add_u32_e32 v0, v1, v0
	v_mov_b32_e32 v1, v33
	v_cmp_ne_u32_e32 vcc, 0, v5
                                        ; implicit-def: $vgpr2
	s_and_saveexec_b64 s[28:29], vcc
	s_xor_b64 s[28:29], exec, s[28:29]
; %bb.18419:                            ;   in Loop: Header=BB6_18303 Depth=3
	v_cmp_lt_u64_e32 vcc, s[88:89], v[0:1]
	v_add_u32_e32 v2, 15, v6
	v_cndmask_b32_e32 v2, v5, v2, vcc
	v_cndmask_b32_e64 v5, 0, 1, vcc
	v_lshrrev_b64 v[0:1], v5, v[0:1]
; %bb.18420:                            ;   in Loop: Header=BB6_18303 Depth=3
	s_andn2_saveexec_b64 s[28:29], s[28:29]
; %bb.18421:                            ;   in Loop: Header=BB6_18303 Depth=3
	v_bfe_u32 v2, v0, 23, 1
; %bb.18422:                            ;   in Loop: Header=BB6_18303 Depth=3
	s_or_b64 exec, exec, s[28:29]
	v_lshrrev_b64 v[0:1], 21, v[0:1]
	v_cmp_gt_i32_e32 vcc, 32, v2
	v_cndmask_b32_e32 v1, 0, v1, vcc
	v_cndmask_b32_e32 v0, 3, v0, vcc
	v_cmp_ne_u64_e32 vcc, 0, v[0:1]
	v_cmp_ne_u32_e64 s[28:29], 0, v2
	s_or_b64 s[28:29], s[28:29], vcc
                                        ; implicit-def: $vgpr1
	buffer_store_dword v1, off, s[0:3], s33 offset:268 ; 4-byte Folded Spill
	s_nop 0
	buffer_store_dword v2, off, s[0:3], s33 offset:272 ; 4-byte Folded Spill
	s_and_saveexec_b64 s[62:63], s[28:29]
	s_xor_b64 s[28:29], exec, s[62:63]
	s_cbranch_execz .LBB6_18424
; %bb.18423:                            ;   in Loop: Header=BB6_18303 Depth=3
	v_min_i32_e32 v1, 31, v2
	v_lshl_or_b32 v1, v1, 2, v3
	v_and_or_b32 v0, v0, 3, v1
	buffer_store_dword v0, off, s[0:3], s33 offset:268 ; 4-byte Folded Spill
	s_nop 0
	buffer_store_dword v1, off, s[0:3], s33 offset:272 ; 4-byte Folded Spill
                                        ; implicit-def: $vgpr3
.LBB6_18424:                            ;   in Loop: Header=BB6_18303 Depth=3
	s_andn2_saveexec_b64 s[28:29], s[28:29]
	s_cbranch_execz .LBB6_18426
; %bb.18425:                            ;   in Loop: Header=BB6_18303 Depth=3
	v_mov_b32_e32 v0, v3
	buffer_store_dword v0, off, s[0:3], s33 offset:268 ; 4-byte Folded Spill
	s_nop 0
	buffer_store_dword v1, off, s[0:3], s33 offset:272 ; 4-byte Folded Spill
.LBB6_18426:                            ;   in Loop: Header=BB6_18303 Depth=3
	s_or_b64 exec, exec, s[28:29]
.LBB6_18427:                            ;   in Loop: Header=BB6_18303 Depth=3
	s_or_b64 exec, exec, s[38:39]
                                        ; implicit-def: $vgpr3
.LBB6_18428:                            ;   in Loop: Header=BB6_18303 Depth=3
	s_andn2_saveexec_b64 s[28:29], s[36:37]
	s_cbranch_execz .LBB6_18430
; %bb.18429:                            ;   in Loop: Header=BB6_18303 Depth=3
	v_or_b32_e32 v0, 0x7b, v3
	buffer_store_dword v0, off, s[0:3], s33 offset:268 ; 4-byte Folded Spill
	s_nop 0
	buffer_store_dword v1, off, s[0:3], s33 offset:272 ; 4-byte Folded Spill
.LBB6_18430:                            ;   in Loop: Header=BB6_18303 Depth=3
	s_or_b64 exec, exec, s[28:29]
                                        ; implicit-def: $vgpr2
                                        ; implicit-def: $vgpr0_vgpr1
.LBB6_18431:                            ;   in Loop: Header=BB6_18303 Depth=3
	s_andn2_saveexec_b64 s[28:29], s[34:35]
	s_cbranch_execz .LBB6_18437
; %bb.18432:                            ;   in Loop: Header=BB6_18303 Depth=3
	v_cmp_ne_u64_e32 vcc, 0, v[0:1]
                                        ; implicit-def: $vgpr0
	buffer_store_dword v0, off, s[0:3], s33 offset:268 ; 4-byte Folded Spill
	s_nop 0
	buffer_store_dword v1, off, s[0:3], s33 offset:272 ; 4-byte Folded Spill
	s_and_saveexec_b64 s[62:63], vcc
	s_xor_b64 vcc, exec, s[62:63]
	s_cbranch_execz .LBB6_18434
; %bb.18433:                            ;   in Loop: Header=BB6_18303 Depth=3
	v_or_b32_sdwa v0, v2, s44 dst_sel:DWORD dst_unused:UNUSED_PAD src0_sel:BYTE_3 src1_sel:DWORD
	buffer_store_dword v0, off, s[0:3], s33 offset:268 ; 4-byte Folded Spill
	s_nop 0
	buffer_store_dword v1, off, s[0:3], s33 offset:272 ; 4-byte Folded Spill
                                        ; implicit-def: $vgpr2
.LBB6_18434:                            ;   in Loop: Header=BB6_18303 Depth=3
	s_andn2_saveexec_b64 s[34:35], vcc
	s_cbranch_execz .LBB6_18436
; %bb.18435:                            ;   in Loop: Header=BB6_18303 Depth=3
	v_cmp_lt_i32_e32 vcc, -1, v2
	v_mov_b32_e32 v0, 0x7c
	v_cndmask_b32_e32 v0, -4, v0, vcc
	buffer_store_dword v0, off, s[0:3], s33 offset:268 ; 4-byte Folded Spill
	s_nop 0
	buffer_store_dword v1, off, s[0:3], s33 offset:272 ; 4-byte Folded Spill
.LBB6_18436:                            ;   in Loop: Header=BB6_18303 Depth=3
	s_or_b64 exec, exec, s[34:35]
.LBB6_18437:                            ;   in Loop: Header=BB6_18303 Depth=3
	s_or_b64 exec, exec, s[28:29]
	flat_load_sbyte v0, v[12:13] offset:256 glc slc
	v_mov_b32_e32 v1, 0
	s_waitcnt vmcnt(0) lgkmcnt(0)
	v_cmp_ne_u16_e32 vcc, 0, v0
	s_and_saveexec_b64 s[28:29], vcc
	s_cbranch_execz .LBB6_18445
; %bb.18438:                            ;   in Loop: Header=BB6_18303 Depth=3
	v_cmp_ne_u16_e32 vcc, s46, v0
	v_bfrev_b32_e32 v1, 1
	s_and_saveexec_b64 s[34:35], vcc
	s_cbranch_execz .LBB6_18444
; %bb.18439:                            ;   in Loop: Header=BB6_18303 Depth=3
	v_and_b32_e32 v1, 0x7c, v0
	v_and_b32_e32 v2, 3, v0
	v_cmp_ne_u32_e32 vcc, s86, v1
                                        ; implicit-def: $vgpr1
	s_and_saveexec_b64 s[62:63], vcc
	s_xor_b64 s[36:37], exec, s[62:63]
	s_cbranch_execz .LBB6_18441
; %bb.18440:                            ;   in Loop: Header=BB6_18303 Depth=3
	v_ffbh_u32_e32 v5, v2
	v_min_u32_e32 v7, 32, v5
	v_and_b32_e32 v3, 0xff, v0
	v_mov_b32_e32 v1, v33
	v_subrev_u32_e32 v5, 29, v7
	v_bfe_u32 v3, v3, 2, 5
	v_lshlrev_b64 v[5:6], v5, v[0:1]
	v_sub_u32_e32 v1, 30, v7
	v_cmp_eq_u32_e32 vcc, 0, v3
	v_and_b32_e32 v5, 3, v5
	v_cndmask_b32_e32 v1, v3, v1, vcc
	v_and_b32_sdwa v0, sext(v0), s87 dst_sel:DWORD dst_unused:UNUSED_PAD src0_sel:WORD_0 src1_sel:DWORD
	v_cndmask_b32_e32 v2, v2, v5, vcc
	v_lshl_add_u32 v0, v1, 23, v0
	v_lshl_or_b32 v0, v2, 21, v0
	v_add_u32_e32 v1, 0x38000000, v0
                                        ; implicit-def: $vgpr2
                                        ; implicit-def: $vgpr0
.LBB6_18441:                            ;   in Loop: Header=BB6_18303 Depth=3
	s_andn2_saveexec_b64 s[36:37], s[36:37]
; %bb.18442:                            ;   in Loop: Header=BB6_18303 Depth=3
	v_cmp_lt_i16_e32 vcc, -1, v0
	v_mov_b32_e32 v0, 0xff800000
	v_mov_b32_e32 v1, 0x7f800000
	v_cndmask_b32_e32 v0, v0, v1, vcc
	v_cmp_eq_u32_e32 vcc, 0, v2
	v_mov_b32_e32 v1, 0x7f800001
	v_cndmask_b32_e32 v1, v1, v0, vcc
; %bb.18443:                            ;   in Loop: Header=BB6_18303 Depth=3
	s_or_b64 exec, exec, s[36:37]
.LBB6_18444:                            ;   in Loop: Header=BB6_18303 Depth=3
	s_or_b64 exec, exec, s[34:35]
.LBB6_18445:                            ;   in Loop: Header=BB6_18303 Depth=3
	s_or_b64 exec, exec, s[28:29]
	v_mul_f32_e32 v2, v4, v1
	v_and_b32_e32 v5, 0x7f800000, v2
	v_mov_b32_e32 v6, v33
	v_cmp_ne_u64_e32 vcc, s[76:77], v[5:6]
	v_and_b32_e32 v0, 0x7fffff, v2
	v_mov_b32_e32 v1, v33
                                        ; implicit-def: $vgpr48
	s_and_saveexec_b64 s[28:29], vcc
	s_xor_b64 s[34:35], exec, s[28:29]
	s_cbranch_execz .LBB6_18463
; %bb.18446:                            ;   in Loop: Header=BB6_18303 Depth=3
	v_and_b32_e32 v5, 0x7fffffff, v2
	v_mov_b32_e32 v6, v33
	v_cmp_gt_u64_e32 vcc, s[78:79], v[5:6]
	v_and_b32_sdwa v3, v2, s97 dst_sel:DWORD dst_unused:UNUSED_PAD src0_sel:BYTE_3 src1_sel:DWORD
                                        ; implicit-def: $vgpr48
	s_and_saveexec_b64 s[28:29], vcc
	s_xor_b64 s[36:37], exec, s[28:29]
	s_cbranch_execz .LBB6_18460
; %bb.18447:                            ;   in Loop: Header=BB6_18303 Depth=3
	v_cmp_ne_u32_e32 vcc, 0, v2
	v_mov_b32_e32 v48, 0
	s_and_saveexec_b64 s[38:39], vcc
	s_cbranch_execz .LBB6_18459
; %bb.18448:                            ;   in Loop: Header=BB6_18303 Depth=3
	v_bfe_u32 v5, v2, 23, 8
	v_cmp_gt_u32_e64 s[28:29], s47, v5
	v_sub_u32_e32 v2, 0x71, v5
	v_cmp_eq_u32_e32 vcc, 0, v5
	v_cndmask_b32_e64 v2, 0, v2, s[28:29]
	v_mov_b32_e32 v6, 0x70
	v_cndmask_b32_e32 v6, v2, v6, vcc
	v_add_u32_e32 v2, 21, v6
	v_or_b32_e32 v7, 0x800000, v0
	v_lshlrev_b64 v[16:17], v2, -1
	v_cndmask_b32_e32 v0, v7, v0, vcc
	v_add_u32_e32 v2, 20, v6
	v_bfi_b32 v16, v16, 0, v0
	v_lshlrev_b64 v[18:19], v2, 1
	v_lshrrev_b64 v[0:1], v6, v[0:1]
	v_bfi_b32 v17, v17, 0, 0
	v_cmp_eq_u64_e64 s[28:29], v[16:17], v[18:19]
	v_mov_b32_e32 v2, v1
	v_mov_b32_e32 v1, v0
	s_and_saveexec_b64 s[48:49], s[28:29]
; %bb.18449:                            ;   in Loop: Header=BB6_18303 Depth=3
	v_bfe_u32 v1, v0, 21, 1
	v_add_co_u32_e64 v1, s[28:29], v0, v1
	v_add_co_u32_e64 v1, s[28:29], -1, v1
; %bb.18450:                            ;   in Loop: Header=BB6_18303 Depth=3
	s_or_b64 exec, exec, s[48:49]
	v_add_u32_e32 v2, 0xffffff81, v5
	v_mov_b32_e32 v5, 0xffffff82
	v_cndmask_b32_e32 v2, v2, v5, vcc
	v_lshrrev_b32_e32 v5, 23, v0
	v_add3_u32 v6, v6, v2, v5
	v_add_u32_e32 v5, 14, v6
	v_and_b32_e32 v1, 0x1fffff, v1
	v_add_u32_e32 v0, v1, v0
	v_mov_b32_e32 v1, v33
	v_cmp_ne_u32_e32 vcc, 0, v5
                                        ; implicit-def: $vgpr2
	s_and_saveexec_b64 s[28:29], vcc
	s_xor_b64 s[28:29], exec, s[28:29]
; %bb.18451:                            ;   in Loop: Header=BB6_18303 Depth=3
	v_cmp_lt_u64_e32 vcc, s[88:89], v[0:1]
	v_add_u32_e32 v2, 15, v6
	v_cndmask_b32_e32 v2, v5, v2, vcc
	v_cndmask_b32_e64 v5, 0, 1, vcc
	v_lshrrev_b64 v[0:1], v5, v[0:1]
; %bb.18452:                            ;   in Loop: Header=BB6_18303 Depth=3
	s_andn2_saveexec_b64 s[28:29], s[28:29]
; %bb.18453:                            ;   in Loop: Header=BB6_18303 Depth=3
	v_bfe_u32 v2, v0, 23, 1
; %bb.18454:                            ;   in Loop: Header=BB6_18303 Depth=3
	s_or_b64 exec, exec, s[28:29]
	v_lshrrev_b64 v[0:1], 21, v[0:1]
	v_cmp_gt_i32_e32 vcc, 32, v2
	v_cndmask_b32_e32 v1, 0, v1, vcc
	v_cndmask_b32_e32 v0, 3, v0, vcc
	v_cmp_ne_u64_e32 vcc, 0, v[0:1]
	v_cmp_ne_u32_e64 s[28:29], 0, v2
	s_or_b64 s[28:29], s[28:29], vcc
                                        ; implicit-def: $vgpr48
	s_and_saveexec_b64 s[62:63], s[28:29]
	s_xor_b64 s[28:29], exec, s[62:63]
; %bb.18455:                            ;   in Loop: Header=BB6_18303 Depth=3
	v_min_i32_e32 v1, 31, v2
	v_lshl_or_b32 v1, v1, 2, v3
	v_and_or_b32 v48, v0, 3, v1
                                        ; implicit-def: $vgpr3
; %bb.18456:                            ;   in Loop: Header=BB6_18303 Depth=3
	s_andn2_saveexec_b64 s[28:29], s[28:29]
; %bb.18457:                            ;   in Loop: Header=BB6_18303 Depth=3
	v_mov_b32_e32 v48, v3
; %bb.18458:                            ;   in Loop: Header=BB6_18303 Depth=3
	s_or_b64 exec, exec, s[28:29]
.LBB6_18459:                            ;   in Loop: Header=BB6_18303 Depth=3
	s_or_b64 exec, exec, s[38:39]
                                        ; implicit-def: $vgpr3
.LBB6_18460:                            ;   in Loop: Header=BB6_18303 Depth=3
	s_andn2_saveexec_b64 s[28:29], s[36:37]
; %bb.18461:                            ;   in Loop: Header=BB6_18303 Depth=3
	v_or_b32_e32 v48, 0x7b, v3
; %bb.18462:                            ;   in Loop: Header=BB6_18303 Depth=3
	s_or_b64 exec, exec, s[28:29]
                                        ; implicit-def: $vgpr2
                                        ; implicit-def: $vgpr0_vgpr1
.LBB6_18463:                            ;   in Loop: Header=BB6_18303 Depth=3
	s_andn2_saveexec_b64 s[28:29], s[34:35]
	s_cbranch_execz .LBB6_18469
; %bb.18464:                            ;   in Loop: Header=BB6_18303 Depth=3
	v_cmp_ne_u64_e32 vcc, 0, v[0:1]
                                        ; implicit-def: $vgpr48
	s_and_saveexec_b64 s[62:63], vcc
	s_xor_b64 vcc, exec, s[62:63]
; %bb.18465:                            ;   in Loop: Header=BB6_18303 Depth=3
	v_or_b32_sdwa v48, v2, s44 dst_sel:DWORD dst_unused:UNUSED_PAD src0_sel:BYTE_3 src1_sel:DWORD
                                        ; implicit-def: $vgpr2
; %bb.18466:                            ;   in Loop: Header=BB6_18303 Depth=3
	s_andn2_saveexec_b64 s[34:35], vcc
; %bb.18467:                            ;   in Loop: Header=BB6_18303 Depth=3
	v_cmp_lt_i32_e32 vcc, -1, v2
	v_mov_b32_e32 v0, 0x7c
	v_cndmask_b32_e32 v48, -4, v0, vcc
; %bb.18468:                            ;   in Loop: Header=BB6_18303 Depth=3
	s_or_b64 exec, exec, s[34:35]
.LBB6_18469:                            ;   in Loop: Header=BB6_18303 Depth=3
	s_or_b64 exec, exec, s[28:29]
	flat_load_sbyte v0, v[12:13] offset:320 glc slc
	v_mov_b32_e32 v1, 0
	s_waitcnt vmcnt(0) lgkmcnt(0)
	v_cmp_ne_u16_e32 vcc, 0, v0
	s_and_saveexec_b64 s[28:29], vcc
	s_cbranch_execz .LBB6_18477
; %bb.18470:                            ;   in Loop: Header=BB6_18303 Depth=3
	v_cmp_ne_u16_e32 vcc, s46, v0
	v_bfrev_b32_e32 v1, 1
	s_and_saveexec_b64 s[34:35], vcc
	s_cbranch_execz .LBB6_18476
; %bb.18471:                            ;   in Loop: Header=BB6_18303 Depth=3
	v_and_b32_e32 v1, 0x7c, v0
	v_and_b32_e32 v2, 3, v0
	v_cmp_ne_u32_e32 vcc, s86, v1
                                        ; implicit-def: $vgpr1
	s_and_saveexec_b64 s[62:63], vcc
	s_xor_b64 s[36:37], exec, s[62:63]
	s_cbranch_execz .LBB6_18473
; %bb.18472:                            ;   in Loop: Header=BB6_18303 Depth=3
	v_ffbh_u32_e32 v5, v2
	v_min_u32_e32 v7, 32, v5
	v_and_b32_e32 v3, 0xff, v0
	v_mov_b32_e32 v1, v33
	v_subrev_u32_e32 v5, 29, v7
	v_bfe_u32 v3, v3, 2, 5
	v_lshlrev_b64 v[5:6], v5, v[0:1]
	v_sub_u32_e32 v1, 30, v7
	v_cmp_eq_u32_e32 vcc, 0, v3
	v_and_b32_e32 v5, 3, v5
	v_cndmask_b32_e32 v1, v3, v1, vcc
	v_and_b32_sdwa v0, sext(v0), s87 dst_sel:DWORD dst_unused:UNUSED_PAD src0_sel:WORD_0 src1_sel:DWORD
	v_cndmask_b32_e32 v2, v2, v5, vcc
	v_lshl_add_u32 v0, v1, 23, v0
	v_lshl_or_b32 v0, v2, 21, v0
	v_add_u32_e32 v1, 0x38000000, v0
                                        ; implicit-def: $vgpr2
                                        ; implicit-def: $vgpr0
.LBB6_18473:                            ;   in Loop: Header=BB6_18303 Depth=3
	s_andn2_saveexec_b64 s[36:37], s[36:37]
; %bb.18474:                            ;   in Loop: Header=BB6_18303 Depth=3
	v_cmp_lt_i16_e32 vcc, -1, v0
	v_mov_b32_e32 v0, 0xff800000
	v_mov_b32_e32 v1, 0x7f800000
	v_cndmask_b32_e32 v0, v0, v1, vcc
	v_cmp_eq_u32_e32 vcc, 0, v2
	v_mov_b32_e32 v1, 0x7f800001
	v_cndmask_b32_e32 v1, v1, v0, vcc
; %bb.18475:                            ;   in Loop: Header=BB6_18303 Depth=3
	s_or_b64 exec, exec, s[36:37]
.LBB6_18476:                            ;   in Loop: Header=BB6_18303 Depth=3
	s_or_b64 exec, exec, s[34:35]
.LBB6_18477:                            ;   in Loop: Header=BB6_18303 Depth=3
	s_or_b64 exec, exec, s[28:29]
	v_mul_f32_e32 v2, v4, v1
	v_and_b32_e32 v5, 0x7f800000, v2
	v_mov_b32_e32 v6, v33
	v_cmp_ne_u64_e32 vcc, s[76:77], v[5:6]
	v_and_b32_e32 v0, 0x7fffff, v2
	v_mov_b32_e32 v1, v33
                                        ; implicit-def: $vgpr3
	buffer_store_dword v3, off, s[0:3], s33 offset:260 ; 4-byte Folded Spill
	s_nop 0
	buffer_store_dword v4, off, s[0:3], s33 offset:264 ; 4-byte Folded Spill
	s_and_saveexec_b64 s[28:29], vcc
	s_xor_b64 s[34:35], exec, s[28:29]
	s_cbranch_execz .LBB6_18495
; %bb.18478:                            ;   in Loop: Header=BB6_18303 Depth=3
	v_and_b32_e32 v5, 0x7fffffff, v2
	v_mov_b32_e32 v6, v33
	v_cmp_gt_u64_e32 vcc, s[78:79], v[5:6]
	v_and_b32_sdwa v3, v2, s97 dst_sel:DWORD dst_unused:UNUSED_PAD src0_sel:BYTE_3 src1_sel:DWORD
                                        ; implicit-def: $vgpr5
	buffer_store_dword v5, off, s[0:3], s33 offset:260 ; 4-byte Folded Spill
	s_nop 0
	buffer_store_dword v6, off, s[0:3], s33 offset:264 ; 4-byte Folded Spill
	s_and_saveexec_b64 s[28:29], vcc
	s_xor_b64 s[36:37], exec, s[28:29]
	s_cbranch_execz .LBB6_18492
; %bb.18479:                            ;   in Loop: Header=BB6_18303 Depth=3
	v_cmp_ne_u32_e32 vcc, 0, v2
	v_mov_b32_e32 v5, 0
	buffer_store_dword v5, off, s[0:3], s33 offset:260 ; 4-byte Folded Spill
	s_nop 0
	buffer_store_dword v6, off, s[0:3], s33 offset:264 ; 4-byte Folded Spill
	s_and_saveexec_b64 s[38:39], vcc
	s_cbranch_execz .LBB6_18491
; %bb.18480:                            ;   in Loop: Header=BB6_18303 Depth=3
	v_bfe_u32 v5, v2, 23, 8
	v_cmp_gt_u32_e64 s[28:29], s47, v5
	v_sub_u32_e32 v2, 0x71, v5
	v_cmp_eq_u32_e32 vcc, 0, v5
	v_cndmask_b32_e64 v2, 0, v2, s[28:29]
	v_mov_b32_e32 v6, 0x70
	v_cndmask_b32_e32 v6, v2, v6, vcc
	v_add_u32_e32 v2, 21, v6
	v_or_b32_e32 v7, 0x800000, v0
	v_lshlrev_b64 v[16:17], v2, -1
	v_cndmask_b32_e32 v0, v7, v0, vcc
	v_add_u32_e32 v2, 20, v6
	v_bfi_b32 v16, v16, 0, v0
	v_lshlrev_b64 v[18:19], v2, 1
	v_lshrrev_b64 v[0:1], v6, v[0:1]
	v_bfi_b32 v17, v17, 0, 0
	v_cmp_eq_u64_e64 s[28:29], v[16:17], v[18:19]
	v_mov_b32_e32 v2, v1
	v_mov_b32_e32 v1, v0
	s_and_saveexec_b64 s[48:49], s[28:29]
; %bb.18481:                            ;   in Loop: Header=BB6_18303 Depth=3
	v_bfe_u32 v1, v0, 21, 1
	v_add_co_u32_e64 v1, s[28:29], v0, v1
	v_add_co_u32_e64 v1, s[28:29], -1, v1
; %bb.18482:                            ;   in Loop: Header=BB6_18303 Depth=3
	s_or_b64 exec, exec, s[48:49]
	v_add_u32_e32 v2, 0xffffff81, v5
	v_mov_b32_e32 v5, 0xffffff82
	v_cndmask_b32_e32 v2, v2, v5, vcc
	v_lshrrev_b32_e32 v5, 23, v0
	v_add3_u32 v6, v6, v2, v5
	v_add_u32_e32 v5, 14, v6
	v_and_b32_e32 v1, 0x1fffff, v1
	v_add_u32_e32 v0, v1, v0
	v_mov_b32_e32 v1, v33
	v_cmp_ne_u32_e32 vcc, 0, v5
                                        ; implicit-def: $vgpr2
	s_and_saveexec_b64 s[28:29], vcc
	s_xor_b64 s[28:29], exec, s[28:29]
; %bb.18483:                            ;   in Loop: Header=BB6_18303 Depth=3
	v_cmp_lt_u64_e32 vcc, s[88:89], v[0:1]
	v_add_u32_e32 v2, 15, v6
	v_cndmask_b32_e32 v2, v5, v2, vcc
	v_cndmask_b32_e64 v5, 0, 1, vcc
	v_lshrrev_b64 v[0:1], v5, v[0:1]
; %bb.18484:                            ;   in Loop: Header=BB6_18303 Depth=3
	s_andn2_saveexec_b64 s[28:29], s[28:29]
; %bb.18485:                            ;   in Loop: Header=BB6_18303 Depth=3
	v_bfe_u32 v2, v0, 23, 1
; %bb.18486:                            ;   in Loop: Header=BB6_18303 Depth=3
	s_or_b64 exec, exec, s[28:29]
	v_lshrrev_b64 v[0:1], 21, v[0:1]
	v_cmp_gt_i32_e32 vcc, 32, v2
	v_cndmask_b32_e32 v1, 0, v1, vcc
	v_cndmask_b32_e32 v0, 3, v0, vcc
	v_cmp_ne_u64_e32 vcc, 0, v[0:1]
	v_cmp_ne_u32_e64 s[28:29], 0, v2
	s_or_b64 s[28:29], s[28:29], vcc
                                        ; implicit-def: $vgpr1
	buffer_store_dword v1, off, s[0:3], s33 offset:260 ; 4-byte Folded Spill
	s_nop 0
	buffer_store_dword v2, off, s[0:3], s33 offset:264 ; 4-byte Folded Spill
	s_and_saveexec_b64 s[62:63], s[28:29]
	s_xor_b64 s[28:29], exec, s[62:63]
	s_cbranch_execz .LBB6_18488
; %bb.18487:                            ;   in Loop: Header=BB6_18303 Depth=3
	v_min_i32_e32 v1, 31, v2
	v_lshl_or_b32 v1, v1, 2, v3
	v_and_or_b32 v0, v0, 3, v1
	buffer_store_dword v0, off, s[0:3], s33 offset:260 ; 4-byte Folded Spill
	s_nop 0
	buffer_store_dword v1, off, s[0:3], s33 offset:264 ; 4-byte Folded Spill
                                        ; implicit-def: $vgpr3
.LBB6_18488:                            ;   in Loop: Header=BB6_18303 Depth=3
	s_andn2_saveexec_b64 s[28:29], s[28:29]
	s_cbranch_execz .LBB6_18490
; %bb.18489:                            ;   in Loop: Header=BB6_18303 Depth=3
	v_mov_b32_e32 v0, v3
	buffer_store_dword v0, off, s[0:3], s33 offset:260 ; 4-byte Folded Spill
	s_nop 0
	buffer_store_dword v1, off, s[0:3], s33 offset:264 ; 4-byte Folded Spill
.LBB6_18490:                            ;   in Loop: Header=BB6_18303 Depth=3
	s_or_b64 exec, exec, s[28:29]
.LBB6_18491:                            ;   in Loop: Header=BB6_18303 Depth=3
	s_or_b64 exec, exec, s[38:39]
                                        ; implicit-def: $vgpr3
.LBB6_18492:                            ;   in Loop: Header=BB6_18303 Depth=3
	s_andn2_saveexec_b64 s[28:29], s[36:37]
	s_cbranch_execz .LBB6_18494
; %bb.18493:                            ;   in Loop: Header=BB6_18303 Depth=3
	v_or_b32_e32 v0, 0x7b, v3
	buffer_store_dword v0, off, s[0:3], s33 offset:260 ; 4-byte Folded Spill
	s_nop 0
	buffer_store_dword v1, off, s[0:3], s33 offset:264 ; 4-byte Folded Spill
.LBB6_18494:                            ;   in Loop: Header=BB6_18303 Depth=3
	s_or_b64 exec, exec, s[28:29]
                                        ; implicit-def: $vgpr2
                                        ; implicit-def: $vgpr0_vgpr1
.LBB6_18495:                            ;   in Loop: Header=BB6_18303 Depth=3
	s_andn2_saveexec_b64 s[28:29], s[34:35]
	s_cbranch_execz .LBB6_18501
; %bb.18496:                            ;   in Loop: Header=BB6_18303 Depth=3
	v_cmp_ne_u64_e32 vcc, 0, v[0:1]
                                        ; implicit-def: $vgpr0
	buffer_store_dword v0, off, s[0:3], s33 offset:260 ; 4-byte Folded Spill
	s_nop 0
	buffer_store_dword v1, off, s[0:3], s33 offset:264 ; 4-byte Folded Spill
	s_and_saveexec_b64 s[62:63], vcc
	s_xor_b64 vcc, exec, s[62:63]
	s_cbranch_execz .LBB6_18498
; %bb.18497:                            ;   in Loop: Header=BB6_18303 Depth=3
	v_or_b32_sdwa v0, v2, s44 dst_sel:DWORD dst_unused:UNUSED_PAD src0_sel:BYTE_3 src1_sel:DWORD
	buffer_store_dword v0, off, s[0:3], s33 offset:260 ; 4-byte Folded Spill
	s_nop 0
	buffer_store_dword v1, off, s[0:3], s33 offset:264 ; 4-byte Folded Spill
                                        ; implicit-def: $vgpr2
.LBB6_18498:                            ;   in Loop: Header=BB6_18303 Depth=3
	s_andn2_saveexec_b64 s[34:35], vcc
	s_cbranch_execz .LBB6_18500
; %bb.18499:                            ;   in Loop: Header=BB6_18303 Depth=3
	v_cmp_lt_i32_e32 vcc, -1, v2
	v_mov_b32_e32 v0, 0x7c
	v_cndmask_b32_e32 v0, -4, v0, vcc
	buffer_store_dword v0, off, s[0:3], s33 offset:260 ; 4-byte Folded Spill
	s_nop 0
	buffer_store_dword v1, off, s[0:3], s33 offset:264 ; 4-byte Folded Spill
.LBB6_18500:                            ;   in Loop: Header=BB6_18303 Depth=3
	s_or_b64 exec, exec, s[34:35]
.LBB6_18501:                            ;   in Loop: Header=BB6_18303 Depth=3
	s_or_b64 exec, exec, s[28:29]
	flat_load_sbyte v0, v[12:13] offset:384 glc slc
	v_mov_b32_e32 v1, 0
	s_waitcnt vmcnt(0) lgkmcnt(0)
	v_cmp_ne_u16_e32 vcc, 0, v0
	s_and_saveexec_b64 s[28:29], vcc
	s_cbranch_execz .LBB6_18509
; %bb.18502:                            ;   in Loop: Header=BB6_18303 Depth=3
	v_cmp_ne_u16_e32 vcc, s46, v0
	v_bfrev_b32_e32 v1, 1
	s_and_saveexec_b64 s[34:35], vcc
	s_cbranch_execz .LBB6_18508
; %bb.18503:                            ;   in Loop: Header=BB6_18303 Depth=3
	v_and_b32_e32 v1, 0x7c, v0
	v_and_b32_e32 v2, 3, v0
	v_cmp_ne_u32_e32 vcc, s86, v1
                                        ; implicit-def: $vgpr1
	s_and_saveexec_b64 s[62:63], vcc
	s_xor_b64 s[36:37], exec, s[62:63]
	s_cbranch_execz .LBB6_18505
; %bb.18504:                            ;   in Loop: Header=BB6_18303 Depth=3
	v_ffbh_u32_e32 v5, v2
	v_min_u32_e32 v7, 32, v5
	v_and_b32_e32 v3, 0xff, v0
	v_mov_b32_e32 v1, v33
	v_subrev_u32_e32 v5, 29, v7
	v_bfe_u32 v3, v3, 2, 5
	v_lshlrev_b64 v[5:6], v5, v[0:1]
	v_sub_u32_e32 v1, 30, v7
	v_cmp_eq_u32_e32 vcc, 0, v3
	v_and_b32_e32 v5, 3, v5
	v_cndmask_b32_e32 v1, v3, v1, vcc
	v_and_b32_sdwa v0, sext(v0), s87 dst_sel:DWORD dst_unused:UNUSED_PAD src0_sel:WORD_0 src1_sel:DWORD
	v_cndmask_b32_e32 v2, v2, v5, vcc
	v_lshl_add_u32 v0, v1, 23, v0
	v_lshl_or_b32 v0, v2, 21, v0
	v_add_u32_e32 v1, 0x38000000, v0
                                        ; implicit-def: $vgpr2
                                        ; implicit-def: $vgpr0
.LBB6_18505:                            ;   in Loop: Header=BB6_18303 Depth=3
	s_andn2_saveexec_b64 s[36:37], s[36:37]
; %bb.18506:                            ;   in Loop: Header=BB6_18303 Depth=3
	v_cmp_lt_i16_e32 vcc, -1, v0
	v_mov_b32_e32 v0, 0xff800000
	v_mov_b32_e32 v1, 0x7f800000
	v_cndmask_b32_e32 v0, v0, v1, vcc
	v_cmp_eq_u32_e32 vcc, 0, v2
	v_mov_b32_e32 v1, 0x7f800001
	v_cndmask_b32_e32 v1, v1, v0, vcc
; %bb.18507:                            ;   in Loop: Header=BB6_18303 Depth=3
	s_or_b64 exec, exec, s[36:37]
.LBB6_18508:                            ;   in Loop: Header=BB6_18303 Depth=3
	s_or_b64 exec, exec, s[34:35]
.LBB6_18509:                            ;   in Loop: Header=BB6_18303 Depth=3
	s_or_b64 exec, exec, s[28:29]
	v_mul_f32_e32 v2, v4, v1
	v_and_b32_e32 v5, 0x7f800000, v2
	v_mov_b32_e32 v6, v33
	v_cmp_ne_u64_e32 vcc, s[76:77], v[5:6]
	v_and_b32_e32 v0, 0x7fffff, v2
	v_mov_b32_e32 v1, v33
                                        ; implicit-def: $vgpr39
	s_and_saveexec_b64 s[28:29], vcc
	s_xor_b64 s[34:35], exec, s[28:29]
	s_cbranch_execz .LBB6_18527
; %bb.18510:                            ;   in Loop: Header=BB6_18303 Depth=3
	v_and_b32_e32 v5, 0x7fffffff, v2
	v_mov_b32_e32 v6, v33
	v_cmp_gt_u64_e32 vcc, s[78:79], v[5:6]
	v_and_b32_sdwa v3, v2, s97 dst_sel:DWORD dst_unused:UNUSED_PAD src0_sel:BYTE_3 src1_sel:DWORD
                                        ; implicit-def: $vgpr39
	s_and_saveexec_b64 s[28:29], vcc
	s_xor_b64 s[36:37], exec, s[28:29]
	s_cbranch_execz .LBB6_18524
; %bb.18511:                            ;   in Loop: Header=BB6_18303 Depth=3
	v_cmp_ne_u32_e32 vcc, 0, v2
	v_mov_b32_e32 v39, 0
	s_and_saveexec_b64 s[38:39], vcc
	s_cbranch_execz .LBB6_18523
; %bb.18512:                            ;   in Loop: Header=BB6_18303 Depth=3
	v_bfe_u32 v5, v2, 23, 8
	v_cmp_gt_u32_e64 s[28:29], s47, v5
	v_sub_u32_e32 v2, 0x71, v5
	v_cmp_eq_u32_e32 vcc, 0, v5
	v_cndmask_b32_e64 v2, 0, v2, s[28:29]
	v_mov_b32_e32 v6, 0x70
	v_cndmask_b32_e32 v6, v2, v6, vcc
	v_add_u32_e32 v2, 21, v6
	v_or_b32_e32 v7, 0x800000, v0
	v_lshlrev_b64 v[16:17], v2, -1
	v_cndmask_b32_e32 v0, v7, v0, vcc
	v_add_u32_e32 v2, 20, v6
	v_bfi_b32 v16, v16, 0, v0
	v_lshlrev_b64 v[18:19], v2, 1
	v_lshrrev_b64 v[0:1], v6, v[0:1]
	v_bfi_b32 v17, v17, 0, 0
	v_cmp_eq_u64_e64 s[28:29], v[16:17], v[18:19]
	v_mov_b32_e32 v2, v1
	v_mov_b32_e32 v1, v0
	s_and_saveexec_b64 s[48:49], s[28:29]
; %bb.18513:                            ;   in Loop: Header=BB6_18303 Depth=3
	v_bfe_u32 v1, v0, 21, 1
	v_add_co_u32_e64 v1, s[28:29], v0, v1
	v_add_co_u32_e64 v1, s[28:29], -1, v1
; %bb.18514:                            ;   in Loop: Header=BB6_18303 Depth=3
	s_or_b64 exec, exec, s[48:49]
	v_add_u32_e32 v2, 0xffffff81, v5
	v_mov_b32_e32 v5, 0xffffff82
	v_cndmask_b32_e32 v2, v2, v5, vcc
	v_lshrrev_b32_e32 v5, 23, v0
	v_add3_u32 v6, v6, v2, v5
	v_add_u32_e32 v5, 14, v6
	v_and_b32_e32 v1, 0x1fffff, v1
	v_add_u32_e32 v0, v1, v0
	v_mov_b32_e32 v1, v33
	v_cmp_ne_u32_e32 vcc, 0, v5
                                        ; implicit-def: $vgpr2
	s_and_saveexec_b64 s[28:29], vcc
	s_xor_b64 s[28:29], exec, s[28:29]
; %bb.18515:                            ;   in Loop: Header=BB6_18303 Depth=3
	v_cmp_lt_u64_e32 vcc, s[88:89], v[0:1]
	v_add_u32_e32 v2, 15, v6
	v_cndmask_b32_e32 v2, v5, v2, vcc
	v_cndmask_b32_e64 v5, 0, 1, vcc
	v_lshrrev_b64 v[0:1], v5, v[0:1]
; %bb.18516:                            ;   in Loop: Header=BB6_18303 Depth=3
	s_andn2_saveexec_b64 s[28:29], s[28:29]
; %bb.18517:                            ;   in Loop: Header=BB6_18303 Depth=3
	v_bfe_u32 v2, v0, 23, 1
; %bb.18518:                            ;   in Loop: Header=BB6_18303 Depth=3
	s_or_b64 exec, exec, s[28:29]
	v_lshrrev_b64 v[0:1], 21, v[0:1]
	v_cmp_gt_i32_e32 vcc, 32, v2
	v_cndmask_b32_e32 v1, 0, v1, vcc
	v_cndmask_b32_e32 v0, 3, v0, vcc
	v_cmp_ne_u64_e32 vcc, 0, v[0:1]
	v_cmp_ne_u32_e64 s[28:29], 0, v2
	s_or_b64 s[28:29], s[28:29], vcc
                                        ; implicit-def: $vgpr39
	s_and_saveexec_b64 s[62:63], s[28:29]
	s_xor_b64 s[28:29], exec, s[62:63]
; %bb.18519:                            ;   in Loop: Header=BB6_18303 Depth=3
	v_min_i32_e32 v1, 31, v2
	v_lshl_or_b32 v1, v1, 2, v3
	v_and_or_b32 v39, v0, 3, v1
                                        ; implicit-def: $vgpr3
; %bb.18520:                            ;   in Loop: Header=BB6_18303 Depth=3
	s_andn2_saveexec_b64 s[28:29], s[28:29]
; %bb.18521:                            ;   in Loop: Header=BB6_18303 Depth=3
	v_mov_b32_e32 v39, v3
; %bb.18522:                            ;   in Loop: Header=BB6_18303 Depth=3
	s_or_b64 exec, exec, s[28:29]
.LBB6_18523:                            ;   in Loop: Header=BB6_18303 Depth=3
	s_or_b64 exec, exec, s[38:39]
                                        ; implicit-def: $vgpr3
.LBB6_18524:                            ;   in Loop: Header=BB6_18303 Depth=3
	s_andn2_saveexec_b64 s[28:29], s[36:37]
; %bb.18525:                            ;   in Loop: Header=BB6_18303 Depth=3
	v_or_b32_e32 v39, 0x7b, v3
; %bb.18526:                            ;   in Loop: Header=BB6_18303 Depth=3
	s_or_b64 exec, exec, s[28:29]
                                        ; implicit-def: $vgpr2
                                        ; implicit-def: $vgpr0_vgpr1
.LBB6_18527:                            ;   in Loop: Header=BB6_18303 Depth=3
	s_andn2_saveexec_b64 s[28:29], s[34:35]
	s_cbranch_execz .LBB6_18533
; %bb.18528:                            ;   in Loop: Header=BB6_18303 Depth=3
	v_cmp_ne_u64_e32 vcc, 0, v[0:1]
                                        ; implicit-def: $vgpr39
	s_and_saveexec_b64 s[62:63], vcc
	s_xor_b64 vcc, exec, s[62:63]
; %bb.18529:                            ;   in Loop: Header=BB6_18303 Depth=3
	v_or_b32_sdwa v39, v2, s44 dst_sel:DWORD dst_unused:UNUSED_PAD src0_sel:BYTE_3 src1_sel:DWORD
                                        ; implicit-def: $vgpr2
; %bb.18530:                            ;   in Loop: Header=BB6_18303 Depth=3
	s_andn2_saveexec_b64 s[34:35], vcc
; %bb.18531:                            ;   in Loop: Header=BB6_18303 Depth=3
	v_cmp_lt_i32_e32 vcc, -1, v2
	v_mov_b32_e32 v0, 0x7c
	v_cndmask_b32_e32 v39, -4, v0, vcc
; %bb.18532:                            ;   in Loop: Header=BB6_18303 Depth=3
	s_or_b64 exec, exec, s[34:35]
.LBB6_18533:                            ;   in Loop: Header=BB6_18303 Depth=3
	s_or_b64 exec, exec, s[28:29]
	flat_load_sbyte v0, v[12:13] offset:448 glc slc
	v_mov_b32_e32 v1, 0
	s_waitcnt vmcnt(0) lgkmcnt(0)
	v_cmp_ne_u16_e32 vcc, 0, v0
	s_and_saveexec_b64 s[28:29], vcc
	s_cbranch_execz .LBB6_18541
; %bb.18534:                            ;   in Loop: Header=BB6_18303 Depth=3
	v_cmp_ne_u16_e32 vcc, s46, v0
	v_bfrev_b32_e32 v1, 1
	s_and_saveexec_b64 s[34:35], vcc
	s_cbranch_execz .LBB6_18540
; %bb.18535:                            ;   in Loop: Header=BB6_18303 Depth=3
	v_and_b32_e32 v1, 0x7c, v0
	v_and_b32_e32 v2, 3, v0
	v_cmp_ne_u32_e32 vcc, s86, v1
                                        ; implicit-def: $vgpr1
	s_and_saveexec_b64 s[62:63], vcc
	s_xor_b64 s[36:37], exec, s[62:63]
	s_cbranch_execz .LBB6_18537
; %bb.18536:                            ;   in Loop: Header=BB6_18303 Depth=3
	v_ffbh_u32_e32 v5, v2
	v_min_u32_e32 v7, 32, v5
	v_and_b32_e32 v3, 0xff, v0
	v_mov_b32_e32 v1, v33
	v_subrev_u32_e32 v5, 29, v7
	v_bfe_u32 v3, v3, 2, 5
	v_lshlrev_b64 v[5:6], v5, v[0:1]
	v_sub_u32_e32 v1, 30, v7
	v_cmp_eq_u32_e32 vcc, 0, v3
	v_and_b32_e32 v5, 3, v5
	v_cndmask_b32_e32 v1, v3, v1, vcc
	v_and_b32_sdwa v0, sext(v0), s87 dst_sel:DWORD dst_unused:UNUSED_PAD src0_sel:WORD_0 src1_sel:DWORD
	v_cndmask_b32_e32 v2, v2, v5, vcc
	v_lshl_add_u32 v0, v1, 23, v0
	v_lshl_or_b32 v0, v2, 21, v0
	v_add_u32_e32 v1, 0x38000000, v0
                                        ; implicit-def: $vgpr2
                                        ; implicit-def: $vgpr0
.LBB6_18537:                            ;   in Loop: Header=BB6_18303 Depth=3
	s_andn2_saveexec_b64 s[36:37], s[36:37]
; %bb.18538:                            ;   in Loop: Header=BB6_18303 Depth=3
	v_cmp_lt_i16_e32 vcc, -1, v0
	v_mov_b32_e32 v0, 0xff800000
	v_mov_b32_e32 v1, 0x7f800000
	v_cndmask_b32_e32 v0, v0, v1, vcc
	v_cmp_eq_u32_e32 vcc, 0, v2
	v_mov_b32_e32 v1, 0x7f800001
	v_cndmask_b32_e32 v1, v1, v0, vcc
; %bb.18539:                            ;   in Loop: Header=BB6_18303 Depth=3
	s_or_b64 exec, exec, s[36:37]
.LBB6_18540:                            ;   in Loop: Header=BB6_18303 Depth=3
	s_or_b64 exec, exec, s[34:35]
.LBB6_18541:                            ;   in Loop: Header=BB6_18303 Depth=3
	s_or_b64 exec, exec, s[28:29]
	v_mul_f32_e32 v2, v4, v1
	v_and_b32_e32 v5, 0x7f800000, v2
	v_mov_b32_e32 v6, v33
	v_cmp_ne_u64_e32 vcc, s[76:77], v[5:6]
	v_and_b32_e32 v0, 0x7fffff, v2
	v_mov_b32_e32 v1, v33
                                        ; implicit-def: $vgpr3
	buffer_store_dword v3, off, s[0:3], s33 offset:252 ; 4-byte Folded Spill
	s_nop 0
	buffer_store_dword v4, off, s[0:3], s33 offset:256 ; 4-byte Folded Spill
	s_and_saveexec_b64 s[28:29], vcc
	s_xor_b64 s[34:35], exec, s[28:29]
	s_cbranch_execz .LBB6_18559
; %bb.18542:                            ;   in Loop: Header=BB6_18303 Depth=3
	v_and_b32_e32 v5, 0x7fffffff, v2
	v_mov_b32_e32 v6, v33
	v_cmp_gt_u64_e32 vcc, s[78:79], v[5:6]
	v_and_b32_sdwa v3, v2, s97 dst_sel:DWORD dst_unused:UNUSED_PAD src0_sel:BYTE_3 src1_sel:DWORD
                                        ; implicit-def: $vgpr5
	buffer_store_dword v5, off, s[0:3], s33 offset:252 ; 4-byte Folded Spill
	s_nop 0
	buffer_store_dword v6, off, s[0:3], s33 offset:256 ; 4-byte Folded Spill
	s_and_saveexec_b64 s[28:29], vcc
	s_xor_b64 s[36:37], exec, s[28:29]
	s_cbranch_execz .LBB6_18556
; %bb.18543:                            ;   in Loop: Header=BB6_18303 Depth=3
	v_cmp_ne_u32_e32 vcc, 0, v2
	v_mov_b32_e32 v5, 0
	buffer_store_dword v5, off, s[0:3], s33 offset:252 ; 4-byte Folded Spill
	s_nop 0
	buffer_store_dword v6, off, s[0:3], s33 offset:256 ; 4-byte Folded Spill
	s_and_saveexec_b64 s[38:39], vcc
	s_cbranch_execz .LBB6_18555
; %bb.18544:                            ;   in Loop: Header=BB6_18303 Depth=3
	v_bfe_u32 v5, v2, 23, 8
	v_cmp_gt_u32_e64 s[28:29], s47, v5
	v_sub_u32_e32 v2, 0x71, v5
	v_cmp_eq_u32_e32 vcc, 0, v5
	v_cndmask_b32_e64 v2, 0, v2, s[28:29]
	v_mov_b32_e32 v6, 0x70
	v_cndmask_b32_e32 v6, v2, v6, vcc
	v_add_u32_e32 v2, 21, v6
	v_or_b32_e32 v7, 0x800000, v0
	v_lshlrev_b64 v[16:17], v2, -1
	v_cndmask_b32_e32 v0, v7, v0, vcc
	v_add_u32_e32 v2, 20, v6
	v_bfi_b32 v16, v16, 0, v0
	v_lshlrev_b64 v[18:19], v2, 1
	v_lshrrev_b64 v[0:1], v6, v[0:1]
	v_bfi_b32 v17, v17, 0, 0
	v_cmp_eq_u64_e64 s[28:29], v[16:17], v[18:19]
	v_mov_b32_e32 v2, v1
	v_mov_b32_e32 v1, v0
	s_and_saveexec_b64 s[48:49], s[28:29]
; %bb.18545:                            ;   in Loop: Header=BB6_18303 Depth=3
	v_bfe_u32 v1, v0, 21, 1
	v_add_co_u32_e64 v1, s[28:29], v0, v1
	v_add_co_u32_e64 v1, s[28:29], -1, v1
; %bb.18546:                            ;   in Loop: Header=BB6_18303 Depth=3
	s_or_b64 exec, exec, s[48:49]
	v_add_u32_e32 v2, 0xffffff81, v5
	v_mov_b32_e32 v5, 0xffffff82
	v_cndmask_b32_e32 v2, v2, v5, vcc
	v_lshrrev_b32_e32 v5, 23, v0
	v_add3_u32 v6, v6, v2, v5
	v_add_u32_e32 v5, 14, v6
	v_and_b32_e32 v1, 0x1fffff, v1
	v_add_u32_e32 v0, v1, v0
	v_mov_b32_e32 v1, v33
	v_cmp_ne_u32_e32 vcc, 0, v5
                                        ; implicit-def: $vgpr2
	s_and_saveexec_b64 s[28:29], vcc
	s_xor_b64 s[28:29], exec, s[28:29]
; %bb.18547:                            ;   in Loop: Header=BB6_18303 Depth=3
	v_cmp_lt_u64_e32 vcc, s[88:89], v[0:1]
	v_add_u32_e32 v2, 15, v6
	v_cndmask_b32_e32 v2, v5, v2, vcc
	v_cndmask_b32_e64 v5, 0, 1, vcc
	v_lshrrev_b64 v[0:1], v5, v[0:1]
; %bb.18548:                            ;   in Loop: Header=BB6_18303 Depth=3
	s_andn2_saveexec_b64 s[28:29], s[28:29]
; %bb.18549:                            ;   in Loop: Header=BB6_18303 Depth=3
	v_bfe_u32 v2, v0, 23, 1
; %bb.18550:                            ;   in Loop: Header=BB6_18303 Depth=3
	s_or_b64 exec, exec, s[28:29]
	v_lshrrev_b64 v[0:1], 21, v[0:1]
	v_cmp_gt_i32_e32 vcc, 32, v2
	v_cndmask_b32_e32 v1, 0, v1, vcc
	v_cndmask_b32_e32 v0, 3, v0, vcc
	v_cmp_ne_u64_e32 vcc, 0, v[0:1]
	v_cmp_ne_u32_e64 s[28:29], 0, v2
	s_or_b64 s[28:29], s[28:29], vcc
                                        ; implicit-def: $vgpr1
	buffer_store_dword v1, off, s[0:3], s33 offset:252 ; 4-byte Folded Spill
	s_nop 0
	buffer_store_dword v2, off, s[0:3], s33 offset:256 ; 4-byte Folded Spill
	s_and_saveexec_b64 s[62:63], s[28:29]
	s_xor_b64 s[28:29], exec, s[62:63]
	s_cbranch_execz .LBB6_18552
; %bb.18551:                            ;   in Loop: Header=BB6_18303 Depth=3
	v_min_i32_e32 v1, 31, v2
	v_lshl_or_b32 v1, v1, 2, v3
	v_and_or_b32 v0, v0, 3, v1
	buffer_store_dword v0, off, s[0:3], s33 offset:252 ; 4-byte Folded Spill
	s_nop 0
	buffer_store_dword v1, off, s[0:3], s33 offset:256 ; 4-byte Folded Spill
                                        ; implicit-def: $vgpr3
.LBB6_18552:                            ;   in Loop: Header=BB6_18303 Depth=3
	s_andn2_saveexec_b64 s[28:29], s[28:29]
	s_cbranch_execz .LBB6_18554
; %bb.18553:                            ;   in Loop: Header=BB6_18303 Depth=3
	v_mov_b32_e32 v0, v3
	buffer_store_dword v0, off, s[0:3], s33 offset:252 ; 4-byte Folded Spill
	s_nop 0
	buffer_store_dword v1, off, s[0:3], s33 offset:256 ; 4-byte Folded Spill
.LBB6_18554:                            ;   in Loop: Header=BB6_18303 Depth=3
	s_or_b64 exec, exec, s[28:29]
.LBB6_18555:                            ;   in Loop: Header=BB6_18303 Depth=3
	s_or_b64 exec, exec, s[38:39]
                                        ; implicit-def: $vgpr3
.LBB6_18556:                            ;   in Loop: Header=BB6_18303 Depth=3
	s_andn2_saveexec_b64 s[28:29], s[36:37]
	s_cbranch_execz .LBB6_18558
; %bb.18557:                            ;   in Loop: Header=BB6_18303 Depth=3
	v_or_b32_e32 v0, 0x7b, v3
	buffer_store_dword v0, off, s[0:3], s33 offset:252 ; 4-byte Folded Spill
	s_nop 0
	buffer_store_dword v1, off, s[0:3], s33 offset:256 ; 4-byte Folded Spill
.LBB6_18558:                            ;   in Loop: Header=BB6_18303 Depth=3
	s_or_b64 exec, exec, s[28:29]
                                        ; implicit-def: $vgpr2
                                        ; implicit-def: $vgpr0_vgpr1
.LBB6_18559:                            ;   in Loop: Header=BB6_18303 Depth=3
	s_andn2_saveexec_b64 s[28:29], s[34:35]
	s_cbranch_execz .LBB6_18565
; %bb.18560:                            ;   in Loop: Header=BB6_18303 Depth=3
	v_cmp_ne_u64_e32 vcc, 0, v[0:1]
                                        ; implicit-def: $vgpr0
	buffer_store_dword v0, off, s[0:3], s33 offset:252 ; 4-byte Folded Spill
	s_nop 0
	buffer_store_dword v1, off, s[0:3], s33 offset:256 ; 4-byte Folded Spill
	s_and_saveexec_b64 s[62:63], vcc
	s_xor_b64 vcc, exec, s[62:63]
	s_cbranch_execz .LBB6_18562
; %bb.18561:                            ;   in Loop: Header=BB6_18303 Depth=3
	v_or_b32_sdwa v0, v2, s44 dst_sel:DWORD dst_unused:UNUSED_PAD src0_sel:BYTE_3 src1_sel:DWORD
	buffer_store_dword v0, off, s[0:3], s33 offset:252 ; 4-byte Folded Spill
	s_nop 0
	buffer_store_dword v1, off, s[0:3], s33 offset:256 ; 4-byte Folded Spill
                                        ; implicit-def: $vgpr2
.LBB6_18562:                            ;   in Loop: Header=BB6_18303 Depth=3
	s_andn2_saveexec_b64 s[34:35], vcc
	s_cbranch_execz .LBB6_18564
; %bb.18563:                            ;   in Loop: Header=BB6_18303 Depth=3
	v_cmp_lt_i32_e32 vcc, -1, v2
	v_mov_b32_e32 v0, 0x7c
	v_cndmask_b32_e32 v0, -4, v0, vcc
	buffer_store_dword v0, off, s[0:3], s33 offset:252 ; 4-byte Folded Spill
	s_nop 0
	buffer_store_dword v1, off, s[0:3], s33 offset:256 ; 4-byte Folded Spill
.LBB6_18564:                            ;   in Loop: Header=BB6_18303 Depth=3
	s_or_b64 exec, exec, s[34:35]
.LBB6_18565:                            ;   in Loop: Header=BB6_18303 Depth=3
	s_or_b64 exec, exec, s[28:29]
	flat_load_sbyte v0, v[12:13] offset:512 glc slc
	v_mov_b32_e32 v1, 0
	s_waitcnt vmcnt(0) lgkmcnt(0)
	v_cmp_ne_u16_e32 vcc, 0, v0
	s_and_saveexec_b64 s[28:29], vcc
	s_cbranch_execz .LBB6_18573
; %bb.18566:                            ;   in Loop: Header=BB6_18303 Depth=3
	v_cmp_ne_u16_e32 vcc, s46, v0
	v_bfrev_b32_e32 v1, 1
	s_and_saveexec_b64 s[34:35], vcc
	s_cbranch_execz .LBB6_18572
; %bb.18567:                            ;   in Loop: Header=BB6_18303 Depth=3
	v_and_b32_e32 v1, 0x7c, v0
	v_and_b32_e32 v2, 3, v0
	v_cmp_ne_u32_e32 vcc, s86, v1
                                        ; implicit-def: $vgpr1
	s_and_saveexec_b64 s[62:63], vcc
	s_xor_b64 s[36:37], exec, s[62:63]
	s_cbranch_execz .LBB6_18569
; %bb.18568:                            ;   in Loop: Header=BB6_18303 Depth=3
	v_ffbh_u32_e32 v5, v2
	v_min_u32_e32 v7, 32, v5
	v_and_b32_e32 v3, 0xff, v0
	v_mov_b32_e32 v1, v33
	v_subrev_u32_e32 v5, 29, v7
	v_bfe_u32 v3, v3, 2, 5
	v_lshlrev_b64 v[5:6], v5, v[0:1]
	v_sub_u32_e32 v1, 30, v7
	v_cmp_eq_u32_e32 vcc, 0, v3
	v_and_b32_e32 v5, 3, v5
	v_cndmask_b32_e32 v1, v3, v1, vcc
	v_and_b32_sdwa v0, sext(v0), s87 dst_sel:DWORD dst_unused:UNUSED_PAD src0_sel:WORD_0 src1_sel:DWORD
	v_cndmask_b32_e32 v2, v2, v5, vcc
	v_lshl_add_u32 v0, v1, 23, v0
	v_lshl_or_b32 v0, v2, 21, v0
	v_add_u32_e32 v1, 0x38000000, v0
                                        ; implicit-def: $vgpr2
                                        ; implicit-def: $vgpr0
.LBB6_18569:                            ;   in Loop: Header=BB6_18303 Depth=3
	s_andn2_saveexec_b64 s[36:37], s[36:37]
; %bb.18570:                            ;   in Loop: Header=BB6_18303 Depth=3
	v_cmp_lt_i16_e32 vcc, -1, v0
	v_mov_b32_e32 v0, 0xff800000
	v_mov_b32_e32 v1, 0x7f800000
	v_cndmask_b32_e32 v0, v0, v1, vcc
	v_cmp_eq_u32_e32 vcc, 0, v2
	v_mov_b32_e32 v1, 0x7f800001
	v_cndmask_b32_e32 v1, v1, v0, vcc
; %bb.18571:                            ;   in Loop: Header=BB6_18303 Depth=3
	s_or_b64 exec, exec, s[36:37]
.LBB6_18572:                            ;   in Loop: Header=BB6_18303 Depth=3
	s_or_b64 exec, exec, s[34:35]
.LBB6_18573:                            ;   in Loop: Header=BB6_18303 Depth=3
	s_or_b64 exec, exec, s[28:29]
	v_mul_f32_e32 v2, v4, v1
	v_and_b32_e32 v5, 0x7f800000, v2
	v_mov_b32_e32 v6, v33
	v_cmp_ne_u64_e32 vcc, s[76:77], v[5:6]
	v_and_b32_e32 v0, 0x7fffff, v2
	v_mov_b32_e32 v1, v33
                                        ; implicit-def: $vgpr57
	s_and_saveexec_b64 s[28:29], vcc
	s_xor_b64 s[34:35], exec, s[28:29]
	s_cbranch_execz .LBB6_18591
; %bb.18574:                            ;   in Loop: Header=BB6_18303 Depth=3
	v_and_b32_e32 v5, 0x7fffffff, v2
	v_mov_b32_e32 v6, v33
	v_cmp_gt_u64_e32 vcc, s[78:79], v[5:6]
	v_and_b32_sdwa v3, v2, s97 dst_sel:DWORD dst_unused:UNUSED_PAD src0_sel:BYTE_3 src1_sel:DWORD
                                        ; implicit-def: $vgpr57
	s_and_saveexec_b64 s[28:29], vcc
	s_xor_b64 s[36:37], exec, s[28:29]
	s_cbranch_execz .LBB6_18588
; %bb.18575:                            ;   in Loop: Header=BB6_18303 Depth=3
	v_cmp_ne_u32_e32 vcc, 0, v2
	v_mov_b32_e32 v57, 0
	s_and_saveexec_b64 s[38:39], vcc
	s_cbranch_execz .LBB6_18587
; %bb.18576:                            ;   in Loop: Header=BB6_18303 Depth=3
	v_bfe_u32 v5, v2, 23, 8
	v_cmp_gt_u32_e64 s[28:29], s47, v5
	v_sub_u32_e32 v2, 0x71, v5
	v_cmp_eq_u32_e32 vcc, 0, v5
	v_cndmask_b32_e64 v2, 0, v2, s[28:29]
	v_mov_b32_e32 v6, 0x70
	v_cndmask_b32_e32 v6, v2, v6, vcc
	v_add_u32_e32 v2, 21, v6
	v_or_b32_e32 v7, 0x800000, v0
	v_lshlrev_b64 v[16:17], v2, -1
	v_cndmask_b32_e32 v0, v7, v0, vcc
	v_add_u32_e32 v2, 20, v6
	v_bfi_b32 v16, v16, 0, v0
	v_lshlrev_b64 v[18:19], v2, 1
	v_lshrrev_b64 v[0:1], v6, v[0:1]
	v_bfi_b32 v17, v17, 0, 0
	v_cmp_eq_u64_e64 s[28:29], v[16:17], v[18:19]
	v_mov_b32_e32 v2, v1
	v_mov_b32_e32 v1, v0
	s_and_saveexec_b64 s[48:49], s[28:29]
; %bb.18577:                            ;   in Loop: Header=BB6_18303 Depth=3
	v_bfe_u32 v1, v0, 21, 1
	v_add_co_u32_e64 v1, s[28:29], v0, v1
	v_add_co_u32_e64 v1, s[28:29], -1, v1
; %bb.18578:                            ;   in Loop: Header=BB6_18303 Depth=3
	s_or_b64 exec, exec, s[48:49]
	v_add_u32_e32 v2, 0xffffff81, v5
	v_mov_b32_e32 v5, 0xffffff82
	v_cndmask_b32_e32 v2, v2, v5, vcc
	v_lshrrev_b32_e32 v5, 23, v0
	v_add3_u32 v6, v6, v2, v5
	v_add_u32_e32 v5, 14, v6
	v_and_b32_e32 v1, 0x1fffff, v1
	v_add_u32_e32 v0, v1, v0
	v_mov_b32_e32 v1, v33
	v_cmp_ne_u32_e32 vcc, 0, v5
                                        ; implicit-def: $vgpr2
	s_and_saveexec_b64 s[28:29], vcc
	s_xor_b64 s[28:29], exec, s[28:29]
; %bb.18579:                            ;   in Loop: Header=BB6_18303 Depth=3
	v_cmp_lt_u64_e32 vcc, s[88:89], v[0:1]
	v_add_u32_e32 v2, 15, v6
	v_cndmask_b32_e32 v2, v5, v2, vcc
	v_cndmask_b32_e64 v5, 0, 1, vcc
	v_lshrrev_b64 v[0:1], v5, v[0:1]
; %bb.18580:                            ;   in Loop: Header=BB6_18303 Depth=3
	s_andn2_saveexec_b64 s[28:29], s[28:29]
; %bb.18581:                            ;   in Loop: Header=BB6_18303 Depth=3
	v_bfe_u32 v2, v0, 23, 1
; %bb.18582:                            ;   in Loop: Header=BB6_18303 Depth=3
	s_or_b64 exec, exec, s[28:29]
	v_lshrrev_b64 v[0:1], 21, v[0:1]
	v_cmp_gt_i32_e32 vcc, 32, v2
	v_cndmask_b32_e32 v1, 0, v1, vcc
	v_cndmask_b32_e32 v0, 3, v0, vcc
	v_cmp_ne_u64_e32 vcc, 0, v[0:1]
	v_cmp_ne_u32_e64 s[28:29], 0, v2
	s_or_b64 s[28:29], s[28:29], vcc
                                        ; implicit-def: $vgpr57
	s_and_saveexec_b64 s[62:63], s[28:29]
	s_xor_b64 s[28:29], exec, s[62:63]
; %bb.18583:                            ;   in Loop: Header=BB6_18303 Depth=3
	v_min_i32_e32 v1, 31, v2
	v_lshl_or_b32 v1, v1, 2, v3
	v_and_or_b32 v57, v0, 3, v1
                                        ; implicit-def: $vgpr3
; %bb.18584:                            ;   in Loop: Header=BB6_18303 Depth=3
	s_andn2_saveexec_b64 s[28:29], s[28:29]
; %bb.18585:                            ;   in Loop: Header=BB6_18303 Depth=3
	v_mov_b32_e32 v57, v3
; %bb.18586:                            ;   in Loop: Header=BB6_18303 Depth=3
	s_or_b64 exec, exec, s[28:29]
.LBB6_18587:                            ;   in Loop: Header=BB6_18303 Depth=3
	s_or_b64 exec, exec, s[38:39]
                                        ; implicit-def: $vgpr3
.LBB6_18588:                            ;   in Loop: Header=BB6_18303 Depth=3
	s_andn2_saveexec_b64 s[28:29], s[36:37]
; %bb.18589:                            ;   in Loop: Header=BB6_18303 Depth=3
	v_or_b32_e32 v57, 0x7b, v3
; %bb.18590:                            ;   in Loop: Header=BB6_18303 Depth=3
	s_or_b64 exec, exec, s[28:29]
                                        ; implicit-def: $vgpr2
                                        ; implicit-def: $vgpr0_vgpr1
.LBB6_18591:                            ;   in Loop: Header=BB6_18303 Depth=3
	s_andn2_saveexec_b64 s[28:29], s[34:35]
	s_cbranch_execz .LBB6_18597
; %bb.18592:                            ;   in Loop: Header=BB6_18303 Depth=3
	v_cmp_ne_u64_e32 vcc, 0, v[0:1]
                                        ; implicit-def: $vgpr57
	s_and_saveexec_b64 s[62:63], vcc
	s_xor_b64 vcc, exec, s[62:63]
; %bb.18593:                            ;   in Loop: Header=BB6_18303 Depth=3
	v_or_b32_sdwa v57, v2, s44 dst_sel:DWORD dst_unused:UNUSED_PAD src0_sel:BYTE_3 src1_sel:DWORD
                                        ; implicit-def: $vgpr2
; %bb.18594:                            ;   in Loop: Header=BB6_18303 Depth=3
	s_andn2_saveexec_b64 s[34:35], vcc
; %bb.18595:                            ;   in Loop: Header=BB6_18303 Depth=3
	v_cmp_lt_i32_e32 vcc, -1, v2
	v_mov_b32_e32 v0, 0x7c
	v_cndmask_b32_e32 v57, -4, v0, vcc
; %bb.18596:                            ;   in Loop: Header=BB6_18303 Depth=3
	s_or_b64 exec, exec, s[34:35]
.LBB6_18597:                            ;   in Loop: Header=BB6_18303 Depth=3
	s_or_b64 exec, exec, s[28:29]
	flat_load_sbyte v0, v[12:13] offset:576 glc slc
	v_mov_b32_e32 v1, 0
	s_waitcnt vmcnt(0) lgkmcnt(0)
	v_cmp_ne_u16_e32 vcc, 0, v0
	s_and_saveexec_b64 s[28:29], vcc
	s_cbranch_execz .LBB6_18605
; %bb.18598:                            ;   in Loop: Header=BB6_18303 Depth=3
	v_cmp_ne_u16_e32 vcc, s46, v0
	v_bfrev_b32_e32 v1, 1
	s_and_saveexec_b64 s[34:35], vcc
	s_cbranch_execz .LBB6_18604
; %bb.18599:                            ;   in Loop: Header=BB6_18303 Depth=3
	v_and_b32_e32 v1, 0x7c, v0
	v_and_b32_e32 v2, 3, v0
	v_cmp_ne_u32_e32 vcc, s86, v1
                                        ; implicit-def: $vgpr1
	s_and_saveexec_b64 s[62:63], vcc
	s_xor_b64 s[36:37], exec, s[62:63]
	s_cbranch_execz .LBB6_18601
; %bb.18600:                            ;   in Loop: Header=BB6_18303 Depth=3
	v_ffbh_u32_e32 v5, v2
	v_min_u32_e32 v7, 32, v5
	v_and_b32_e32 v3, 0xff, v0
	v_mov_b32_e32 v1, v33
	v_subrev_u32_e32 v5, 29, v7
	v_bfe_u32 v3, v3, 2, 5
	v_lshlrev_b64 v[5:6], v5, v[0:1]
	v_sub_u32_e32 v1, 30, v7
	v_cmp_eq_u32_e32 vcc, 0, v3
	v_and_b32_e32 v5, 3, v5
	v_cndmask_b32_e32 v1, v3, v1, vcc
	v_and_b32_sdwa v0, sext(v0), s87 dst_sel:DWORD dst_unused:UNUSED_PAD src0_sel:WORD_0 src1_sel:DWORD
	v_cndmask_b32_e32 v2, v2, v5, vcc
	v_lshl_add_u32 v0, v1, 23, v0
	v_lshl_or_b32 v0, v2, 21, v0
	v_add_u32_e32 v1, 0x38000000, v0
                                        ; implicit-def: $vgpr2
                                        ; implicit-def: $vgpr0
.LBB6_18601:                            ;   in Loop: Header=BB6_18303 Depth=3
	s_andn2_saveexec_b64 s[36:37], s[36:37]
; %bb.18602:                            ;   in Loop: Header=BB6_18303 Depth=3
	v_cmp_lt_i16_e32 vcc, -1, v0
	v_mov_b32_e32 v0, 0xff800000
	v_mov_b32_e32 v1, 0x7f800000
	v_cndmask_b32_e32 v0, v0, v1, vcc
	v_cmp_eq_u32_e32 vcc, 0, v2
	v_mov_b32_e32 v1, 0x7f800001
	v_cndmask_b32_e32 v1, v1, v0, vcc
; %bb.18603:                            ;   in Loop: Header=BB6_18303 Depth=3
	s_or_b64 exec, exec, s[36:37]
.LBB6_18604:                            ;   in Loop: Header=BB6_18303 Depth=3
	s_or_b64 exec, exec, s[34:35]
.LBB6_18605:                            ;   in Loop: Header=BB6_18303 Depth=3
	s_or_b64 exec, exec, s[28:29]
	v_mul_f32_e32 v5, v4, v1
	v_and_b32_e32 v2, 0x7f800000, v5
	v_mov_b32_e32 v3, v33
	v_cmp_ne_u64_e32 vcc, s[76:77], v[2:3]
	v_and_b32_e32 v1, 0x7fffff, v5
	v_mov_b32_e32 v2, v33
                                        ; implicit-def: $vgpr0
	s_and_saveexec_b64 s[28:29], vcc
	s_xor_b64 s[34:35], exec, s[28:29]
	s_cbranch_execz .LBB6_18623
; %bb.18606:                            ;   in Loop: Header=BB6_18303 Depth=3
	v_and_b32_e32 v6, 0x7fffffff, v5
	v_mov_b32_e32 v7, v33
	v_cmp_gt_u64_e32 vcc, s[78:79], v[6:7]
	v_and_b32_sdwa v3, v5, s97 dst_sel:DWORD dst_unused:UNUSED_PAD src0_sel:BYTE_3 src1_sel:DWORD
                                        ; implicit-def: $vgpr0
	s_and_saveexec_b64 s[28:29], vcc
	s_xor_b64 s[36:37], exec, s[28:29]
	s_cbranch_execz .LBB6_18620
; %bb.18607:                            ;   in Loop: Header=BB6_18303 Depth=3
	v_cmp_ne_u32_e32 vcc, 0, v5
	v_mov_b32_e32 v0, 0
	s_and_saveexec_b64 s[38:39], vcc
	s_cbranch_execz .LBB6_18619
; %bb.18608:                            ;   in Loop: Header=BB6_18303 Depth=3
	v_bfe_u32 v5, v5, 23, 8
	v_cmp_gt_u32_e64 s[28:29], s47, v5
	v_sub_u32_e32 v0, 0x71, v5
	v_cmp_eq_u32_e32 vcc, 0, v5
	v_cndmask_b32_e64 v0, 0, v0, s[28:29]
	v_mov_b32_e32 v6, 0x70
	v_cndmask_b32_e32 v6, v0, v6, vcc
	v_add_u32_e32 v0, 21, v6
	v_or_b32_e32 v7, 0x800000, v1
	v_lshlrev_b64 v[16:17], v0, -1
	v_cndmask_b32_e32 v1, v7, v1, vcc
	v_add_u32_e32 v0, 20, v6
	v_bfi_b32 v16, v16, 0, v1
	v_lshlrev_b64 v[18:19], v0, 1
	v_lshrrev_b64 v[0:1], v6, v[1:2]
	v_bfi_b32 v17, v17, 0, 0
	v_cmp_eq_u64_e64 s[28:29], v[16:17], v[18:19]
	v_mov_b32_e32 v2, v1
	v_mov_b32_e32 v1, v0
	s_and_saveexec_b64 s[48:49], s[28:29]
; %bb.18609:                            ;   in Loop: Header=BB6_18303 Depth=3
	v_bfe_u32 v1, v0, 21, 1
	v_add_co_u32_e64 v1, s[28:29], v0, v1
	v_add_co_u32_e64 v1, s[28:29], -1, v1
; %bb.18610:                            ;   in Loop: Header=BB6_18303 Depth=3
	s_or_b64 exec, exec, s[48:49]
	v_add_u32_e32 v2, 0xffffff81, v5
	v_mov_b32_e32 v5, 0xffffff82
	v_cndmask_b32_e32 v2, v2, v5, vcc
	v_lshrrev_b32_e32 v5, 23, v0
	v_add3_u32 v6, v6, v2, v5
	v_add_u32_e32 v2, 14, v6
	v_and_b32_e32 v1, 0x1fffff, v1
	v_add_u32_e32 v0, v1, v0
	v_mov_b32_e32 v1, v33
	v_cmp_ne_u32_e32 vcc, 0, v2
                                        ; implicit-def: $vgpr5
	s_and_saveexec_b64 s[28:29], vcc
	s_xor_b64 s[28:29], exec, s[28:29]
; %bb.18611:                            ;   in Loop: Header=BB6_18303 Depth=3
	v_cmp_lt_u64_e32 vcc, s[88:89], v[0:1]
	v_add_u32_e32 v5, 15, v6
	v_cndmask_b32_e32 v5, v2, v5, vcc
	v_cndmask_b32_e64 v2, 0, 1, vcc
	v_lshrrev_b64 v[0:1], v2, v[0:1]
; %bb.18612:                            ;   in Loop: Header=BB6_18303 Depth=3
	s_andn2_saveexec_b64 s[28:29], s[28:29]
; %bb.18613:                            ;   in Loop: Header=BB6_18303 Depth=3
	v_bfe_u32 v5, v0, 23, 1
; %bb.18614:                            ;   in Loop: Header=BB6_18303 Depth=3
	s_or_b64 exec, exec, s[28:29]
	v_lshrrev_b64 v[0:1], 21, v[0:1]
	v_cmp_gt_i32_e32 vcc, 32, v5
	v_cndmask_b32_e32 v2, 0, v1, vcc
	v_cndmask_b32_e32 v1, 3, v0, vcc
	v_cmp_ne_u64_e32 vcc, 0, v[1:2]
	v_cmp_ne_u32_e64 s[28:29], 0, v5
	s_or_b64 s[28:29], s[28:29], vcc
                                        ; implicit-def: $vgpr0
	s_and_saveexec_b64 s[62:63], s[28:29]
	s_xor_b64 s[28:29], exec, s[62:63]
; %bb.18615:                            ;   in Loop: Header=BB6_18303 Depth=3
	v_min_i32_e32 v0, 31, v5
	v_lshl_or_b32 v0, v0, 2, v3
	v_and_or_b32 v0, v1, 3, v0
                                        ; implicit-def: $vgpr3
; %bb.18616:                            ;   in Loop: Header=BB6_18303 Depth=3
	s_andn2_saveexec_b64 s[28:29], s[28:29]
; %bb.18617:                            ;   in Loop: Header=BB6_18303 Depth=3
	v_mov_b32_e32 v0, v3
; %bb.18618:                            ;   in Loop: Header=BB6_18303 Depth=3
	s_or_b64 exec, exec, s[28:29]
.LBB6_18619:                            ;   in Loop: Header=BB6_18303 Depth=3
	s_or_b64 exec, exec, s[38:39]
                                        ; implicit-def: $vgpr3
.LBB6_18620:                            ;   in Loop: Header=BB6_18303 Depth=3
	s_andn2_saveexec_b64 s[28:29], s[36:37]
; %bb.18621:                            ;   in Loop: Header=BB6_18303 Depth=3
	v_or_b32_e32 v0, 0x7b, v3
; %bb.18622:                            ;   in Loop: Header=BB6_18303 Depth=3
	s_or_b64 exec, exec, s[28:29]
                                        ; implicit-def: $vgpr5
                                        ; implicit-def: $vgpr1_vgpr2
.LBB6_18623:                            ;   in Loop: Header=BB6_18303 Depth=3
	s_andn2_saveexec_b64 s[28:29], s[34:35]
	s_cbranch_execz .LBB6_18629
; %bb.18624:                            ;   in Loop: Header=BB6_18303 Depth=3
	v_cmp_ne_u64_e32 vcc, 0, v[1:2]
                                        ; implicit-def: $vgpr0
	s_and_saveexec_b64 s[62:63], vcc
	s_xor_b64 vcc, exec, s[62:63]
; %bb.18625:                            ;   in Loop: Header=BB6_18303 Depth=3
	v_or_b32_sdwa v0, v5, s44 dst_sel:DWORD dst_unused:UNUSED_PAD src0_sel:BYTE_3 src1_sel:DWORD
                                        ; implicit-def: $vgpr5
; %bb.18626:                            ;   in Loop: Header=BB6_18303 Depth=3
	s_andn2_saveexec_b64 s[34:35], vcc
; %bb.18627:                            ;   in Loop: Header=BB6_18303 Depth=3
	v_cmp_lt_i32_e32 vcc, -1, v5
	v_mov_b32_e32 v0, 0x7c
	v_cndmask_b32_e32 v0, -4, v0, vcc
; %bb.18628:                            ;   in Loop: Header=BB6_18303 Depth=3
	s_or_b64 exec, exec, s[34:35]
.LBB6_18629:                            ;   in Loop: Header=BB6_18303 Depth=3
	s_or_b64 exec, exec, s[28:29]
	flat_load_sbyte v1, v[12:13] offset:640 glc slc
	v_mov_b32_e32 v2, 0
	s_waitcnt vmcnt(0) lgkmcnt(0)
	v_cmp_ne_u16_e32 vcc, 0, v1
	s_and_saveexec_b64 s[28:29], vcc
	s_cbranch_execz .LBB6_18637
; %bb.18630:                            ;   in Loop: Header=BB6_18303 Depth=3
	v_cmp_ne_u16_e32 vcc, s46, v1
	v_bfrev_b32_e32 v2, 1
	s_and_saveexec_b64 s[34:35], vcc
	s_cbranch_execz .LBB6_18636
; %bb.18631:                            ;   in Loop: Header=BB6_18303 Depth=3
	v_and_b32_e32 v2, 0x7c, v1
	v_and_b32_e32 v3, 3, v1
	v_cmp_ne_u32_e32 vcc, s86, v2
                                        ; implicit-def: $vgpr2
	s_and_saveexec_b64 s[62:63], vcc
	s_xor_b64 s[36:37], exec, s[62:63]
	s_cbranch_execz .LBB6_18633
; %bb.18632:                            ;   in Loop: Header=BB6_18303 Depth=3
	v_and_b32_e32 v5, 0xff, v1
	v_bfe_u32 v7, v5, 2, 5
	v_ffbh_u32_e32 v5, v3
	v_min_u32_e32 v16, 32, v5
	v_mov_b32_e32 v2, v33
	v_subrev_u32_e32 v5, 29, v16
	v_lshlrev_b64 v[5:6], v5, v[1:2]
	v_sub_u32_e32 v2, 30, v16
	v_cmp_eq_u32_e32 vcc, 0, v7
	v_and_b32_e32 v5, 3, v5
	v_cndmask_b32_e32 v2, v7, v2, vcc
	v_and_b32_sdwa v1, sext(v1), s87 dst_sel:DWORD dst_unused:UNUSED_PAD src0_sel:WORD_0 src1_sel:DWORD
	v_cndmask_b32_e32 v3, v3, v5, vcc
	v_lshl_add_u32 v1, v2, 23, v1
	v_lshl_or_b32 v1, v3, 21, v1
	v_add_u32_e32 v2, 0x38000000, v1
                                        ; implicit-def: $vgpr3
                                        ; implicit-def: $vgpr1
.LBB6_18633:                            ;   in Loop: Header=BB6_18303 Depth=3
	s_andn2_saveexec_b64 s[36:37], s[36:37]
; %bb.18634:                            ;   in Loop: Header=BB6_18303 Depth=3
	v_cmp_lt_i16_e32 vcc, -1, v1
	v_mov_b32_e32 v1, 0xff800000
	v_mov_b32_e32 v2, 0x7f800000
	v_cndmask_b32_e32 v1, v1, v2, vcc
	v_cmp_eq_u32_e32 vcc, 0, v3
	v_mov_b32_e32 v2, 0x7f800001
	v_cndmask_b32_e32 v2, v2, v1, vcc
; %bb.18635:                            ;   in Loop: Header=BB6_18303 Depth=3
	s_or_b64 exec, exec, s[36:37]
.LBB6_18636:                            ;   in Loop: Header=BB6_18303 Depth=3
	s_or_b64 exec, exec, s[34:35]
.LBB6_18637:                            ;   in Loop: Header=BB6_18303 Depth=3
	s_or_b64 exec, exec, s[28:29]
	v_mul_f32_e32 v3, v4, v2
	v_and_b32_e32 v5, 0x7f800000, v3
	v_mov_b32_e32 v6, v33
	v_cmp_ne_u64_e32 vcc, s[76:77], v[5:6]
	v_and_b32_e32 v1, 0x7fffff, v3
	v_mov_b32_e32 v2, v33
                                        ; implicit-def: $vgpr5
	buffer_store_dword v5, off, s[0:3], s33 offset:244 ; 4-byte Folded Spill
	s_nop 0
	buffer_store_dword v6, off, s[0:3], s33 offset:248 ; 4-byte Folded Spill
	s_and_saveexec_b64 s[28:29], vcc
	s_xor_b64 s[34:35], exec, s[28:29]
	s_cbranch_execz .LBB6_18655
; %bb.18638:                            ;   in Loop: Header=BB6_18303 Depth=3
	v_and_b32_e32 v5, 0x7fffffff, v3
	v_mov_b32_e32 v6, v33
	v_cmp_gt_u64_e32 vcc, s[78:79], v[5:6]
	v_and_b32_sdwa v5, v3, s97 dst_sel:DWORD dst_unused:UNUSED_PAD src0_sel:BYTE_3 src1_sel:DWORD
                                        ; implicit-def: $vgpr6
	buffer_store_dword v6, off, s[0:3], s33 offset:244 ; 4-byte Folded Spill
	s_nop 0
	buffer_store_dword v7, off, s[0:3], s33 offset:248 ; 4-byte Folded Spill
	s_and_saveexec_b64 s[28:29], vcc
	s_xor_b64 s[36:37], exec, s[28:29]
	s_cbranch_execz .LBB6_18652
; %bb.18639:                            ;   in Loop: Header=BB6_18303 Depth=3
	v_cmp_ne_u32_e32 vcc, 0, v3
	v_mov_b32_e32 v6, 0
	buffer_store_dword v6, off, s[0:3], s33 offset:244 ; 4-byte Folded Spill
	s_nop 0
	buffer_store_dword v7, off, s[0:3], s33 offset:248 ; 4-byte Folded Spill
	s_and_saveexec_b64 s[38:39], vcc
	s_cbranch_execz .LBB6_18651
; %bb.18640:                            ;   in Loop: Header=BB6_18303 Depth=3
	v_bfe_u32 v6, v3, 23, 8
	v_cmp_gt_u32_e64 s[28:29], s47, v6
	v_sub_u32_e32 v3, 0x71, v6
	v_cmp_eq_u32_e32 vcc, 0, v6
	v_cndmask_b32_e64 v3, 0, v3, s[28:29]
	v_mov_b32_e32 v7, 0x70
	v_cndmask_b32_e32 v7, v3, v7, vcc
	v_or_b32_e32 v16, 0x800000, v1
	v_add_u32_e32 v3, 21, v7
	v_cndmask_b32_e32 v1, v16, v1, vcc
	v_lshlrev_b64 v[16:17], v3, -1
	v_add_u32_e32 v3, 20, v7
	v_bfi_b32 v16, v16, 0, v1
	v_lshlrev_b64 v[18:19], v3, 1
	v_lshrrev_b64 v[1:2], v7, v[1:2]
	v_bfi_b32 v17, v17, 0, 0
	v_cmp_eq_u64_e64 s[28:29], v[16:17], v[18:19]
	v_mov_b32_e32 v3, v2
	v_mov_b32_e32 v2, v1
	s_and_saveexec_b64 s[48:49], s[28:29]
; %bb.18641:                            ;   in Loop: Header=BB6_18303 Depth=3
	v_bfe_u32 v2, v1, 21, 1
	v_add_co_u32_e64 v2, s[28:29], v1, v2
	v_add_co_u32_e64 v2, s[28:29], -1, v2
; %bb.18642:                            ;   in Loop: Header=BB6_18303 Depth=3
	s_or_b64 exec, exec, s[48:49]
	v_add_u32_e32 v3, 0xffffff81, v6
	v_mov_b32_e32 v6, 0xffffff82
	v_cndmask_b32_e32 v3, v3, v6, vcc
	v_lshrrev_b32_e32 v6, 23, v1
	v_add3_u32 v7, v7, v3, v6
	v_add_u32_e32 v6, 14, v7
	v_and_b32_e32 v2, 0x1fffff, v2
	v_add_u32_e32 v1, v2, v1
	v_mov_b32_e32 v2, v33
	v_cmp_ne_u32_e32 vcc, 0, v6
                                        ; implicit-def: $vgpr3
	s_and_saveexec_b64 s[28:29], vcc
	s_xor_b64 s[28:29], exec, s[28:29]
; %bb.18643:                            ;   in Loop: Header=BB6_18303 Depth=3
	v_cmp_lt_u64_e32 vcc, s[88:89], v[1:2]
	v_add_u32_e32 v3, 15, v7
	v_cndmask_b32_e32 v3, v6, v3, vcc
	v_cndmask_b32_e64 v6, 0, 1, vcc
	v_lshrrev_b64 v[1:2], v6, v[1:2]
; %bb.18644:                            ;   in Loop: Header=BB6_18303 Depth=3
	s_andn2_saveexec_b64 s[28:29], s[28:29]
; %bb.18645:                            ;   in Loop: Header=BB6_18303 Depth=3
	v_bfe_u32 v3, v1, 23, 1
; %bb.18646:                            ;   in Loop: Header=BB6_18303 Depth=3
	s_or_b64 exec, exec, s[28:29]
	v_lshrrev_b64 v[1:2], 21, v[1:2]
	v_cmp_gt_i32_e32 vcc, 32, v3
	v_cndmask_b32_e32 v2, 0, v2, vcc
	v_cndmask_b32_e32 v1, 3, v1, vcc
	v_cmp_ne_u64_e32 vcc, 0, v[1:2]
	v_cmp_ne_u32_e64 s[28:29], 0, v3
	s_or_b64 s[28:29], s[28:29], vcc
                                        ; implicit-def: $vgpr2
	buffer_store_dword v2, off, s[0:3], s33 offset:244 ; 4-byte Folded Spill
	s_nop 0
	buffer_store_dword v3, off, s[0:3], s33 offset:248 ; 4-byte Folded Spill
	s_and_saveexec_b64 s[62:63], s[28:29]
	s_xor_b64 s[28:29], exec, s[62:63]
	s_cbranch_execz .LBB6_18648
; %bb.18647:                            ;   in Loop: Header=BB6_18303 Depth=3
	v_min_i32_e32 v2, 31, v3
	v_lshl_or_b32 v2, v2, 2, v5
	v_and_or_b32 v1, v1, 3, v2
	buffer_store_dword v1, off, s[0:3], s33 offset:244 ; 4-byte Folded Spill
	s_nop 0
	buffer_store_dword v2, off, s[0:3], s33 offset:248 ; 4-byte Folded Spill
                                        ; implicit-def: $vgpr5
.LBB6_18648:                            ;   in Loop: Header=BB6_18303 Depth=3
	s_andn2_saveexec_b64 s[28:29], s[28:29]
	s_cbranch_execz .LBB6_18650
; %bb.18649:                            ;   in Loop: Header=BB6_18303 Depth=3
	v_mov_b32_e32 v1, v5
	buffer_store_dword v1, off, s[0:3], s33 offset:244 ; 4-byte Folded Spill
	s_nop 0
	buffer_store_dword v2, off, s[0:3], s33 offset:248 ; 4-byte Folded Spill
.LBB6_18650:                            ;   in Loop: Header=BB6_18303 Depth=3
	s_or_b64 exec, exec, s[28:29]
.LBB6_18651:                            ;   in Loop: Header=BB6_18303 Depth=3
	s_or_b64 exec, exec, s[38:39]
                                        ; implicit-def: $vgpr5
.LBB6_18652:                            ;   in Loop: Header=BB6_18303 Depth=3
	s_andn2_saveexec_b64 s[28:29], s[36:37]
	s_cbranch_execz .LBB6_18654
; %bb.18653:                            ;   in Loop: Header=BB6_18303 Depth=3
	v_or_b32_e32 v1, 0x7b, v5
	buffer_store_dword v1, off, s[0:3], s33 offset:244 ; 4-byte Folded Spill
	s_nop 0
	buffer_store_dword v2, off, s[0:3], s33 offset:248 ; 4-byte Folded Spill
.LBB6_18654:                            ;   in Loop: Header=BB6_18303 Depth=3
	s_or_b64 exec, exec, s[28:29]
                                        ; implicit-def: $vgpr3
                                        ; implicit-def: $vgpr1_vgpr2
.LBB6_18655:                            ;   in Loop: Header=BB6_18303 Depth=3
	s_andn2_saveexec_b64 s[28:29], s[34:35]
	s_cbranch_execz .LBB6_18661
; %bb.18656:                            ;   in Loop: Header=BB6_18303 Depth=3
	v_cmp_ne_u64_e32 vcc, 0, v[1:2]
                                        ; implicit-def: $vgpr1
	buffer_store_dword v1, off, s[0:3], s33 offset:244 ; 4-byte Folded Spill
	s_nop 0
	buffer_store_dword v2, off, s[0:3], s33 offset:248 ; 4-byte Folded Spill
	s_and_saveexec_b64 s[62:63], vcc
	s_xor_b64 vcc, exec, s[62:63]
	s_cbranch_execz .LBB6_18658
; %bb.18657:                            ;   in Loop: Header=BB6_18303 Depth=3
	v_or_b32_sdwa v1, v3, s44 dst_sel:DWORD dst_unused:UNUSED_PAD src0_sel:BYTE_3 src1_sel:DWORD
	buffer_store_dword v1, off, s[0:3], s33 offset:244 ; 4-byte Folded Spill
	s_nop 0
	buffer_store_dword v2, off, s[0:3], s33 offset:248 ; 4-byte Folded Spill
                                        ; implicit-def: $vgpr3
.LBB6_18658:                            ;   in Loop: Header=BB6_18303 Depth=3
	s_andn2_saveexec_b64 s[34:35], vcc
	s_cbranch_execz .LBB6_18660
; %bb.18659:                            ;   in Loop: Header=BB6_18303 Depth=3
	v_cmp_lt_i32_e32 vcc, -1, v3
	v_mov_b32_e32 v1, 0x7c
	v_cndmask_b32_e32 v1, -4, v1, vcc
	buffer_store_dword v1, off, s[0:3], s33 offset:244 ; 4-byte Folded Spill
	s_nop 0
	buffer_store_dword v2, off, s[0:3], s33 offset:248 ; 4-byte Folded Spill
.LBB6_18660:                            ;   in Loop: Header=BB6_18303 Depth=3
	s_or_b64 exec, exec, s[34:35]
.LBB6_18661:                            ;   in Loop: Header=BB6_18303 Depth=3
	s_or_b64 exec, exec, s[28:29]
	flat_load_sbyte v1, v[12:13] offset:704 glc slc
	v_mov_b32_e32 v2, 0
	s_waitcnt vmcnt(0) lgkmcnt(0)
	v_cmp_ne_u16_e32 vcc, 0, v1
	s_and_saveexec_b64 s[28:29], vcc
	s_cbranch_execz .LBB6_18669
; %bb.18662:                            ;   in Loop: Header=BB6_18303 Depth=3
	v_cmp_ne_u16_e32 vcc, s46, v1
	v_bfrev_b32_e32 v2, 1
	s_and_saveexec_b64 s[34:35], vcc
	s_cbranch_execz .LBB6_18668
; %bb.18663:                            ;   in Loop: Header=BB6_18303 Depth=3
	v_and_b32_e32 v2, 0x7c, v1
	v_and_b32_e32 v3, 3, v1
	v_cmp_ne_u32_e32 vcc, s86, v2
                                        ; implicit-def: $vgpr2
	s_and_saveexec_b64 s[62:63], vcc
	s_xor_b64 s[36:37], exec, s[62:63]
	s_cbranch_execz .LBB6_18665
; %bb.18664:                            ;   in Loop: Header=BB6_18303 Depth=3
	v_and_b32_e32 v5, 0xff, v1
	v_bfe_u32 v7, v5, 2, 5
	v_ffbh_u32_e32 v5, v3
	v_min_u32_e32 v16, 32, v5
	v_mov_b32_e32 v2, v33
	v_subrev_u32_e32 v5, 29, v16
	v_lshlrev_b64 v[5:6], v5, v[1:2]
	v_sub_u32_e32 v2, 30, v16
	v_cmp_eq_u32_e32 vcc, 0, v7
	v_and_b32_e32 v5, 3, v5
	v_cndmask_b32_e32 v2, v7, v2, vcc
	v_and_b32_sdwa v1, sext(v1), s87 dst_sel:DWORD dst_unused:UNUSED_PAD src0_sel:WORD_0 src1_sel:DWORD
	v_cndmask_b32_e32 v3, v3, v5, vcc
	v_lshl_add_u32 v1, v2, 23, v1
	v_lshl_or_b32 v1, v3, 21, v1
	v_add_u32_e32 v2, 0x38000000, v1
                                        ; implicit-def: $vgpr3
                                        ; implicit-def: $vgpr1
.LBB6_18665:                            ;   in Loop: Header=BB6_18303 Depth=3
	s_andn2_saveexec_b64 s[36:37], s[36:37]
; %bb.18666:                            ;   in Loop: Header=BB6_18303 Depth=3
	v_cmp_lt_i16_e32 vcc, -1, v1
	v_mov_b32_e32 v1, 0xff800000
	v_mov_b32_e32 v2, 0x7f800000
	v_cndmask_b32_e32 v1, v1, v2, vcc
	v_cmp_eq_u32_e32 vcc, 0, v3
	v_mov_b32_e32 v2, 0x7f800001
	v_cndmask_b32_e32 v2, v2, v1, vcc
; %bb.18667:                            ;   in Loop: Header=BB6_18303 Depth=3
	s_or_b64 exec, exec, s[36:37]
.LBB6_18668:                            ;   in Loop: Header=BB6_18303 Depth=3
	s_or_b64 exec, exec, s[34:35]
.LBB6_18669:                            ;   in Loop: Header=BB6_18303 Depth=3
	s_or_b64 exec, exec, s[28:29]
	v_mul_f32_e32 v3, v4, v2
	v_and_b32_e32 v5, 0x7f800000, v3
	v_mov_b32_e32 v6, v33
	v_cmp_ne_u64_e32 vcc, s[76:77], v[5:6]
	v_and_b32_e32 v1, 0x7fffff, v3
	v_mov_b32_e32 v2, v33
                                        ; implicit-def: $vgpr5
	buffer_store_dword v5, off, s[0:3], s33 offset:236 ; 4-byte Folded Spill
	s_nop 0
	buffer_store_dword v6, off, s[0:3], s33 offset:240 ; 4-byte Folded Spill
	s_and_saveexec_b64 s[28:29], vcc
	s_xor_b64 s[34:35], exec, s[28:29]
	s_cbranch_execz .LBB6_18687
; %bb.18670:                            ;   in Loop: Header=BB6_18303 Depth=3
	v_and_b32_e32 v5, 0x7fffffff, v3
	v_mov_b32_e32 v6, v33
	v_cmp_gt_u64_e32 vcc, s[78:79], v[5:6]
	v_and_b32_sdwa v5, v3, s97 dst_sel:DWORD dst_unused:UNUSED_PAD src0_sel:BYTE_3 src1_sel:DWORD
                                        ; implicit-def: $vgpr6
	buffer_store_dword v6, off, s[0:3], s33 offset:236 ; 4-byte Folded Spill
	s_nop 0
	buffer_store_dword v7, off, s[0:3], s33 offset:240 ; 4-byte Folded Spill
	s_and_saveexec_b64 s[28:29], vcc
	s_xor_b64 s[36:37], exec, s[28:29]
	s_cbranch_execz .LBB6_18684
; %bb.18671:                            ;   in Loop: Header=BB6_18303 Depth=3
	v_cmp_ne_u32_e32 vcc, 0, v3
	v_mov_b32_e32 v6, 0
	buffer_store_dword v6, off, s[0:3], s33 offset:236 ; 4-byte Folded Spill
	s_nop 0
	buffer_store_dword v7, off, s[0:3], s33 offset:240 ; 4-byte Folded Spill
	s_and_saveexec_b64 s[38:39], vcc
	s_cbranch_execz .LBB6_18683
; %bb.18672:                            ;   in Loop: Header=BB6_18303 Depth=3
	v_bfe_u32 v6, v3, 23, 8
	v_cmp_gt_u32_e64 s[28:29], s47, v6
	v_sub_u32_e32 v3, 0x71, v6
	v_cmp_eq_u32_e32 vcc, 0, v6
	v_cndmask_b32_e64 v3, 0, v3, s[28:29]
	v_mov_b32_e32 v7, 0x70
	v_cndmask_b32_e32 v7, v3, v7, vcc
	v_or_b32_e32 v16, 0x800000, v1
	v_add_u32_e32 v3, 21, v7
	v_cndmask_b32_e32 v1, v16, v1, vcc
	v_lshlrev_b64 v[16:17], v3, -1
	v_add_u32_e32 v3, 20, v7
	v_bfi_b32 v16, v16, 0, v1
	v_lshlrev_b64 v[18:19], v3, 1
	v_lshrrev_b64 v[1:2], v7, v[1:2]
	v_bfi_b32 v17, v17, 0, 0
	v_cmp_eq_u64_e64 s[28:29], v[16:17], v[18:19]
	v_mov_b32_e32 v3, v2
	v_mov_b32_e32 v2, v1
	s_and_saveexec_b64 s[48:49], s[28:29]
; %bb.18673:                            ;   in Loop: Header=BB6_18303 Depth=3
	v_bfe_u32 v2, v1, 21, 1
	v_add_co_u32_e64 v2, s[28:29], v1, v2
	v_add_co_u32_e64 v2, s[28:29], -1, v2
; %bb.18674:                            ;   in Loop: Header=BB6_18303 Depth=3
	s_or_b64 exec, exec, s[48:49]
	v_add_u32_e32 v3, 0xffffff81, v6
	v_mov_b32_e32 v6, 0xffffff82
	v_cndmask_b32_e32 v3, v3, v6, vcc
	v_lshrrev_b32_e32 v6, 23, v1
	v_add3_u32 v7, v7, v3, v6
	v_add_u32_e32 v6, 14, v7
	v_and_b32_e32 v2, 0x1fffff, v2
	v_add_u32_e32 v1, v2, v1
	v_mov_b32_e32 v2, v33
	v_cmp_ne_u32_e32 vcc, 0, v6
                                        ; implicit-def: $vgpr3
	s_and_saveexec_b64 s[28:29], vcc
	s_xor_b64 s[28:29], exec, s[28:29]
; %bb.18675:                            ;   in Loop: Header=BB6_18303 Depth=3
	v_cmp_lt_u64_e32 vcc, s[88:89], v[1:2]
	v_add_u32_e32 v3, 15, v7
	v_cndmask_b32_e32 v3, v6, v3, vcc
	v_cndmask_b32_e64 v6, 0, 1, vcc
	v_lshrrev_b64 v[1:2], v6, v[1:2]
; %bb.18676:                            ;   in Loop: Header=BB6_18303 Depth=3
	s_andn2_saveexec_b64 s[28:29], s[28:29]
; %bb.18677:                            ;   in Loop: Header=BB6_18303 Depth=3
	v_bfe_u32 v3, v1, 23, 1
; %bb.18678:                            ;   in Loop: Header=BB6_18303 Depth=3
	s_or_b64 exec, exec, s[28:29]
	v_lshrrev_b64 v[1:2], 21, v[1:2]
	v_cmp_gt_i32_e32 vcc, 32, v3
	v_cndmask_b32_e32 v2, 0, v2, vcc
	v_cndmask_b32_e32 v1, 3, v1, vcc
	v_cmp_ne_u64_e32 vcc, 0, v[1:2]
	v_cmp_ne_u32_e64 s[28:29], 0, v3
	s_or_b64 s[28:29], s[28:29], vcc
                                        ; implicit-def: $vgpr2
	buffer_store_dword v2, off, s[0:3], s33 offset:236 ; 4-byte Folded Spill
	s_nop 0
	buffer_store_dword v3, off, s[0:3], s33 offset:240 ; 4-byte Folded Spill
	s_and_saveexec_b64 s[62:63], s[28:29]
	s_xor_b64 s[28:29], exec, s[62:63]
	s_cbranch_execz .LBB6_18680
; %bb.18679:                            ;   in Loop: Header=BB6_18303 Depth=3
	v_min_i32_e32 v2, 31, v3
	v_lshl_or_b32 v2, v2, 2, v5
	v_and_or_b32 v1, v1, 3, v2
	buffer_store_dword v1, off, s[0:3], s33 offset:236 ; 4-byte Folded Spill
	s_nop 0
	buffer_store_dword v2, off, s[0:3], s33 offset:240 ; 4-byte Folded Spill
                                        ; implicit-def: $vgpr5
.LBB6_18680:                            ;   in Loop: Header=BB6_18303 Depth=3
	s_andn2_saveexec_b64 s[28:29], s[28:29]
	s_cbranch_execz .LBB6_18682
; %bb.18681:                            ;   in Loop: Header=BB6_18303 Depth=3
	v_mov_b32_e32 v1, v5
	buffer_store_dword v1, off, s[0:3], s33 offset:236 ; 4-byte Folded Spill
	s_nop 0
	buffer_store_dword v2, off, s[0:3], s33 offset:240 ; 4-byte Folded Spill
.LBB6_18682:                            ;   in Loop: Header=BB6_18303 Depth=3
	s_or_b64 exec, exec, s[28:29]
.LBB6_18683:                            ;   in Loop: Header=BB6_18303 Depth=3
	s_or_b64 exec, exec, s[38:39]
                                        ; implicit-def: $vgpr5
.LBB6_18684:                            ;   in Loop: Header=BB6_18303 Depth=3
	s_andn2_saveexec_b64 s[28:29], s[36:37]
	s_cbranch_execz .LBB6_18686
; %bb.18685:                            ;   in Loop: Header=BB6_18303 Depth=3
	v_or_b32_e32 v1, 0x7b, v5
	buffer_store_dword v1, off, s[0:3], s33 offset:236 ; 4-byte Folded Spill
	s_nop 0
	buffer_store_dword v2, off, s[0:3], s33 offset:240 ; 4-byte Folded Spill
.LBB6_18686:                            ;   in Loop: Header=BB6_18303 Depth=3
	s_or_b64 exec, exec, s[28:29]
                                        ; implicit-def: $vgpr3
                                        ; implicit-def: $vgpr1_vgpr2
.LBB6_18687:                            ;   in Loop: Header=BB6_18303 Depth=3
	s_andn2_saveexec_b64 s[28:29], s[34:35]
	s_cbranch_execz .LBB6_18693
; %bb.18688:                            ;   in Loop: Header=BB6_18303 Depth=3
	v_cmp_ne_u64_e32 vcc, 0, v[1:2]
                                        ; implicit-def: $vgpr1
	buffer_store_dword v1, off, s[0:3], s33 offset:236 ; 4-byte Folded Spill
	s_nop 0
	buffer_store_dword v2, off, s[0:3], s33 offset:240 ; 4-byte Folded Spill
	s_and_saveexec_b64 s[62:63], vcc
	s_xor_b64 vcc, exec, s[62:63]
	s_cbranch_execz .LBB6_18690
; %bb.18689:                            ;   in Loop: Header=BB6_18303 Depth=3
	v_or_b32_sdwa v1, v3, s44 dst_sel:DWORD dst_unused:UNUSED_PAD src0_sel:BYTE_3 src1_sel:DWORD
	buffer_store_dword v1, off, s[0:3], s33 offset:236 ; 4-byte Folded Spill
	s_nop 0
	buffer_store_dword v2, off, s[0:3], s33 offset:240 ; 4-byte Folded Spill
                                        ; implicit-def: $vgpr3
.LBB6_18690:                            ;   in Loop: Header=BB6_18303 Depth=3
	s_andn2_saveexec_b64 s[34:35], vcc
	s_cbranch_execz .LBB6_18692
; %bb.18691:                            ;   in Loop: Header=BB6_18303 Depth=3
	v_cmp_lt_i32_e32 vcc, -1, v3
	v_mov_b32_e32 v1, 0x7c
	v_cndmask_b32_e32 v1, -4, v1, vcc
	buffer_store_dword v1, off, s[0:3], s33 offset:236 ; 4-byte Folded Spill
	s_nop 0
	buffer_store_dword v2, off, s[0:3], s33 offset:240 ; 4-byte Folded Spill
.LBB6_18692:                            ;   in Loop: Header=BB6_18303 Depth=3
	s_or_b64 exec, exec, s[34:35]
.LBB6_18693:                            ;   in Loop: Header=BB6_18303 Depth=3
	s_or_b64 exec, exec, s[28:29]
	flat_load_sbyte v1, v[12:13] offset:768 glc slc
	v_mov_b32_e32 v2, 0
	s_waitcnt vmcnt(0) lgkmcnt(0)
	v_cmp_ne_u16_e32 vcc, 0, v1
	s_and_saveexec_b64 s[28:29], vcc
	s_cbranch_execz .LBB6_18701
; %bb.18694:                            ;   in Loop: Header=BB6_18303 Depth=3
	v_cmp_ne_u16_e32 vcc, s46, v1
	v_bfrev_b32_e32 v2, 1
	s_and_saveexec_b64 s[34:35], vcc
	s_cbranch_execz .LBB6_18700
; %bb.18695:                            ;   in Loop: Header=BB6_18303 Depth=3
	v_and_b32_e32 v2, 0x7c, v1
	v_and_b32_e32 v3, 3, v1
	v_cmp_ne_u32_e32 vcc, s86, v2
                                        ; implicit-def: $vgpr2
	s_and_saveexec_b64 s[62:63], vcc
	s_xor_b64 s[36:37], exec, s[62:63]
	s_cbranch_execz .LBB6_18697
; %bb.18696:                            ;   in Loop: Header=BB6_18303 Depth=3
	v_and_b32_e32 v5, 0xff, v1
	v_bfe_u32 v7, v5, 2, 5
	v_ffbh_u32_e32 v5, v3
	v_min_u32_e32 v16, 32, v5
	v_mov_b32_e32 v2, v33
	v_subrev_u32_e32 v5, 29, v16
	v_lshlrev_b64 v[5:6], v5, v[1:2]
	v_sub_u32_e32 v2, 30, v16
	v_cmp_eq_u32_e32 vcc, 0, v7
	v_and_b32_e32 v5, 3, v5
	v_cndmask_b32_e32 v2, v7, v2, vcc
	v_and_b32_sdwa v1, sext(v1), s87 dst_sel:DWORD dst_unused:UNUSED_PAD src0_sel:WORD_0 src1_sel:DWORD
	v_cndmask_b32_e32 v3, v3, v5, vcc
	v_lshl_add_u32 v1, v2, 23, v1
	v_lshl_or_b32 v1, v3, 21, v1
	v_add_u32_e32 v2, 0x38000000, v1
                                        ; implicit-def: $vgpr3
                                        ; implicit-def: $vgpr1
.LBB6_18697:                            ;   in Loop: Header=BB6_18303 Depth=3
	s_andn2_saveexec_b64 s[36:37], s[36:37]
; %bb.18698:                            ;   in Loop: Header=BB6_18303 Depth=3
	v_cmp_lt_i16_e32 vcc, -1, v1
	v_mov_b32_e32 v1, 0xff800000
	v_mov_b32_e32 v2, 0x7f800000
	v_cndmask_b32_e32 v1, v1, v2, vcc
	v_cmp_eq_u32_e32 vcc, 0, v3
	v_mov_b32_e32 v2, 0x7f800001
	v_cndmask_b32_e32 v2, v2, v1, vcc
; %bb.18699:                            ;   in Loop: Header=BB6_18303 Depth=3
	s_or_b64 exec, exec, s[36:37]
.LBB6_18700:                            ;   in Loop: Header=BB6_18303 Depth=3
	s_or_b64 exec, exec, s[34:35]
.LBB6_18701:                            ;   in Loop: Header=BB6_18303 Depth=3
	s_or_b64 exec, exec, s[28:29]
	v_mul_f32_e32 v3, v4, v2
	v_and_b32_e32 v5, 0x7f800000, v3
	v_mov_b32_e32 v6, v33
	v_cmp_ne_u64_e32 vcc, s[76:77], v[5:6]
	v_and_b32_e32 v1, 0x7fffff, v3
	v_mov_b32_e32 v2, v33
                                        ; implicit-def: $vgpr5
	buffer_store_dword v5, off, s[0:3], s33 offset:228 ; 4-byte Folded Spill
	s_nop 0
	buffer_store_dword v6, off, s[0:3], s33 offset:232 ; 4-byte Folded Spill
	s_and_saveexec_b64 s[28:29], vcc
	s_xor_b64 s[34:35], exec, s[28:29]
	s_cbranch_execz .LBB6_18719
; %bb.18702:                            ;   in Loop: Header=BB6_18303 Depth=3
	v_and_b32_e32 v5, 0x7fffffff, v3
	v_mov_b32_e32 v6, v33
	v_cmp_gt_u64_e32 vcc, s[78:79], v[5:6]
	v_and_b32_sdwa v5, v3, s97 dst_sel:DWORD dst_unused:UNUSED_PAD src0_sel:BYTE_3 src1_sel:DWORD
                                        ; implicit-def: $vgpr6
	buffer_store_dword v6, off, s[0:3], s33 offset:228 ; 4-byte Folded Spill
	s_nop 0
	buffer_store_dword v7, off, s[0:3], s33 offset:232 ; 4-byte Folded Spill
	s_and_saveexec_b64 s[28:29], vcc
	s_xor_b64 s[36:37], exec, s[28:29]
	s_cbranch_execz .LBB6_18716
; %bb.18703:                            ;   in Loop: Header=BB6_18303 Depth=3
	v_cmp_ne_u32_e32 vcc, 0, v3
	v_mov_b32_e32 v6, 0
	buffer_store_dword v6, off, s[0:3], s33 offset:228 ; 4-byte Folded Spill
	s_nop 0
	buffer_store_dword v7, off, s[0:3], s33 offset:232 ; 4-byte Folded Spill
	s_and_saveexec_b64 s[38:39], vcc
	s_cbranch_execz .LBB6_18715
; %bb.18704:                            ;   in Loop: Header=BB6_18303 Depth=3
	v_bfe_u32 v6, v3, 23, 8
	v_cmp_gt_u32_e64 s[28:29], s47, v6
	v_sub_u32_e32 v3, 0x71, v6
	v_cmp_eq_u32_e32 vcc, 0, v6
	v_cndmask_b32_e64 v3, 0, v3, s[28:29]
	v_mov_b32_e32 v7, 0x70
	v_cndmask_b32_e32 v7, v3, v7, vcc
	v_or_b32_e32 v16, 0x800000, v1
	v_add_u32_e32 v3, 21, v7
	v_cndmask_b32_e32 v1, v16, v1, vcc
	v_lshlrev_b64 v[16:17], v3, -1
	v_add_u32_e32 v3, 20, v7
	v_bfi_b32 v16, v16, 0, v1
	v_lshlrev_b64 v[18:19], v3, 1
	v_lshrrev_b64 v[1:2], v7, v[1:2]
	v_bfi_b32 v17, v17, 0, 0
	v_cmp_eq_u64_e64 s[28:29], v[16:17], v[18:19]
	v_mov_b32_e32 v3, v2
	v_mov_b32_e32 v2, v1
	s_and_saveexec_b64 s[48:49], s[28:29]
; %bb.18705:                            ;   in Loop: Header=BB6_18303 Depth=3
	v_bfe_u32 v2, v1, 21, 1
	v_add_co_u32_e64 v2, s[28:29], v1, v2
	v_add_co_u32_e64 v2, s[28:29], -1, v2
; %bb.18706:                            ;   in Loop: Header=BB6_18303 Depth=3
	s_or_b64 exec, exec, s[48:49]
	v_add_u32_e32 v3, 0xffffff81, v6
	v_mov_b32_e32 v6, 0xffffff82
	v_cndmask_b32_e32 v3, v3, v6, vcc
	v_lshrrev_b32_e32 v6, 23, v1
	v_add3_u32 v7, v7, v3, v6
	v_add_u32_e32 v6, 14, v7
	v_and_b32_e32 v2, 0x1fffff, v2
	v_add_u32_e32 v1, v2, v1
	v_mov_b32_e32 v2, v33
	v_cmp_ne_u32_e32 vcc, 0, v6
                                        ; implicit-def: $vgpr3
	s_and_saveexec_b64 s[28:29], vcc
	s_xor_b64 s[28:29], exec, s[28:29]
; %bb.18707:                            ;   in Loop: Header=BB6_18303 Depth=3
	v_cmp_lt_u64_e32 vcc, s[88:89], v[1:2]
	v_add_u32_e32 v3, 15, v7
	v_cndmask_b32_e32 v3, v6, v3, vcc
	v_cndmask_b32_e64 v6, 0, 1, vcc
	v_lshrrev_b64 v[1:2], v6, v[1:2]
; %bb.18708:                            ;   in Loop: Header=BB6_18303 Depth=3
	s_andn2_saveexec_b64 s[28:29], s[28:29]
; %bb.18709:                            ;   in Loop: Header=BB6_18303 Depth=3
	v_bfe_u32 v3, v1, 23, 1
; %bb.18710:                            ;   in Loop: Header=BB6_18303 Depth=3
	s_or_b64 exec, exec, s[28:29]
	v_lshrrev_b64 v[1:2], 21, v[1:2]
	v_cmp_gt_i32_e32 vcc, 32, v3
	v_cndmask_b32_e32 v2, 0, v2, vcc
	v_cndmask_b32_e32 v1, 3, v1, vcc
	v_cmp_ne_u64_e32 vcc, 0, v[1:2]
	v_cmp_ne_u32_e64 s[28:29], 0, v3
	s_or_b64 s[28:29], s[28:29], vcc
                                        ; implicit-def: $vgpr2
	buffer_store_dword v2, off, s[0:3], s33 offset:228 ; 4-byte Folded Spill
	s_nop 0
	buffer_store_dword v3, off, s[0:3], s33 offset:232 ; 4-byte Folded Spill
	s_and_saveexec_b64 s[62:63], s[28:29]
	s_xor_b64 s[28:29], exec, s[62:63]
	s_cbranch_execz .LBB6_18712
; %bb.18711:                            ;   in Loop: Header=BB6_18303 Depth=3
	v_min_i32_e32 v2, 31, v3
	v_lshl_or_b32 v2, v2, 2, v5
	v_and_or_b32 v1, v1, 3, v2
	buffer_store_dword v1, off, s[0:3], s33 offset:228 ; 4-byte Folded Spill
	s_nop 0
	buffer_store_dword v2, off, s[0:3], s33 offset:232 ; 4-byte Folded Spill
                                        ; implicit-def: $vgpr5
.LBB6_18712:                            ;   in Loop: Header=BB6_18303 Depth=3
	s_andn2_saveexec_b64 s[28:29], s[28:29]
	s_cbranch_execz .LBB6_18714
; %bb.18713:                            ;   in Loop: Header=BB6_18303 Depth=3
	v_mov_b32_e32 v1, v5
	buffer_store_dword v1, off, s[0:3], s33 offset:228 ; 4-byte Folded Spill
	s_nop 0
	buffer_store_dword v2, off, s[0:3], s33 offset:232 ; 4-byte Folded Spill
.LBB6_18714:                            ;   in Loop: Header=BB6_18303 Depth=3
	s_or_b64 exec, exec, s[28:29]
.LBB6_18715:                            ;   in Loop: Header=BB6_18303 Depth=3
	s_or_b64 exec, exec, s[38:39]
                                        ; implicit-def: $vgpr5
.LBB6_18716:                            ;   in Loop: Header=BB6_18303 Depth=3
	s_andn2_saveexec_b64 s[28:29], s[36:37]
	s_cbranch_execz .LBB6_18718
; %bb.18717:                            ;   in Loop: Header=BB6_18303 Depth=3
	v_or_b32_e32 v1, 0x7b, v5
	buffer_store_dword v1, off, s[0:3], s33 offset:228 ; 4-byte Folded Spill
	s_nop 0
	buffer_store_dword v2, off, s[0:3], s33 offset:232 ; 4-byte Folded Spill
.LBB6_18718:                            ;   in Loop: Header=BB6_18303 Depth=3
	s_or_b64 exec, exec, s[28:29]
                                        ; implicit-def: $vgpr3
                                        ; implicit-def: $vgpr1_vgpr2
.LBB6_18719:                            ;   in Loop: Header=BB6_18303 Depth=3
	s_andn2_saveexec_b64 s[28:29], s[34:35]
	s_cbranch_execz .LBB6_18725
; %bb.18720:                            ;   in Loop: Header=BB6_18303 Depth=3
	v_cmp_ne_u64_e32 vcc, 0, v[1:2]
                                        ; implicit-def: $vgpr1
	buffer_store_dword v1, off, s[0:3], s33 offset:228 ; 4-byte Folded Spill
	s_nop 0
	buffer_store_dword v2, off, s[0:3], s33 offset:232 ; 4-byte Folded Spill
	s_and_saveexec_b64 s[62:63], vcc
	s_xor_b64 vcc, exec, s[62:63]
	s_cbranch_execz .LBB6_18722
; %bb.18721:                            ;   in Loop: Header=BB6_18303 Depth=3
	v_or_b32_sdwa v1, v3, s44 dst_sel:DWORD dst_unused:UNUSED_PAD src0_sel:BYTE_3 src1_sel:DWORD
	buffer_store_dword v1, off, s[0:3], s33 offset:228 ; 4-byte Folded Spill
	s_nop 0
	buffer_store_dword v2, off, s[0:3], s33 offset:232 ; 4-byte Folded Spill
                                        ; implicit-def: $vgpr3
.LBB6_18722:                            ;   in Loop: Header=BB6_18303 Depth=3
	s_andn2_saveexec_b64 s[34:35], vcc
	s_cbranch_execz .LBB6_18724
; %bb.18723:                            ;   in Loop: Header=BB6_18303 Depth=3
	v_cmp_lt_i32_e32 vcc, -1, v3
	v_mov_b32_e32 v1, 0x7c
	v_cndmask_b32_e32 v1, -4, v1, vcc
	buffer_store_dword v1, off, s[0:3], s33 offset:228 ; 4-byte Folded Spill
	s_nop 0
	buffer_store_dword v2, off, s[0:3], s33 offset:232 ; 4-byte Folded Spill
.LBB6_18724:                            ;   in Loop: Header=BB6_18303 Depth=3
	s_or_b64 exec, exec, s[34:35]
.LBB6_18725:                            ;   in Loop: Header=BB6_18303 Depth=3
	s_or_b64 exec, exec, s[28:29]
	flat_load_sbyte v1, v[12:13] offset:832 glc slc
	v_mov_b32_e32 v2, 0
	s_waitcnt vmcnt(0) lgkmcnt(0)
	v_cmp_ne_u16_e32 vcc, 0, v1
	s_and_saveexec_b64 s[28:29], vcc
	s_cbranch_execz .LBB6_18733
; %bb.18726:                            ;   in Loop: Header=BB6_18303 Depth=3
	v_cmp_ne_u16_e32 vcc, s46, v1
	v_bfrev_b32_e32 v2, 1
	s_and_saveexec_b64 s[34:35], vcc
	s_cbranch_execz .LBB6_18732
; %bb.18727:                            ;   in Loop: Header=BB6_18303 Depth=3
	v_and_b32_e32 v2, 0x7c, v1
	v_and_b32_e32 v3, 3, v1
	v_cmp_ne_u32_e32 vcc, s86, v2
                                        ; implicit-def: $vgpr2
	s_and_saveexec_b64 s[62:63], vcc
	s_xor_b64 s[36:37], exec, s[62:63]
	s_cbranch_execz .LBB6_18729
; %bb.18728:                            ;   in Loop: Header=BB6_18303 Depth=3
	v_and_b32_e32 v5, 0xff, v1
	v_bfe_u32 v7, v5, 2, 5
	v_ffbh_u32_e32 v5, v3
	v_min_u32_e32 v16, 32, v5
	v_mov_b32_e32 v2, v33
	v_subrev_u32_e32 v5, 29, v16
	v_lshlrev_b64 v[5:6], v5, v[1:2]
	v_sub_u32_e32 v2, 30, v16
	v_cmp_eq_u32_e32 vcc, 0, v7
	v_and_b32_e32 v5, 3, v5
	v_cndmask_b32_e32 v2, v7, v2, vcc
	v_and_b32_sdwa v1, sext(v1), s87 dst_sel:DWORD dst_unused:UNUSED_PAD src0_sel:WORD_0 src1_sel:DWORD
	v_cndmask_b32_e32 v3, v3, v5, vcc
	v_lshl_add_u32 v1, v2, 23, v1
	v_lshl_or_b32 v1, v3, 21, v1
	v_add_u32_e32 v2, 0x38000000, v1
                                        ; implicit-def: $vgpr3
                                        ; implicit-def: $vgpr1
.LBB6_18729:                            ;   in Loop: Header=BB6_18303 Depth=3
	s_andn2_saveexec_b64 s[36:37], s[36:37]
; %bb.18730:                            ;   in Loop: Header=BB6_18303 Depth=3
	v_cmp_lt_i16_e32 vcc, -1, v1
	v_mov_b32_e32 v1, 0xff800000
	v_mov_b32_e32 v2, 0x7f800000
	v_cndmask_b32_e32 v1, v1, v2, vcc
	v_cmp_eq_u32_e32 vcc, 0, v3
	v_mov_b32_e32 v2, 0x7f800001
	v_cndmask_b32_e32 v2, v2, v1, vcc
; %bb.18731:                            ;   in Loop: Header=BB6_18303 Depth=3
	s_or_b64 exec, exec, s[36:37]
.LBB6_18732:                            ;   in Loop: Header=BB6_18303 Depth=3
	s_or_b64 exec, exec, s[34:35]
.LBB6_18733:                            ;   in Loop: Header=BB6_18303 Depth=3
	s_or_b64 exec, exec, s[28:29]
	v_mul_f32_e32 v3, v4, v2
	v_and_b32_e32 v5, 0x7f800000, v3
	v_mov_b32_e32 v6, v33
	v_cmp_ne_u64_e32 vcc, s[76:77], v[5:6]
	v_and_b32_e32 v1, 0x7fffff, v3
	v_mov_b32_e32 v2, v33
                                        ; implicit-def: $vgpr5
	buffer_store_dword v5, off, s[0:3], s33 offset:220 ; 4-byte Folded Spill
	s_nop 0
	buffer_store_dword v6, off, s[0:3], s33 offset:224 ; 4-byte Folded Spill
	s_and_saveexec_b64 s[28:29], vcc
	s_xor_b64 s[34:35], exec, s[28:29]
	s_cbranch_execz .LBB6_18751
; %bb.18734:                            ;   in Loop: Header=BB6_18303 Depth=3
	v_and_b32_e32 v5, 0x7fffffff, v3
	v_mov_b32_e32 v6, v33
	v_cmp_gt_u64_e32 vcc, s[78:79], v[5:6]
	v_and_b32_sdwa v5, v3, s97 dst_sel:DWORD dst_unused:UNUSED_PAD src0_sel:BYTE_3 src1_sel:DWORD
                                        ; implicit-def: $vgpr6
	buffer_store_dword v6, off, s[0:3], s33 offset:220 ; 4-byte Folded Spill
	s_nop 0
	buffer_store_dword v7, off, s[0:3], s33 offset:224 ; 4-byte Folded Spill
	s_and_saveexec_b64 s[28:29], vcc
	s_xor_b64 s[36:37], exec, s[28:29]
	s_cbranch_execz .LBB6_18748
; %bb.18735:                            ;   in Loop: Header=BB6_18303 Depth=3
	v_cmp_ne_u32_e32 vcc, 0, v3
	v_mov_b32_e32 v6, 0
	buffer_store_dword v6, off, s[0:3], s33 offset:220 ; 4-byte Folded Spill
	s_nop 0
	buffer_store_dword v7, off, s[0:3], s33 offset:224 ; 4-byte Folded Spill
	s_and_saveexec_b64 s[38:39], vcc
	s_cbranch_execz .LBB6_18747
; %bb.18736:                            ;   in Loop: Header=BB6_18303 Depth=3
	v_bfe_u32 v6, v3, 23, 8
	v_cmp_gt_u32_e64 s[28:29], s47, v6
	v_sub_u32_e32 v3, 0x71, v6
	v_cmp_eq_u32_e32 vcc, 0, v6
	v_cndmask_b32_e64 v3, 0, v3, s[28:29]
	v_mov_b32_e32 v7, 0x70
	v_cndmask_b32_e32 v7, v3, v7, vcc
	v_or_b32_e32 v16, 0x800000, v1
	v_add_u32_e32 v3, 21, v7
	v_cndmask_b32_e32 v1, v16, v1, vcc
	v_lshlrev_b64 v[16:17], v3, -1
	v_add_u32_e32 v3, 20, v7
	v_bfi_b32 v16, v16, 0, v1
	v_lshlrev_b64 v[18:19], v3, 1
	v_lshrrev_b64 v[1:2], v7, v[1:2]
	v_bfi_b32 v17, v17, 0, 0
	v_cmp_eq_u64_e64 s[28:29], v[16:17], v[18:19]
	v_mov_b32_e32 v3, v2
	v_mov_b32_e32 v2, v1
	s_and_saveexec_b64 s[48:49], s[28:29]
; %bb.18737:                            ;   in Loop: Header=BB6_18303 Depth=3
	v_bfe_u32 v2, v1, 21, 1
	v_add_co_u32_e64 v2, s[28:29], v1, v2
	v_add_co_u32_e64 v2, s[28:29], -1, v2
; %bb.18738:                            ;   in Loop: Header=BB6_18303 Depth=3
	s_or_b64 exec, exec, s[48:49]
	v_add_u32_e32 v3, 0xffffff81, v6
	v_mov_b32_e32 v6, 0xffffff82
	v_cndmask_b32_e32 v3, v3, v6, vcc
	v_lshrrev_b32_e32 v6, 23, v1
	v_add3_u32 v7, v7, v3, v6
	v_add_u32_e32 v6, 14, v7
	v_and_b32_e32 v2, 0x1fffff, v2
	v_add_u32_e32 v1, v2, v1
	v_mov_b32_e32 v2, v33
	v_cmp_ne_u32_e32 vcc, 0, v6
                                        ; implicit-def: $vgpr3
	s_and_saveexec_b64 s[28:29], vcc
	s_xor_b64 s[28:29], exec, s[28:29]
; %bb.18739:                            ;   in Loop: Header=BB6_18303 Depth=3
	v_cmp_lt_u64_e32 vcc, s[88:89], v[1:2]
	v_add_u32_e32 v3, 15, v7
	v_cndmask_b32_e32 v3, v6, v3, vcc
	v_cndmask_b32_e64 v6, 0, 1, vcc
	v_lshrrev_b64 v[1:2], v6, v[1:2]
; %bb.18740:                            ;   in Loop: Header=BB6_18303 Depth=3
	s_andn2_saveexec_b64 s[28:29], s[28:29]
; %bb.18741:                            ;   in Loop: Header=BB6_18303 Depth=3
	v_bfe_u32 v3, v1, 23, 1
; %bb.18742:                            ;   in Loop: Header=BB6_18303 Depth=3
	s_or_b64 exec, exec, s[28:29]
	v_lshrrev_b64 v[1:2], 21, v[1:2]
	v_cmp_gt_i32_e32 vcc, 32, v3
	v_cndmask_b32_e32 v2, 0, v2, vcc
	v_cndmask_b32_e32 v1, 3, v1, vcc
	v_cmp_ne_u64_e32 vcc, 0, v[1:2]
	v_cmp_ne_u32_e64 s[28:29], 0, v3
	s_or_b64 s[28:29], s[28:29], vcc
                                        ; implicit-def: $vgpr2
	buffer_store_dword v2, off, s[0:3], s33 offset:220 ; 4-byte Folded Spill
	s_nop 0
	buffer_store_dword v3, off, s[0:3], s33 offset:224 ; 4-byte Folded Spill
	s_and_saveexec_b64 s[62:63], s[28:29]
	s_xor_b64 s[28:29], exec, s[62:63]
	s_cbranch_execz .LBB6_18744
; %bb.18743:                            ;   in Loop: Header=BB6_18303 Depth=3
	v_min_i32_e32 v2, 31, v3
	v_lshl_or_b32 v2, v2, 2, v5
	v_and_or_b32 v1, v1, 3, v2
	buffer_store_dword v1, off, s[0:3], s33 offset:220 ; 4-byte Folded Spill
	s_nop 0
	buffer_store_dword v2, off, s[0:3], s33 offset:224 ; 4-byte Folded Spill
                                        ; implicit-def: $vgpr5
.LBB6_18744:                            ;   in Loop: Header=BB6_18303 Depth=3
	s_andn2_saveexec_b64 s[28:29], s[28:29]
	s_cbranch_execz .LBB6_18746
; %bb.18745:                            ;   in Loop: Header=BB6_18303 Depth=3
	v_mov_b32_e32 v1, v5
	buffer_store_dword v1, off, s[0:3], s33 offset:220 ; 4-byte Folded Spill
	s_nop 0
	buffer_store_dword v2, off, s[0:3], s33 offset:224 ; 4-byte Folded Spill
.LBB6_18746:                            ;   in Loop: Header=BB6_18303 Depth=3
	s_or_b64 exec, exec, s[28:29]
.LBB6_18747:                            ;   in Loop: Header=BB6_18303 Depth=3
	s_or_b64 exec, exec, s[38:39]
                                        ; implicit-def: $vgpr5
.LBB6_18748:                            ;   in Loop: Header=BB6_18303 Depth=3
	s_andn2_saveexec_b64 s[28:29], s[36:37]
	s_cbranch_execz .LBB6_18750
; %bb.18749:                            ;   in Loop: Header=BB6_18303 Depth=3
	v_or_b32_e32 v1, 0x7b, v5
	buffer_store_dword v1, off, s[0:3], s33 offset:220 ; 4-byte Folded Spill
	s_nop 0
	buffer_store_dword v2, off, s[0:3], s33 offset:224 ; 4-byte Folded Spill
.LBB6_18750:                            ;   in Loop: Header=BB6_18303 Depth=3
	s_or_b64 exec, exec, s[28:29]
                                        ; implicit-def: $vgpr3
                                        ; implicit-def: $vgpr1_vgpr2
.LBB6_18751:                            ;   in Loop: Header=BB6_18303 Depth=3
	s_andn2_saveexec_b64 s[28:29], s[34:35]
	s_cbranch_execz .LBB6_18757
; %bb.18752:                            ;   in Loop: Header=BB6_18303 Depth=3
	v_cmp_ne_u64_e32 vcc, 0, v[1:2]
                                        ; implicit-def: $vgpr1
	buffer_store_dword v1, off, s[0:3], s33 offset:220 ; 4-byte Folded Spill
	s_nop 0
	buffer_store_dword v2, off, s[0:3], s33 offset:224 ; 4-byte Folded Spill
	s_and_saveexec_b64 s[62:63], vcc
	s_xor_b64 vcc, exec, s[62:63]
	s_cbranch_execz .LBB6_18754
; %bb.18753:                            ;   in Loop: Header=BB6_18303 Depth=3
	v_or_b32_sdwa v1, v3, s44 dst_sel:DWORD dst_unused:UNUSED_PAD src0_sel:BYTE_3 src1_sel:DWORD
	buffer_store_dword v1, off, s[0:3], s33 offset:220 ; 4-byte Folded Spill
	s_nop 0
	buffer_store_dword v2, off, s[0:3], s33 offset:224 ; 4-byte Folded Spill
                                        ; implicit-def: $vgpr3
.LBB6_18754:                            ;   in Loop: Header=BB6_18303 Depth=3
	s_andn2_saveexec_b64 s[34:35], vcc
	s_cbranch_execz .LBB6_18756
; %bb.18755:                            ;   in Loop: Header=BB6_18303 Depth=3
	v_cmp_lt_i32_e32 vcc, -1, v3
	v_mov_b32_e32 v1, 0x7c
	v_cndmask_b32_e32 v1, -4, v1, vcc
	buffer_store_dword v1, off, s[0:3], s33 offset:220 ; 4-byte Folded Spill
	s_nop 0
	buffer_store_dword v2, off, s[0:3], s33 offset:224 ; 4-byte Folded Spill
.LBB6_18756:                            ;   in Loop: Header=BB6_18303 Depth=3
	s_or_b64 exec, exec, s[34:35]
.LBB6_18757:                            ;   in Loop: Header=BB6_18303 Depth=3
	s_or_b64 exec, exec, s[28:29]
	flat_load_sbyte v1, v[12:13] offset:896 glc slc
	v_mov_b32_e32 v2, 0
	s_waitcnt vmcnt(0) lgkmcnt(0)
	v_cmp_ne_u16_e32 vcc, 0, v1
	s_and_saveexec_b64 s[28:29], vcc
	s_cbranch_execz .LBB6_18765
; %bb.18758:                            ;   in Loop: Header=BB6_18303 Depth=3
	v_cmp_ne_u16_e32 vcc, s46, v1
	v_bfrev_b32_e32 v2, 1
	s_and_saveexec_b64 s[34:35], vcc
	s_cbranch_execz .LBB6_18764
; %bb.18759:                            ;   in Loop: Header=BB6_18303 Depth=3
	v_and_b32_e32 v2, 0x7c, v1
	v_and_b32_e32 v3, 3, v1
	v_cmp_ne_u32_e32 vcc, s86, v2
                                        ; implicit-def: $vgpr2
	s_and_saveexec_b64 s[62:63], vcc
	s_xor_b64 s[36:37], exec, s[62:63]
	s_cbranch_execz .LBB6_18761
; %bb.18760:                            ;   in Loop: Header=BB6_18303 Depth=3
	v_and_b32_e32 v5, 0xff, v1
	v_bfe_u32 v7, v5, 2, 5
	v_ffbh_u32_e32 v5, v3
	v_min_u32_e32 v16, 32, v5
	v_mov_b32_e32 v2, v33
	v_subrev_u32_e32 v5, 29, v16
	v_lshlrev_b64 v[5:6], v5, v[1:2]
	v_sub_u32_e32 v2, 30, v16
	v_cmp_eq_u32_e32 vcc, 0, v7
	v_and_b32_e32 v5, 3, v5
	v_cndmask_b32_e32 v2, v7, v2, vcc
	v_and_b32_sdwa v1, sext(v1), s87 dst_sel:DWORD dst_unused:UNUSED_PAD src0_sel:WORD_0 src1_sel:DWORD
	v_cndmask_b32_e32 v3, v3, v5, vcc
	v_lshl_add_u32 v1, v2, 23, v1
	v_lshl_or_b32 v1, v3, 21, v1
	v_add_u32_e32 v2, 0x38000000, v1
                                        ; implicit-def: $vgpr3
                                        ; implicit-def: $vgpr1
.LBB6_18761:                            ;   in Loop: Header=BB6_18303 Depth=3
	s_andn2_saveexec_b64 s[36:37], s[36:37]
; %bb.18762:                            ;   in Loop: Header=BB6_18303 Depth=3
	v_cmp_lt_i16_e32 vcc, -1, v1
	v_mov_b32_e32 v1, 0xff800000
	v_mov_b32_e32 v2, 0x7f800000
	v_cndmask_b32_e32 v1, v1, v2, vcc
	v_cmp_eq_u32_e32 vcc, 0, v3
	v_mov_b32_e32 v2, 0x7f800001
	v_cndmask_b32_e32 v2, v2, v1, vcc
; %bb.18763:                            ;   in Loop: Header=BB6_18303 Depth=3
	s_or_b64 exec, exec, s[36:37]
.LBB6_18764:                            ;   in Loop: Header=BB6_18303 Depth=3
	s_or_b64 exec, exec, s[34:35]
.LBB6_18765:                            ;   in Loop: Header=BB6_18303 Depth=3
	s_or_b64 exec, exec, s[28:29]
	v_mul_f32_e32 v3, v4, v2
	v_and_b32_e32 v5, 0x7f800000, v3
	v_mov_b32_e32 v6, v33
	v_cmp_ne_u64_e32 vcc, s[76:77], v[5:6]
	v_and_b32_e32 v1, 0x7fffff, v3
	v_mov_b32_e32 v2, v33
                                        ; implicit-def: $vgpr5
	buffer_store_dword v5, off, s[0:3], s33 offset:212 ; 4-byte Folded Spill
	s_nop 0
	buffer_store_dword v6, off, s[0:3], s33 offset:216 ; 4-byte Folded Spill
	s_and_saveexec_b64 s[28:29], vcc
	s_xor_b64 s[34:35], exec, s[28:29]
	s_cbranch_execz .LBB6_18783
; %bb.18766:                            ;   in Loop: Header=BB6_18303 Depth=3
	v_and_b32_e32 v5, 0x7fffffff, v3
	v_mov_b32_e32 v6, v33
	v_cmp_gt_u64_e32 vcc, s[78:79], v[5:6]
	v_and_b32_sdwa v5, v3, s97 dst_sel:DWORD dst_unused:UNUSED_PAD src0_sel:BYTE_3 src1_sel:DWORD
                                        ; implicit-def: $vgpr6
	buffer_store_dword v6, off, s[0:3], s33 offset:212 ; 4-byte Folded Spill
	s_nop 0
	buffer_store_dword v7, off, s[0:3], s33 offset:216 ; 4-byte Folded Spill
	s_and_saveexec_b64 s[28:29], vcc
	s_xor_b64 s[36:37], exec, s[28:29]
	s_cbranch_execz .LBB6_18780
; %bb.18767:                            ;   in Loop: Header=BB6_18303 Depth=3
	v_cmp_ne_u32_e32 vcc, 0, v3
	v_mov_b32_e32 v6, 0
	buffer_store_dword v6, off, s[0:3], s33 offset:212 ; 4-byte Folded Spill
	s_nop 0
	buffer_store_dword v7, off, s[0:3], s33 offset:216 ; 4-byte Folded Spill
	s_and_saveexec_b64 s[38:39], vcc
	s_cbranch_execz .LBB6_18779
; %bb.18768:                            ;   in Loop: Header=BB6_18303 Depth=3
	v_bfe_u32 v6, v3, 23, 8
	v_cmp_gt_u32_e64 s[28:29], s47, v6
	v_sub_u32_e32 v3, 0x71, v6
	v_cmp_eq_u32_e32 vcc, 0, v6
	v_cndmask_b32_e64 v3, 0, v3, s[28:29]
	v_mov_b32_e32 v7, 0x70
	v_cndmask_b32_e32 v7, v3, v7, vcc
	v_or_b32_e32 v16, 0x800000, v1
	v_add_u32_e32 v3, 21, v7
	v_cndmask_b32_e32 v1, v16, v1, vcc
	v_lshlrev_b64 v[16:17], v3, -1
	v_add_u32_e32 v3, 20, v7
	v_bfi_b32 v16, v16, 0, v1
	v_lshlrev_b64 v[18:19], v3, 1
	v_lshrrev_b64 v[1:2], v7, v[1:2]
	v_bfi_b32 v17, v17, 0, 0
	v_cmp_eq_u64_e64 s[28:29], v[16:17], v[18:19]
	v_mov_b32_e32 v3, v2
	v_mov_b32_e32 v2, v1
	s_and_saveexec_b64 s[48:49], s[28:29]
; %bb.18769:                            ;   in Loop: Header=BB6_18303 Depth=3
	v_bfe_u32 v2, v1, 21, 1
	v_add_co_u32_e64 v2, s[28:29], v1, v2
	v_add_co_u32_e64 v2, s[28:29], -1, v2
; %bb.18770:                            ;   in Loop: Header=BB6_18303 Depth=3
	s_or_b64 exec, exec, s[48:49]
	v_add_u32_e32 v3, 0xffffff81, v6
	v_mov_b32_e32 v6, 0xffffff82
	v_cndmask_b32_e32 v3, v3, v6, vcc
	v_lshrrev_b32_e32 v6, 23, v1
	v_add3_u32 v7, v7, v3, v6
	v_add_u32_e32 v6, 14, v7
	v_and_b32_e32 v2, 0x1fffff, v2
	v_add_u32_e32 v1, v2, v1
	v_mov_b32_e32 v2, v33
	v_cmp_ne_u32_e32 vcc, 0, v6
                                        ; implicit-def: $vgpr3
	s_and_saveexec_b64 s[28:29], vcc
	s_xor_b64 s[28:29], exec, s[28:29]
; %bb.18771:                            ;   in Loop: Header=BB6_18303 Depth=3
	v_cmp_lt_u64_e32 vcc, s[88:89], v[1:2]
	v_add_u32_e32 v3, 15, v7
	v_cndmask_b32_e32 v3, v6, v3, vcc
	v_cndmask_b32_e64 v6, 0, 1, vcc
	v_lshrrev_b64 v[1:2], v6, v[1:2]
; %bb.18772:                            ;   in Loop: Header=BB6_18303 Depth=3
	s_andn2_saveexec_b64 s[28:29], s[28:29]
; %bb.18773:                            ;   in Loop: Header=BB6_18303 Depth=3
	v_bfe_u32 v3, v1, 23, 1
; %bb.18774:                            ;   in Loop: Header=BB6_18303 Depth=3
	s_or_b64 exec, exec, s[28:29]
	v_lshrrev_b64 v[1:2], 21, v[1:2]
	v_cmp_gt_i32_e32 vcc, 32, v3
	v_cndmask_b32_e32 v2, 0, v2, vcc
	v_cndmask_b32_e32 v1, 3, v1, vcc
	v_cmp_ne_u64_e32 vcc, 0, v[1:2]
	v_cmp_ne_u32_e64 s[28:29], 0, v3
	s_or_b64 s[28:29], s[28:29], vcc
                                        ; implicit-def: $vgpr2
	buffer_store_dword v2, off, s[0:3], s33 offset:212 ; 4-byte Folded Spill
	s_nop 0
	buffer_store_dword v3, off, s[0:3], s33 offset:216 ; 4-byte Folded Spill
	s_and_saveexec_b64 s[62:63], s[28:29]
	s_xor_b64 s[28:29], exec, s[62:63]
	s_cbranch_execz .LBB6_18776
; %bb.18775:                            ;   in Loop: Header=BB6_18303 Depth=3
	v_min_i32_e32 v2, 31, v3
	v_lshl_or_b32 v2, v2, 2, v5
	v_and_or_b32 v1, v1, 3, v2
	buffer_store_dword v1, off, s[0:3], s33 offset:212 ; 4-byte Folded Spill
	s_nop 0
	buffer_store_dword v2, off, s[0:3], s33 offset:216 ; 4-byte Folded Spill
                                        ; implicit-def: $vgpr5
.LBB6_18776:                            ;   in Loop: Header=BB6_18303 Depth=3
	s_andn2_saveexec_b64 s[28:29], s[28:29]
	s_cbranch_execz .LBB6_18778
; %bb.18777:                            ;   in Loop: Header=BB6_18303 Depth=3
	v_mov_b32_e32 v1, v5
	buffer_store_dword v1, off, s[0:3], s33 offset:212 ; 4-byte Folded Spill
	s_nop 0
	buffer_store_dword v2, off, s[0:3], s33 offset:216 ; 4-byte Folded Spill
.LBB6_18778:                            ;   in Loop: Header=BB6_18303 Depth=3
	s_or_b64 exec, exec, s[28:29]
.LBB6_18779:                            ;   in Loop: Header=BB6_18303 Depth=3
	s_or_b64 exec, exec, s[38:39]
                                        ; implicit-def: $vgpr5
.LBB6_18780:                            ;   in Loop: Header=BB6_18303 Depth=3
	s_andn2_saveexec_b64 s[28:29], s[36:37]
	s_cbranch_execz .LBB6_18782
; %bb.18781:                            ;   in Loop: Header=BB6_18303 Depth=3
	v_or_b32_e32 v1, 0x7b, v5
	buffer_store_dword v1, off, s[0:3], s33 offset:212 ; 4-byte Folded Spill
	s_nop 0
	buffer_store_dword v2, off, s[0:3], s33 offset:216 ; 4-byte Folded Spill
.LBB6_18782:                            ;   in Loop: Header=BB6_18303 Depth=3
	s_or_b64 exec, exec, s[28:29]
                                        ; implicit-def: $vgpr3
                                        ; implicit-def: $vgpr1_vgpr2
.LBB6_18783:                            ;   in Loop: Header=BB6_18303 Depth=3
	s_andn2_saveexec_b64 s[28:29], s[34:35]
	s_cbranch_execz .LBB6_18789
; %bb.18784:                            ;   in Loop: Header=BB6_18303 Depth=3
	v_cmp_ne_u64_e32 vcc, 0, v[1:2]
                                        ; implicit-def: $vgpr1
	buffer_store_dword v1, off, s[0:3], s33 offset:212 ; 4-byte Folded Spill
	s_nop 0
	buffer_store_dword v2, off, s[0:3], s33 offset:216 ; 4-byte Folded Spill
	s_and_saveexec_b64 s[62:63], vcc
	s_xor_b64 vcc, exec, s[62:63]
	s_cbranch_execz .LBB6_18786
; %bb.18785:                            ;   in Loop: Header=BB6_18303 Depth=3
	v_or_b32_sdwa v1, v3, s44 dst_sel:DWORD dst_unused:UNUSED_PAD src0_sel:BYTE_3 src1_sel:DWORD
	buffer_store_dword v1, off, s[0:3], s33 offset:212 ; 4-byte Folded Spill
	s_nop 0
	buffer_store_dword v2, off, s[0:3], s33 offset:216 ; 4-byte Folded Spill
                                        ; implicit-def: $vgpr3
.LBB6_18786:                            ;   in Loop: Header=BB6_18303 Depth=3
	s_andn2_saveexec_b64 s[34:35], vcc
	s_cbranch_execz .LBB6_18788
; %bb.18787:                            ;   in Loop: Header=BB6_18303 Depth=3
	v_cmp_lt_i32_e32 vcc, -1, v3
	v_mov_b32_e32 v1, 0x7c
	v_cndmask_b32_e32 v1, -4, v1, vcc
	buffer_store_dword v1, off, s[0:3], s33 offset:212 ; 4-byte Folded Spill
	s_nop 0
	buffer_store_dword v2, off, s[0:3], s33 offset:216 ; 4-byte Folded Spill
.LBB6_18788:                            ;   in Loop: Header=BB6_18303 Depth=3
	s_or_b64 exec, exec, s[34:35]
.LBB6_18789:                            ;   in Loop: Header=BB6_18303 Depth=3
	s_or_b64 exec, exec, s[28:29]
	flat_load_sbyte v1, v[12:13] offset:960 glc slc
	v_mov_b32_e32 v2, 0
	s_waitcnt vmcnt(0) lgkmcnt(0)
	v_cmp_ne_u16_e32 vcc, 0, v1
	s_and_saveexec_b64 s[28:29], vcc
	s_cbranch_execz .LBB6_18797
; %bb.18790:                            ;   in Loop: Header=BB6_18303 Depth=3
	v_cmp_ne_u16_e32 vcc, s46, v1
	v_bfrev_b32_e32 v2, 1
	s_and_saveexec_b64 s[34:35], vcc
	s_cbranch_execz .LBB6_18796
; %bb.18791:                            ;   in Loop: Header=BB6_18303 Depth=3
	v_and_b32_e32 v2, 0x7c, v1
	v_and_b32_e32 v3, 3, v1
	v_cmp_ne_u32_e32 vcc, s86, v2
                                        ; implicit-def: $vgpr2
	s_and_saveexec_b64 s[62:63], vcc
	s_xor_b64 s[36:37], exec, s[62:63]
	s_cbranch_execz .LBB6_18793
; %bb.18792:                            ;   in Loop: Header=BB6_18303 Depth=3
	v_and_b32_e32 v5, 0xff, v1
	v_bfe_u32 v7, v5, 2, 5
	v_ffbh_u32_e32 v5, v3
	v_min_u32_e32 v16, 32, v5
	v_mov_b32_e32 v2, v33
	v_subrev_u32_e32 v5, 29, v16
	v_lshlrev_b64 v[5:6], v5, v[1:2]
	v_sub_u32_e32 v2, 30, v16
	v_cmp_eq_u32_e32 vcc, 0, v7
	v_and_b32_e32 v5, 3, v5
	v_cndmask_b32_e32 v2, v7, v2, vcc
	v_and_b32_sdwa v1, sext(v1), s87 dst_sel:DWORD dst_unused:UNUSED_PAD src0_sel:WORD_0 src1_sel:DWORD
	v_cndmask_b32_e32 v3, v3, v5, vcc
	v_lshl_add_u32 v1, v2, 23, v1
	v_lshl_or_b32 v1, v3, 21, v1
	v_add_u32_e32 v2, 0x38000000, v1
                                        ; implicit-def: $vgpr3
                                        ; implicit-def: $vgpr1
.LBB6_18793:                            ;   in Loop: Header=BB6_18303 Depth=3
	s_andn2_saveexec_b64 s[36:37], s[36:37]
; %bb.18794:                            ;   in Loop: Header=BB6_18303 Depth=3
	v_cmp_lt_i16_e32 vcc, -1, v1
	v_mov_b32_e32 v1, 0xff800000
	v_mov_b32_e32 v2, 0x7f800000
	v_cndmask_b32_e32 v1, v1, v2, vcc
	v_cmp_eq_u32_e32 vcc, 0, v3
	v_mov_b32_e32 v2, 0x7f800001
	v_cndmask_b32_e32 v2, v2, v1, vcc
; %bb.18795:                            ;   in Loop: Header=BB6_18303 Depth=3
	s_or_b64 exec, exec, s[36:37]
.LBB6_18796:                            ;   in Loop: Header=BB6_18303 Depth=3
	s_or_b64 exec, exec, s[34:35]
.LBB6_18797:                            ;   in Loop: Header=BB6_18303 Depth=3
	s_or_b64 exec, exec, s[28:29]
	v_mul_f32_e32 v3, v4, v2
	v_and_b32_e32 v5, 0x7f800000, v3
	v_mov_b32_e32 v6, v33
	v_cmp_ne_u64_e32 vcc, s[76:77], v[5:6]
	v_and_b32_e32 v1, 0x7fffff, v3
	v_mov_b32_e32 v2, v33
                                        ; implicit-def: $vgpr5
	buffer_store_dword v5, off, s[0:3], s33 offset:204 ; 4-byte Folded Spill
	s_nop 0
	buffer_store_dword v6, off, s[0:3], s33 offset:208 ; 4-byte Folded Spill
	s_and_saveexec_b64 s[28:29], vcc
	s_xor_b64 s[34:35], exec, s[28:29]
	s_cbranch_execz .LBB6_18815
; %bb.18798:                            ;   in Loop: Header=BB6_18303 Depth=3
	v_and_b32_e32 v5, 0x7fffffff, v3
	v_mov_b32_e32 v6, v33
	v_cmp_gt_u64_e32 vcc, s[78:79], v[5:6]
	v_and_b32_sdwa v5, v3, s97 dst_sel:DWORD dst_unused:UNUSED_PAD src0_sel:BYTE_3 src1_sel:DWORD
                                        ; implicit-def: $vgpr6
	buffer_store_dword v6, off, s[0:3], s33 offset:204 ; 4-byte Folded Spill
	s_nop 0
	buffer_store_dword v7, off, s[0:3], s33 offset:208 ; 4-byte Folded Spill
	s_and_saveexec_b64 s[28:29], vcc
	s_xor_b64 s[36:37], exec, s[28:29]
	s_cbranch_execz .LBB6_18812
; %bb.18799:                            ;   in Loop: Header=BB6_18303 Depth=3
	v_cmp_ne_u32_e32 vcc, 0, v3
	v_mov_b32_e32 v6, 0
	buffer_store_dword v6, off, s[0:3], s33 offset:204 ; 4-byte Folded Spill
	s_nop 0
	buffer_store_dword v7, off, s[0:3], s33 offset:208 ; 4-byte Folded Spill
	s_and_saveexec_b64 s[38:39], vcc
	s_cbranch_execz .LBB6_18811
; %bb.18800:                            ;   in Loop: Header=BB6_18303 Depth=3
	v_bfe_u32 v6, v3, 23, 8
	v_cmp_gt_u32_e64 s[28:29], s47, v6
	v_sub_u32_e32 v3, 0x71, v6
	v_cmp_eq_u32_e32 vcc, 0, v6
	v_cndmask_b32_e64 v3, 0, v3, s[28:29]
	v_mov_b32_e32 v7, 0x70
	v_cndmask_b32_e32 v7, v3, v7, vcc
	v_or_b32_e32 v16, 0x800000, v1
	v_add_u32_e32 v3, 21, v7
	v_cndmask_b32_e32 v1, v16, v1, vcc
	v_lshlrev_b64 v[16:17], v3, -1
	v_add_u32_e32 v3, 20, v7
	v_bfi_b32 v16, v16, 0, v1
	v_lshlrev_b64 v[18:19], v3, 1
	v_lshrrev_b64 v[1:2], v7, v[1:2]
	v_bfi_b32 v17, v17, 0, 0
	v_cmp_eq_u64_e64 s[28:29], v[16:17], v[18:19]
	v_mov_b32_e32 v3, v2
	v_mov_b32_e32 v2, v1
	s_and_saveexec_b64 s[48:49], s[28:29]
; %bb.18801:                            ;   in Loop: Header=BB6_18303 Depth=3
	v_bfe_u32 v2, v1, 21, 1
	v_add_co_u32_e64 v2, s[28:29], v1, v2
	v_add_co_u32_e64 v2, s[28:29], -1, v2
; %bb.18802:                            ;   in Loop: Header=BB6_18303 Depth=3
	s_or_b64 exec, exec, s[48:49]
	v_add_u32_e32 v3, 0xffffff81, v6
	v_mov_b32_e32 v6, 0xffffff82
	v_cndmask_b32_e32 v3, v3, v6, vcc
	v_lshrrev_b32_e32 v6, 23, v1
	v_add3_u32 v7, v7, v3, v6
	v_add_u32_e32 v6, 14, v7
	v_and_b32_e32 v2, 0x1fffff, v2
	v_add_u32_e32 v1, v2, v1
	v_mov_b32_e32 v2, v33
	v_cmp_ne_u32_e32 vcc, 0, v6
                                        ; implicit-def: $vgpr3
	s_and_saveexec_b64 s[28:29], vcc
	s_xor_b64 s[28:29], exec, s[28:29]
; %bb.18803:                            ;   in Loop: Header=BB6_18303 Depth=3
	v_cmp_lt_u64_e32 vcc, s[88:89], v[1:2]
	v_add_u32_e32 v3, 15, v7
	v_cndmask_b32_e32 v3, v6, v3, vcc
	v_cndmask_b32_e64 v6, 0, 1, vcc
	v_lshrrev_b64 v[1:2], v6, v[1:2]
; %bb.18804:                            ;   in Loop: Header=BB6_18303 Depth=3
	s_andn2_saveexec_b64 s[28:29], s[28:29]
; %bb.18805:                            ;   in Loop: Header=BB6_18303 Depth=3
	v_bfe_u32 v3, v1, 23, 1
; %bb.18806:                            ;   in Loop: Header=BB6_18303 Depth=3
	s_or_b64 exec, exec, s[28:29]
	v_lshrrev_b64 v[1:2], 21, v[1:2]
	v_cmp_gt_i32_e32 vcc, 32, v3
	v_cndmask_b32_e32 v2, 0, v2, vcc
	v_cndmask_b32_e32 v1, 3, v1, vcc
	v_cmp_ne_u64_e32 vcc, 0, v[1:2]
	v_cmp_ne_u32_e64 s[28:29], 0, v3
	s_or_b64 s[28:29], s[28:29], vcc
                                        ; implicit-def: $vgpr2
	buffer_store_dword v2, off, s[0:3], s33 offset:204 ; 4-byte Folded Spill
	s_nop 0
	buffer_store_dword v3, off, s[0:3], s33 offset:208 ; 4-byte Folded Spill
	s_and_saveexec_b64 s[62:63], s[28:29]
	s_xor_b64 s[28:29], exec, s[62:63]
	s_cbranch_execz .LBB6_18808
; %bb.18807:                            ;   in Loop: Header=BB6_18303 Depth=3
	v_min_i32_e32 v2, 31, v3
	v_lshl_or_b32 v2, v2, 2, v5
	v_and_or_b32 v1, v1, 3, v2
	buffer_store_dword v1, off, s[0:3], s33 offset:204 ; 4-byte Folded Spill
	s_nop 0
	buffer_store_dword v2, off, s[0:3], s33 offset:208 ; 4-byte Folded Spill
                                        ; implicit-def: $vgpr5
.LBB6_18808:                            ;   in Loop: Header=BB6_18303 Depth=3
	s_andn2_saveexec_b64 s[28:29], s[28:29]
	s_cbranch_execz .LBB6_18810
; %bb.18809:                            ;   in Loop: Header=BB6_18303 Depth=3
	v_mov_b32_e32 v1, v5
	buffer_store_dword v1, off, s[0:3], s33 offset:204 ; 4-byte Folded Spill
	s_nop 0
	buffer_store_dword v2, off, s[0:3], s33 offset:208 ; 4-byte Folded Spill
.LBB6_18810:                            ;   in Loop: Header=BB6_18303 Depth=3
	s_or_b64 exec, exec, s[28:29]
.LBB6_18811:                            ;   in Loop: Header=BB6_18303 Depth=3
	s_or_b64 exec, exec, s[38:39]
                                        ; implicit-def: $vgpr5
.LBB6_18812:                            ;   in Loop: Header=BB6_18303 Depth=3
	s_andn2_saveexec_b64 s[28:29], s[36:37]
	s_cbranch_execz .LBB6_18814
; %bb.18813:                            ;   in Loop: Header=BB6_18303 Depth=3
	v_or_b32_e32 v1, 0x7b, v5
	buffer_store_dword v1, off, s[0:3], s33 offset:204 ; 4-byte Folded Spill
	s_nop 0
	buffer_store_dword v2, off, s[0:3], s33 offset:208 ; 4-byte Folded Spill
.LBB6_18814:                            ;   in Loop: Header=BB6_18303 Depth=3
	s_or_b64 exec, exec, s[28:29]
                                        ; implicit-def: $vgpr3
                                        ; implicit-def: $vgpr1_vgpr2
.LBB6_18815:                            ;   in Loop: Header=BB6_18303 Depth=3
	s_andn2_saveexec_b64 s[28:29], s[34:35]
	s_cbranch_execz .LBB6_18821
; %bb.18816:                            ;   in Loop: Header=BB6_18303 Depth=3
	v_cmp_ne_u64_e32 vcc, 0, v[1:2]
                                        ; implicit-def: $vgpr1
	buffer_store_dword v1, off, s[0:3], s33 offset:204 ; 4-byte Folded Spill
	s_nop 0
	buffer_store_dword v2, off, s[0:3], s33 offset:208 ; 4-byte Folded Spill
	s_and_saveexec_b64 s[62:63], vcc
	s_xor_b64 vcc, exec, s[62:63]
	s_cbranch_execz .LBB6_18818
; %bb.18817:                            ;   in Loop: Header=BB6_18303 Depth=3
	v_or_b32_sdwa v1, v3, s44 dst_sel:DWORD dst_unused:UNUSED_PAD src0_sel:BYTE_3 src1_sel:DWORD
	buffer_store_dword v1, off, s[0:3], s33 offset:204 ; 4-byte Folded Spill
	s_nop 0
	buffer_store_dword v2, off, s[0:3], s33 offset:208 ; 4-byte Folded Spill
                                        ; implicit-def: $vgpr3
.LBB6_18818:                            ;   in Loop: Header=BB6_18303 Depth=3
	s_andn2_saveexec_b64 s[34:35], vcc
	s_cbranch_execz .LBB6_18820
; %bb.18819:                            ;   in Loop: Header=BB6_18303 Depth=3
	v_cmp_lt_i32_e32 vcc, -1, v3
	v_mov_b32_e32 v1, 0x7c
	v_cndmask_b32_e32 v1, -4, v1, vcc
	buffer_store_dword v1, off, s[0:3], s33 offset:204 ; 4-byte Folded Spill
	s_nop 0
	buffer_store_dword v2, off, s[0:3], s33 offset:208 ; 4-byte Folded Spill
.LBB6_18820:                            ;   in Loop: Header=BB6_18303 Depth=3
	s_or_b64 exec, exec, s[34:35]
.LBB6_18821:                            ;   in Loop: Header=BB6_18303 Depth=3
	s_or_b64 exec, exec, s[28:29]
	flat_load_sbyte v1, v[12:13] offset:1024 glc slc
	v_mov_b32_e32 v2, 0
	s_waitcnt vmcnt(0) lgkmcnt(0)
	v_cmp_ne_u16_e32 vcc, 0, v1
	s_and_saveexec_b64 s[28:29], vcc
	s_cbranch_execz .LBB6_18829
; %bb.18822:                            ;   in Loop: Header=BB6_18303 Depth=3
	v_cmp_ne_u16_e32 vcc, s46, v1
	v_bfrev_b32_e32 v2, 1
	s_and_saveexec_b64 s[34:35], vcc
	s_cbranch_execz .LBB6_18828
; %bb.18823:                            ;   in Loop: Header=BB6_18303 Depth=3
	v_and_b32_e32 v2, 0x7c, v1
	v_and_b32_e32 v3, 3, v1
	v_cmp_ne_u32_e32 vcc, s86, v2
                                        ; implicit-def: $vgpr2
	s_and_saveexec_b64 s[62:63], vcc
	s_xor_b64 s[36:37], exec, s[62:63]
	s_cbranch_execz .LBB6_18825
; %bb.18824:                            ;   in Loop: Header=BB6_18303 Depth=3
	v_and_b32_e32 v5, 0xff, v1
	v_bfe_u32 v7, v5, 2, 5
	v_ffbh_u32_e32 v5, v3
	v_min_u32_e32 v16, 32, v5
	v_mov_b32_e32 v2, v33
	v_subrev_u32_e32 v5, 29, v16
	v_lshlrev_b64 v[5:6], v5, v[1:2]
	v_sub_u32_e32 v2, 30, v16
	v_cmp_eq_u32_e32 vcc, 0, v7
	v_and_b32_e32 v5, 3, v5
	v_cndmask_b32_e32 v2, v7, v2, vcc
	v_and_b32_sdwa v1, sext(v1), s87 dst_sel:DWORD dst_unused:UNUSED_PAD src0_sel:WORD_0 src1_sel:DWORD
	v_cndmask_b32_e32 v3, v3, v5, vcc
	v_lshl_add_u32 v1, v2, 23, v1
	v_lshl_or_b32 v1, v3, 21, v1
	v_add_u32_e32 v2, 0x38000000, v1
                                        ; implicit-def: $vgpr3
                                        ; implicit-def: $vgpr1
.LBB6_18825:                            ;   in Loop: Header=BB6_18303 Depth=3
	s_andn2_saveexec_b64 s[36:37], s[36:37]
; %bb.18826:                            ;   in Loop: Header=BB6_18303 Depth=3
	v_cmp_lt_i16_e32 vcc, -1, v1
	v_mov_b32_e32 v1, 0xff800000
	v_mov_b32_e32 v2, 0x7f800000
	v_cndmask_b32_e32 v1, v1, v2, vcc
	v_cmp_eq_u32_e32 vcc, 0, v3
	v_mov_b32_e32 v2, 0x7f800001
	v_cndmask_b32_e32 v2, v2, v1, vcc
; %bb.18827:                            ;   in Loop: Header=BB6_18303 Depth=3
	s_or_b64 exec, exec, s[36:37]
.LBB6_18828:                            ;   in Loop: Header=BB6_18303 Depth=3
	s_or_b64 exec, exec, s[34:35]
.LBB6_18829:                            ;   in Loop: Header=BB6_18303 Depth=3
	s_or_b64 exec, exec, s[28:29]
	v_mul_f32_e32 v3, v4, v2
	v_and_b32_e32 v5, 0x7f800000, v3
	v_mov_b32_e32 v6, v33
	v_cmp_ne_u64_e32 vcc, s[76:77], v[5:6]
	v_and_b32_e32 v1, 0x7fffff, v3
	v_mov_b32_e32 v2, v33
                                        ; implicit-def: $vgpr5
	buffer_store_dword v5, off, s[0:3], s33 offset:196 ; 4-byte Folded Spill
	s_nop 0
	buffer_store_dword v6, off, s[0:3], s33 offset:200 ; 4-byte Folded Spill
	s_and_saveexec_b64 s[28:29], vcc
	s_xor_b64 s[34:35], exec, s[28:29]
	s_cbranch_execz .LBB6_18847
; %bb.18830:                            ;   in Loop: Header=BB6_18303 Depth=3
	v_and_b32_e32 v5, 0x7fffffff, v3
	v_mov_b32_e32 v6, v33
	v_cmp_gt_u64_e32 vcc, s[78:79], v[5:6]
	v_and_b32_sdwa v5, v3, s97 dst_sel:DWORD dst_unused:UNUSED_PAD src0_sel:BYTE_3 src1_sel:DWORD
                                        ; implicit-def: $vgpr6
	buffer_store_dword v6, off, s[0:3], s33 offset:196 ; 4-byte Folded Spill
	s_nop 0
	buffer_store_dword v7, off, s[0:3], s33 offset:200 ; 4-byte Folded Spill
	s_and_saveexec_b64 s[28:29], vcc
	s_xor_b64 s[36:37], exec, s[28:29]
	s_cbranch_execz .LBB6_18844
; %bb.18831:                            ;   in Loop: Header=BB6_18303 Depth=3
	v_cmp_ne_u32_e32 vcc, 0, v3
	v_mov_b32_e32 v6, 0
	buffer_store_dword v6, off, s[0:3], s33 offset:196 ; 4-byte Folded Spill
	s_nop 0
	buffer_store_dword v7, off, s[0:3], s33 offset:200 ; 4-byte Folded Spill
	s_and_saveexec_b64 s[38:39], vcc
	s_cbranch_execz .LBB6_18843
; %bb.18832:                            ;   in Loop: Header=BB6_18303 Depth=3
	v_bfe_u32 v6, v3, 23, 8
	v_cmp_gt_u32_e64 s[28:29], s47, v6
	v_sub_u32_e32 v3, 0x71, v6
	v_cmp_eq_u32_e32 vcc, 0, v6
	v_cndmask_b32_e64 v3, 0, v3, s[28:29]
	v_mov_b32_e32 v7, 0x70
	v_cndmask_b32_e32 v7, v3, v7, vcc
	v_or_b32_e32 v16, 0x800000, v1
	v_add_u32_e32 v3, 21, v7
	v_cndmask_b32_e32 v1, v16, v1, vcc
	v_lshlrev_b64 v[16:17], v3, -1
	v_add_u32_e32 v3, 20, v7
	v_bfi_b32 v16, v16, 0, v1
	v_lshlrev_b64 v[18:19], v3, 1
	v_lshrrev_b64 v[1:2], v7, v[1:2]
	v_bfi_b32 v17, v17, 0, 0
	v_cmp_eq_u64_e64 s[28:29], v[16:17], v[18:19]
	v_mov_b32_e32 v3, v2
	v_mov_b32_e32 v2, v1
	s_and_saveexec_b64 s[48:49], s[28:29]
; %bb.18833:                            ;   in Loop: Header=BB6_18303 Depth=3
	v_bfe_u32 v2, v1, 21, 1
	v_add_co_u32_e64 v2, s[28:29], v1, v2
	v_add_co_u32_e64 v2, s[28:29], -1, v2
; %bb.18834:                            ;   in Loop: Header=BB6_18303 Depth=3
	s_or_b64 exec, exec, s[48:49]
	v_add_u32_e32 v3, 0xffffff81, v6
	v_mov_b32_e32 v6, 0xffffff82
	v_cndmask_b32_e32 v3, v3, v6, vcc
	v_lshrrev_b32_e32 v6, 23, v1
	v_add3_u32 v7, v7, v3, v6
	v_add_u32_e32 v6, 14, v7
	v_and_b32_e32 v2, 0x1fffff, v2
	v_add_u32_e32 v1, v2, v1
	v_mov_b32_e32 v2, v33
	v_cmp_ne_u32_e32 vcc, 0, v6
                                        ; implicit-def: $vgpr3
	s_and_saveexec_b64 s[28:29], vcc
	s_xor_b64 s[28:29], exec, s[28:29]
; %bb.18835:                            ;   in Loop: Header=BB6_18303 Depth=3
	v_cmp_lt_u64_e32 vcc, s[88:89], v[1:2]
	v_add_u32_e32 v3, 15, v7
	v_cndmask_b32_e32 v3, v6, v3, vcc
	v_cndmask_b32_e64 v6, 0, 1, vcc
	v_lshrrev_b64 v[1:2], v6, v[1:2]
; %bb.18836:                            ;   in Loop: Header=BB6_18303 Depth=3
	s_andn2_saveexec_b64 s[28:29], s[28:29]
; %bb.18837:                            ;   in Loop: Header=BB6_18303 Depth=3
	v_bfe_u32 v3, v1, 23, 1
; %bb.18838:                            ;   in Loop: Header=BB6_18303 Depth=3
	s_or_b64 exec, exec, s[28:29]
	v_lshrrev_b64 v[1:2], 21, v[1:2]
	v_cmp_gt_i32_e32 vcc, 32, v3
	v_cndmask_b32_e32 v2, 0, v2, vcc
	v_cndmask_b32_e32 v1, 3, v1, vcc
	v_cmp_ne_u64_e32 vcc, 0, v[1:2]
	v_cmp_ne_u32_e64 s[28:29], 0, v3
	s_or_b64 s[28:29], s[28:29], vcc
                                        ; implicit-def: $vgpr2
	buffer_store_dword v2, off, s[0:3], s33 offset:196 ; 4-byte Folded Spill
	s_nop 0
	buffer_store_dword v3, off, s[0:3], s33 offset:200 ; 4-byte Folded Spill
	s_and_saveexec_b64 s[62:63], s[28:29]
	s_xor_b64 s[28:29], exec, s[62:63]
	s_cbranch_execz .LBB6_18840
; %bb.18839:                            ;   in Loop: Header=BB6_18303 Depth=3
	v_min_i32_e32 v2, 31, v3
	v_lshl_or_b32 v2, v2, 2, v5
	v_and_or_b32 v1, v1, 3, v2
	buffer_store_dword v1, off, s[0:3], s33 offset:196 ; 4-byte Folded Spill
	s_nop 0
	buffer_store_dword v2, off, s[0:3], s33 offset:200 ; 4-byte Folded Spill
                                        ; implicit-def: $vgpr5
.LBB6_18840:                            ;   in Loop: Header=BB6_18303 Depth=3
	s_andn2_saveexec_b64 s[28:29], s[28:29]
	s_cbranch_execz .LBB6_18842
; %bb.18841:                            ;   in Loop: Header=BB6_18303 Depth=3
	v_mov_b32_e32 v1, v5
	buffer_store_dword v1, off, s[0:3], s33 offset:196 ; 4-byte Folded Spill
	s_nop 0
	buffer_store_dword v2, off, s[0:3], s33 offset:200 ; 4-byte Folded Spill
.LBB6_18842:                            ;   in Loop: Header=BB6_18303 Depth=3
	s_or_b64 exec, exec, s[28:29]
.LBB6_18843:                            ;   in Loop: Header=BB6_18303 Depth=3
	s_or_b64 exec, exec, s[38:39]
                                        ; implicit-def: $vgpr5
.LBB6_18844:                            ;   in Loop: Header=BB6_18303 Depth=3
	s_andn2_saveexec_b64 s[28:29], s[36:37]
	s_cbranch_execz .LBB6_18846
; %bb.18845:                            ;   in Loop: Header=BB6_18303 Depth=3
	v_or_b32_e32 v1, 0x7b, v5
	buffer_store_dword v1, off, s[0:3], s33 offset:196 ; 4-byte Folded Spill
	s_nop 0
	buffer_store_dword v2, off, s[0:3], s33 offset:200 ; 4-byte Folded Spill
.LBB6_18846:                            ;   in Loop: Header=BB6_18303 Depth=3
	s_or_b64 exec, exec, s[28:29]
                                        ; implicit-def: $vgpr3
                                        ; implicit-def: $vgpr1_vgpr2
.LBB6_18847:                            ;   in Loop: Header=BB6_18303 Depth=3
	s_andn2_saveexec_b64 s[28:29], s[34:35]
	s_cbranch_execz .LBB6_18853
; %bb.18848:                            ;   in Loop: Header=BB6_18303 Depth=3
	v_cmp_ne_u64_e32 vcc, 0, v[1:2]
                                        ; implicit-def: $vgpr1
	buffer_store_dword v1, off, s[0:3], s33 offset:196 ; 4-byte Folded Spill
	s_nop 0
	buffer_store_dword v2, off, s[0:3], s33 offset:200 ; 4-byte Folded Spill
	s_and_saveexec_b64 s[62:63], vcc
	s_xor_b64 vcc, exec, s[62:63]
	s_cbranch_execz .LBB6_18850
; %bb.18849:                            ;   in Loop: Header=BB6_18303 Depth=3
	v_or_b32_sdwa v1, v3, s44 dst_sel:DWORD dst_unused:UNUSED_PAD src0_sel:BYTE_3 src1_sel:DWORD
	buffer_store_dword v1, off, s[0:3], s33 offset:196 ; 4-byte Folded Spill
	s_nop 0
	buffer_store_dword v2, off, s[0:3], s33 offset:200 ; 4-byte Folded Spill
                                        ; implicit-def: $vgpr3
.LBB6_18850:                            ;   in Loop: Header=BB6_18303 Depth=3
	s_andn2_saveexec_b64 s[34:35], vcc
	s_cbranch_execz .LBB6_18852
; %bb.18851:                            ;   in Loop: Header=BB6_18303 Depth=3
	v_cmp_lt_i32_e32 vcc, -1, v3
	v_mov_b32_e32 v1, 0x7c
	v_cndmask_b32_e32 v1, -4, v1, vcc
	buffer_store_dword v1, off, s[0:3], s33 offset:196 ; 4-byte Folded Spill
	s_nop 0
	buffer_store_dword v2, off, s[0:3], s33 offset:200 ; 4-byte Folded Spill
.LBB6_18852:                            ;   in Loop: Header=BB6_18303 Depth=3
	s_or_b64 exec, exec, s[34:35]
.LBB6_18853:                            ;   in Loop: Header=BB6_18303 Depth=3
	s_or_b64 exec, exec, s[28:29]
	flat_load_sbyte v1, v[12:13] offset:1088 glc slc
	v_mov_b32_e32 v2, 0
	s_waitcnt vmcnt(0) lgkmcnt(0)
	v_cmp_ne_u16_e32 vcc, 0, v1
	s_and_saveexec_b64 s[28:29], vcc
	s_cbranch_execz .LBB6_18861
; %bb.18854:                            ;   in Loop: Header=BB6_18303 Depth=3
	v_cmp_ne_u16_e32 vcc, s46, v1
	v_bfrev_b32_e32 v2, 1
	s_and_saveexec_b64 s[34:35], vcc
	s_cbranch_execz .LBB6_18860
; %bb.18855:                            ;   in Loop: Header=BB6_18303 Depth=3
	v_and_b32_e32 v2, 0x7c, v1
	v_and_b32_e32 v3, 3, v1
	v_cmp_ne_u32_e32 vcc, s86, v2
                                        ; implicit-def: $vgpr2
	s_and_saveexec_b64 s[62:63], vcc
	s_xor_b64 s[36:37], exec, s[62:63]
	s_cbranch_execz .LBB6_18857
; %bb.18856:                            ;   in Loop: Header=BB6_18303 Depth=3
	v_and_b32_e32 v5, 0xff, v1
	v_bfe_u32 v7, v5, 2, 5
	v_ffbh_u32_e32 v5, v3
	v_min_u32_e32 v16, 32, v5
	v_mov_b32_e32 v2, v33
	v_subrev_u32_e32 v5, 29, v16
	v_lshlrev_b64 v[5:6], v5, v[1:2]
	v_sub_u32_e32 v2, 30, v16
	v_cmp_eq_u32_e32 vcc, 0, v7
	v_and_b32_e32 v5, 3, v5
	v_cndmask_b32_e32 v2, v7, v2, vcc
	v_and_b32_sdwa v1, sext(v1), s87 dst_sel:DWORD dst_unused:UNUSED_PAD src0_sel:WORD_0 src1_sel:DWORD
	v_cndmask_b32_e32 v3, v3, v5, vcc
	v_lshl_add_u32 v1, v2, 23, v1
	v_lshl_or_b32 v1, v3, 21, v1
	v_add_u32_e32 v2, 0x38000000, v1
                                        ; implicit-def: $vgpr3
                                        ; implicit-def: $vgpr1
.LBB6_18857:                            ;   in Loop: Header=BB6_18303 Depth=3
	s_andn2_saveexec_b64 s[36:37], s[36:37]
; %bb.18858:                            ;   in Loop: Header=BB6_18303 Depth=3
	v_cmp_lt_i16_e32 vcc, -1, v1
	v_mov_b32_e32 v1, 0xff800000
	v_mov_b32_e32 v2, 0x7f800000
	v_cndmask_b32_e32 v1, v1, v2, vcc
	v_cmp_eq_u32_e32 vcc, 0, v3
	v_mov_b32_e32 v2, 0x7f800001
	v_cndmask_b32_e32 v2, v2, v1, vcc
; %bb.18859:                            ;   in Loop: Header=BB6_18303 Depth=3
	s_or_b64 exec, exec, s[36:37]
.LBB6_18860:                            ;   in Loop: Header=BB6_18303 Depth=3
	s_or_b64 exec, exec, s[34:35]
.LBB6_18861:                            ;   in Loop: Header=BB6_18303 Depth=3
	s_or_b64 exec, exec, s[28:29]
	v_mul_f32_e32 v3, v4, v2
	v_and_b32_e32 v5, 0x7f800000, v3
	v_mov_b32_e32 v6, v33
	v_cmp_ne_u64_e32 vcc, s[76:77], v[5:6]
	v_and_b32_e32 v1, 0x7fffff, v3
	v_mov_b32_e32 v2, v33
                                        ; implicit-def: $vgpr5
	buffer_store_dword v5, off, s[0:3], s33 offset:188 ; 4-byte Folded Spill
	s_nop 0
	buffer_store_dword v6, off, s[0:3], s33 offset:192 ; 4-byte Folded Spill
	s_and_saveexec_b64 s[28:29], vcc
	s_xor_b64 s[34:35], exec, s[28:29]
	s_cbranch_execz .LBB6_18879
; %bb.18862:                            ;   in Loop: Header=BB6_18303 Depth=3
	v_and_b32_e32 v5, 0x7fffffff, v3
	v_mov_b32_e32 v6, v33
	v_cmp_gt_u64_e32 vcc, s[78:79], v[5:6]
	v_and_b32_sdwa v5, v3, s97 dst_sel:DWORD dst_unused:UNUSED_PAD src0_sel:BYTE_3 src1_sel:DWORD
                                        ; implicit-def: $vgpr6
	buffer_store_dword v6, off, s[0:3], s33 offset:188 ; 4-byte Folded Spill
	s_nop 0
	buffer_store_dword v7, off, s[0:3], s33 offset:192 ; 4-byte Folded Spill
	s_and_saveexec_b64 s[28:29], vcc
	s_xor_b64 s[36:37], exec, s[28:29]
	s_cbranch_execz .LBB6_18876
; %bb.18863:                            ;   in Loop: Header=BB6_18303 Depth=3
	v_cmp_ne_u32_e32 vcc, 0, v3
	v_mov_b32_e32 v6, 0
	buffer_store_dword v6, off, s[0:3], s33 offset:188 ; 4-byte Folded Spill
	s_nop 0
	buffer_store_dword v7, off, s[0:3], s33 offset:192 ; 4-byte Folded Spill
	s_and_saveexec_b64 s[38:39], vcc
	s_cbranch_execz .LBB6_18875
; %bb.18864:                            ;   in Loop: Header=BB6_18303 Depth=3
	v_bfe_u32 v6, v3, 23, 8
	v_cmp_gt_u32_e64 s[28:29], s47, v6
	v_sub_u32_e32 v3, 0x71, v6
	v_cmp_eq_u32_e32 vcc, 0, v6
	v_cndmask_b32_e64 v3, 0, v3, s[28:29]
	v_mov_b32_e32 v7, 0x70
	v_cndmask_b32_e32 v7, v3, v7, vcc
	v_or_b32_e32 v16, 0x800000, v1
	v_add_u32_e32 v3, 21, v7
	v_cndmask_b32_e32 v1, v16, v1, vcc
	v_lshlrev_b64 v[16:17], v3, -1
	v_add_u32_e32 v3, 20, v7
	v_bfi_b32 v16, v16, 0, v1
	v_lshlrev_b64 v[18:19], v3, 1
	v_lshrrev_b64 v[1:2], v7, v[1:2]
	v_bfi_b32 v17, v17, 0, 0
	v_cmp_eq_u64_e64 s[28:29], v[16:17], v[18:19]
	v_mov_b32_e32 v3, v2
	v_mov_b32_e32 v2, v1
	s_and_saveexec_b64 s[48:49], s[28:29]
; %bb.18865:                            ;   in Loop: Header=BB6_18303 Depth=3
	v_bfe_u32 v2, v1, 21, 1
	v_add_co_u32_e64 v2, s[28:29], v1, v2
	v_add_co_u32_e64 v2, s[28:29], -1, v2
; %bb.18866:                            ;   in Loop: Header=BB6_18303 Depth=3
	s_or_b64 exec, exec, s[48:49]
	v_add_u32_e32 v3, 0xffffff81, v6
	v_mov_b32_e32 v6, 0xffffff82
	v_cndmask_b32_e32 v3, v3, v6, vcc
	v_lshrrev_b32_e32 v6, 23, v1
	v_add3_u32 v7, v7, v3, v6
	v_add_u32_e32 v6, 14, v7
	v_and_b32_e32 v2, 0x1fffff, v2
	v_add_u32_e32 v1, v2, v1
	v_mov_b32_e32 v2, v33
	v_cmp_ne_u32_e32 vcc, 0, v6
                                        ; implicit-def: $vgpr3
	s_and_saveexec_b64 s[28:29], vcc
	s_xor_b64 s[28:29], exec, s[28:29]
; %bb.18867:                            ;   in Loop: Header=BB6_18303 Depth=3
	v_cmp_lt_u64_e32 vcc, s[88:89], v[1:2]
	v_add_u32_e32 v3, 15, v7
	v_cndmask_b32_e32 v3, v6, v3, vcc
	v_cndmask_b32_e64 v6, 0, 1, vcc
	v_lshrrev_b64 v[1:2], v6, v[1:2]
; %bb.18868:                            ;   in Loop: Header=BB6_18303 Depth=3
	s_andn2_saveexec_b64 s[28:29], s[28:29]
; %bb.18869:                            ;   in Loop: Header=BB6_18303 Depth=3
	v_bfe_u32 v3, v1, 23, 1
; %bb.18870:                            ;   in Loop: Header=BB6_18303 Depth=3
	s_or_b64 exec, exec, s[28:29]
	v_lshrrev_b64 v[1:2], 21, v[1:2]
	v_cmp_gt_i32_e32 vcc, 32, v3
	v_cndmask_b32_e32 v2, 0, v2, vcc
	v_cndmask_b32_e32 v1, 3, v1, vcc
	v_cmp_ne_u64_e32 vcc, 0, v[1:2]
	v_cmp_ne_u32_e64 s[28:29], 0, v3
	s_or_b64 s[28:29], s[28:29], vcc
                                        ; implicit-def: $vgpr2
	buffer_store_dword v2, off, s[0:3], s33 offset:188 ; 4-byte Folded Spill
	s_nop 0
	buffer_store_dword v3, off, s[0:3], s33 offset:192 ; 4-byte Folded Spill
	s_and_saveexec_b64 s[62:63], s[28:29]
	s_xor_b64 s[28:29], exec, s[62:63]
	s_cbranch_execz .LBB6_18872
; %bb.18871:                            ;   in Loop: Header=BB6_18303 Depth=3
	v_min_i32_e32 v2, 31, v3
	v_lshl_or_b32 v2, v2, 2, v5
	v_and_or_b32 v1, v1, 3, v2
	buffer_store_dword v1, off, s[0:3], s33 offset:188 ; 4-byte Folded Spill
	s_nop 0
	buffer_store_dword v2, off, s[0:3], s33 offset:192 ; 4-byte Folded Spill
                                        ; implicit-def: $vgpr5
.LBB6_18872:                            ;   in Loop: Header=BB6_18303 Depth=3
	s_andn2_saveexec_b64 s[28:29], s[28:29]
	s_cbranch_execz .LBB6_18874
; %bb.18873:                            ;   in Loop: Header=BB6_18303 Depth=3
	v_mov_b32_e32 v1, v5
	buffer_store_dword v1, off, s[0:3], s33 offset:188 ; 4-byte Folded Spill
	s_nop 0
	buffer_store_dword v2, off, s[0:3], s33 offset:192 ; 4-byte Folded Spill
.LBB6_18874:                            ;   in Loop: Header=BB6_18303 Depth=3
	s_or_b64 exec, exec, s[28:29]
.LBB6_18875:                            ;   in Loop: Header=BB6_18303 Depth=3
	s_or_b64 exec, exec, s[38:39]
                                        ; implicit-def: $vgpr5
.LBB6_18876:                            ;   in Loop: Header=BB6_18303 Depth=3
	s_andn2_saveexec_b64 s[28:29], s[36:37]
	s_cbranch_execz .LBB6_18878
; %bb.18877:                            ;   in Loop: Header=BB6_18303 Depth=3
	v_or_b32_e32 v1, 0x7b, v5
	buffer_store_dword v1, off, s[0:3], s33 offset:188 ; 4-byte Folded Spill
	s_nop 0
	buffer_store_dword v2, off, s[0:3], s33 offset:192 ; 4-byte Folded Spill
.LBB6_18878:                            ;   in Loop: Header=BB6_18303 Depth=3
	s_or_b64 exec, exec, s[28:29]
                                        ; implicit-def: $vgpr3
                                        ; implicit-def: $vgpr1_vgpr2
.LBB6_18879:                            ;   in Loop: Header=BB6_18303 Depth=3
	s_andn2_saveexec_b64 s[28:29], s[34:35]
	s_cbranch_execz .LBB6_18885
; %bb.18880:                            ;   in Loop: Header=BB6_18303 Depth=3
	v_cmp_ne_u64_e32 vcc, 0, v[1:2]
                                        ; implicit-def: $vgpr1
	buffer_store_dword v1, off, s[0:3], s33 offset:188 ; 4-byte Folded Spill
	s_nop 0
	buffer_store_dword v2, off, s[0:3], s33 offset:192 ; 4-byte Folded Spill
	s_and_saveexec_b64 s[62:63], vcc
	s_xor_b64 vcc, exec, s[62:63]
	s_cbranch_execz .LBB6_18882
; %bb.18881:                            ;   in Loop: Header=BB6_18303 Depth=3
	v_or_b32_sdwa v1, v3, s44 dst_sel:DWORD dst_unused:UNUSED_PAD src0_sel:BYTE_3 src1_sel:DWORD
	buffer_store_dword v1, off, s[0:3], s33 offset:188 ; 4-byte Folded Spill
	s_nop 0
	buffer_store_dword v2, off, s[0:3], s33 offset:192 ; 4-byte Folded Spill
                                        ; implicit-def: $vgpr3
.LBB6_18882:                            ;   in Loop: Header=BB6_18303 Depth=3
	s_andn2_saveexec_b64 s[34:35], vcc
	s_cbranch_execz .LBB6_18884
; %bb.18883:                            ;   in Loop: Header=BB6_18303 Depth=3
	v_cmp_lt_i32_e32 vcc, -1, v3
	v_mov_b32_e32 v1, 0x7c
	v_cndmask_b32_e32 v1, -4, v1, vcc
	buffer_store_dword v1, off, s[0:3], s33 offset:188 ; 4-byte Folded Spill
	s_nop 0
	buffer_store_dword v2, off, s[0:3], s33 offset:192 ; 4-byte Folded Spill
.LBB6_18884:                            ;   in Loop: Header=BB6_18303 Depth=3
	s_or_b64 exec, exec, s[34:35]
.LBB6_18885:                            ;   in Loop: Header=BB6_18303 Depth=3
	s_or_b64 exec, exec, s[28:29]
	flat_load_sbyte v1, v[12:13] offset:1152 glc slc
	v_mov_b32_e32 v2, 0
	s_waitcnt vmcnt(0) lgkmcnt(0)
	v_cmp_ne_u16_e32 vcc, 0, v1
	s_and_saveexec_b64 s[28:29], vcc
	s_cbranch_execz .LBB6_18893
; %bb.18886:                            ;   in Loop: Header=BB6_18303 Depth=3
	v_cmp_ne_u16_e32 vcc, s46, v1
	v_bfrev_b32_e32 v2, 1
	s_and_saveexec_b64 s[34:35], vcc
	s_cbranch_execz .LBB6_18892
; %bb.18887:                            ;   in Loop: Header=BB6_18303 Depth=3
	v_and_b32_e32 v2, 0x7c, v1
	v_and_b32_e32 v3, 3, v1
	v_cmp_ne_u32_e32 vcc, s86, v2
                                        ; implicit-def: $vgpr2
	s_and_saveexec_b64 s[62:63], vcc
	s_xor_b64 s[36:37], exec, s[62:63]
	s_cbranch_execz .LBB6_18889
; %bb.18888:                            ;   in Loop: Header=BB6_18303 Depth=3
	v_and_b32_e32 v5, 0xff, v1
	v_bfe_u32 v7, v5, 2, 5
	v_ffbh_u32_e32 v5, v3
	v_min_u32_e32 v16, 32, v5
	v_mov_b32_e32 v2, v33
	v_subrev_u32_e32 v5, 29, v16
	v_lshlrev_b64 v[5:6], v5, v[1:2]
	v_sub_u32_e32 v2, 30, v16
	v_cmp_eq_u32_e32 vcc, 0, v7
	v_and_b32_e32 v5, 3, v5
	v_cndmask_b32_e32 v2, v7, v2, vcc
	v_and_b32_sdwa v1, sext(v1), s87 dst_sel:DWORD dst_unused:UNUSED_PAD src0_sel:WORD_0 src1_sel:DWORD
	v_cndmask_b32_e32 v3, v3, v5, vcc
	v_lshl_add_u32 v1, v2, 23, v1
	v_lshl_or_b32 v1, v3, 21, v1
	v_add_u32_e32 v2, 0x38000000, v1
                                        ; implicit-def: $vgpr3
                                        ; implicit-def: $vgpr1
.LBB6_18889:                            ;   in Loop: Header=BB6_18303 Depth=3
	s_andn2_saveexec_b64 s[36:37], s[36:37]
; %bb.18890:                            ;   in Loop: Header=BB6_18303 Depth=3
	v_cmp_lt_i16_e32 vcc, -1, v1
	v_mov_b32_e32 v1, 0xff800000
	v_mov_b32_e32 v2, 0x7f800000
	v_cndmask_b32_e32 v1, v1, v2, vcc
	v_cmp_eq_u32_e32 vcc, 0, v3
	v_mov_b32_e32 v2, 0x7f800001
	v_cndmask_b32_e32 v2, v2, v1, vcc
; %bb.18891:                            ;   in Loop: Header=BB6_18303 Depth=3
	s_or_b64 exec, exec, s[36:37]
.LBB6_18892:                            ;   in Loop: Header=BB6_18303 Depth=3
	s_or_b64 exec, exec, s[34:35]
.LBB6_18893:                            ;   in Loop: Header=BB6_18303 Depth=3
	s_or_b64 exec, exec, s[28:29]
	v_mul_f32_e32 v3, v4, v2
	v_and_b32_e32 v5, 0x7f800000, v3
	v_mov_b32_e32 v6, v33
	v_cmp_ne_u64_e32 vcc, s[76:77], v[5:6]
	v_and_b32_e32 v1, 0x7fffff, v3
	v_mov_b32_e32 v2, v33
                                        ; implicit-def: $vgpr5
	buffer_store_dword v5, off, s[0:3], s33 offset:180 ; 4-byte Folded Spill
	s_nop 0
	buffer_store_dword v6, off, s[0:3], s33 offset:184 ; 4-byte Folded Spill
	s_and_saveexec_b64 s[28:29], vcc
	s_xor_b64 s[34:35], exec, s[28:29]
	s_cbranch_execz .LBB6_18911
; %bb.18894:                            ;   in Loop: Header=BB6_18303 Depth=3
	v_and_b32_e32 v5, 0x7fffffff, v3
	v_mov_b32_e32 v6, v33
	v_cmp_gt_u64_e32 vcc, s[78:79], v[5:6]
	v_and_b32_sdwa v5, v3, s97 dst_sel:DWORD dst_unused:UNUSED_PAD src0_sel:BYTE_3 src1_sel:DWORD
                                        ; implicit-def: $vgpr6
	buffer_store_dword v6, off, s[0:3], s33 offset:180 ; 4-byte Folded Spill
	s_nop 0
	buffer_store_dword v7, off, s[0:3], s33 offset:184 ; 4-byte Folded Spill
	s_and_saveexec_b64 s[28:29], vcc
	s_xor_b64 s[36:37], exec, s[28:29]
	s_cbranch_execz .LBB6_18908
; %bb.18895:                            ;   in Loop: Header=BB6_18303 Depth=3
	v_cmp_ne_u32_e32 vcc, 0, v3
	v_mov_b32_e32 v6, 0
	buffer_store_dword v6, off, s[0:3], s33 offset:180 ; 4-byte Folded Spill
	s_nop 0
	buffer_store_dword v7, off, s[0:3], s33 offset:184 ; 4-byte Folded Spill
	s_and_saveexec_b64 s[38:39], vcc
	s_cbranch_execz .LBB6_18907
; %bb.18896:                            ;   in Loop: Header=BB6_18303 Depth=3
	v_bfe_u32 v6, v3, 23, 8
	v_cmp_gt_u32_e64 s[28:29], s47, v6
	v_sub_u32_e32 v3, 0x71, v6
	v_cmp_eq_u32_e32 vcc, 0, v6
	v_cndmask_b32_e64 v3, 0, v3, s[28:29]
	v_mov_b32_e32 v7, 0x70
	v_cndmask_b32_e32 v7, v3, v7, vcc
	v_or_b32_e32 v16, 0x800000, v1
	v_add_u32_e32 v3, 21, v7
	v_cndmask_b32_e32 v1, v16, v1, vcc
	v_lshlrev_b64 v[16:17], v3, -1
	v_add_u32_e32 v3, 20, v7
	v_bfi_b32 v16, v16, 0, v1
	v_lshlrev_b64 v[18:19], v3, 1
	v_lshrrev_b64 v[1:2], v7, v[1:2]
	v_bfi_b32 v17, v17, 0, 0
	v_cmp_eq_u64_e64 s[28:29], v[16:17], v[18:19]
	v_mov_b32_e32 v3, v2
	v_mov_b32_e32 v2, v1
	s_and_saveexec_b64 s[48:49], s[28:29]
; %bb.18897:                            ;   in Loop: Header=BB6_18303 Depth=3
	v_bfe_u32 v2, v1, 21, 1
	v_add_co_u32_e64 v2, s[28:29], v1, v2
	v_add_co_u32_e64 v2, s[28:29], -1, v2
; %bb.18898:                            ;   in Loop: Header=BB6_18303 Depth=3
	s_or_b64 exec, exec, s[48:49]
	v_add_u32_e32 v3, 0xffffff81, v6
	v_mov_b32_e32 v6, 0xffffff82
	v_cndmask_b32_e32 v3, v3, v6, vcc
	v_lshrrev_b32_e32 v6, 23, v1
	v_add3_u32 v7, v7, v3, v6
	v_add_u32_e32 v6, 14, v7
	v_and_b32_e32 v2, 0x1fffff, v2
	v_add_u32_e32 v1, v2, v1
	v_mov_b32_e32 v2, v33
	v_cmp_ne_u32_e32 vcc, 0, v6
                                        ; implicit-def: $vgpr3
	s_and_saveexec_b64 s[28:29], vcc
	s_xor_b64 s[28:29], exec, s[28:29]
; %bb.18899:                            ;   in Loop: Header=BB6_18303 Depth=3
	v_cmp_lt_u64_e32 vcc, s[88:89], v[1:2]
	v_add_u32_e32 v3, 15, v7
	v_cndmask_b32_e32 v3, v6, v3, vcc
	v_cndmask_b32_e64 v6, 0, 1, vcc
	v_lshrrev_b64 v[1:2], v6, v[1:2]
; %bb.18900:                            ;   in Loop: Header=BB6_18303 Depth=3
	s_andn2_saveexec_b64 s[28:29], s[28:29]
; %bb.18901:                            ;   in Loop: Header=BB6_18303 Depth=3
	v_bfe_u32 v3, v1, 23, 1
; %bb.18902:                            ;   in Loop: Header=BB6_18303 Depth=3
	s_or_b64 exec, exec, s[28:29]
	v_lshrrev_b64 v[1:2], 21, v[1:2]
	v_cmp_gt_i32_e32 vcc, 32, v3
	v_cndmask_b32_e32 v2, 0, v2, vcc
	v_cndmask_b32_e32 v1, 3, v1, vcc
	v_cmp_ne_u64_e32 vcc, 0, v[1:2]
	v_cmp_ne_u32_e64 s[28:29], 0, v3
	s_or_b64 s[28:29], s[28:29], vcc
                                        ; implicit-def: $vgpr2
	buffer_store_dword v2, off, s[0:3], s33 offset:180 ; 4-byte Folded Spill
	s_nop 0
	buffer_store_dword v3, off, s[0:3], s33 offset:184 ; 4-byte Folded Spill
	s_and_saveexec_b64 s[62:63], s[28:29]
	s_xor_b64 s[28:29], exec, s[62:63]
	s_cbranch_execz .LBB6_18904
; %bb.18903:                            ;   in Loop: Header=BB6_18303 Depth=3
	v_min_i32_e32 v2, 31, v3
	v_lshl_or_b32 v2, v2, 2, v5
	v_and_or_b32 v1, v1, 3, v2
	buffer_store_dword v1, off, s[0:3], s33 offset:180 ; 4-byte Folded Spill
	s_nop 0
	buffer_store_dword v2, off, s[0:3], s33 offset:184 ; 4-byte Folded Spill
                                        ; implicit-def: $vgpr5
.LBB6_18904:                            ;   in Loop: Header=BB6_18303 Depth=3
	s_andn2_saveexec_b64 s[28:29], s[28:29]
	s_cbranch_execz .LBB6_18906
; %bb.18905:                            ;   in Loop: Header=BB6_18303 Depth=3
	v_mov_b32_e32 v1, v5
	buffer_store_dword v1, off, s[0:3], s33 offset:180 ; 4-byte Folded Spill
	s_nop 0
	buffer_store_dword v2, off, s[0:3], s33 offset:184 ; 4-byte Folded Spill
.LBB6_18906:                            ;   in Loop: Header=BB6_18303 Depth=3
	s_or_b64 exec, exec, s[28:29]
.LBB6_18907:                            ;   in Loop: Header=BB6_18303 Depth=3
	s_or_b64 exec, exec, s[38:39]
                                        ; implicit-def: $vgpr5
.LBB6_18908:                            ;   in Loop: Header=BB6_18303 Depth=3
	s_andn2_saveexec_b64 s[28:29], s[36:37]
	s_cbranch_execz .LBB6_18910
; %bb.18909:                            ;   in Loop: Header=BB6_18303 Depth=3
	v_or_b32_e32 v1, 0x7b, v5
	buffer_store_dword v1, off, s[0:3], s33 offset:180 ; 4-byte Folded Spill
	s_nop 0
	buffer_store_dword v2, off, s[0:3], s33 offset:184 ; 4-byte Folded Spill
.LBB6_18910:                            ;   in Loop: Header=BB6_18303 Depth=3
	s_or_b64 exec, exec, s[28:29]
                                        ; implicit-def: $vgpr3
                                        ; implicit-def: $vgpr1_vgpr2
.LBB6_18911:                            ;   in Loop: Header=BB6_18303 Depth=3
	s_andn2_saveexec_b64 s[28:29], s[34:35]
	s_cbranch_execz .LBB6_18917
; %bb.18912:                            ;   in Loop: Header=BB6_18303 Depth=3
	v_cmp_ne_u64_e32 vcc, 0, v[1:2]
                                        ; implicit-def: $vgpr1
	buffer_store_dword v1, off, s[0:3], s33 offset:180 ; 4-byte Folded Spill
	s_nop 0
	buffer_store_dword v2, off, s[0:3], s33 offset:184 ; 4-byte Folded Spill
	s_and_saveexec_b64 s[62:63], vcc
	s_xor_b64 vcc, exec, s[62:63]
	s_cbranch_execz .LBB6_18914
; %bb.18913:                            ;   in Loop: Header=BB6_18303 Depth=3
	v_or_b32_sdwa v1, v3, s44 dst_sel:DWORD dst_unused:UNUSED_PAD src0_sel:BYTE_3 src1_sel:DWORD
	buffer_store_dword v1, off, s[0:3], s33 offset:180 ; 4-byte Folded Spill
	s_nop 0
	buffer_store_dword v2, off, s[0:3], s33 offset:184 ; 4-byte Folded Spill
                                        ; implicit-def: $vgpr3
.LBB6_18914:                            ;   in Loop: Header=BB6_18303 Depth=3
	s_andn2_saveexec_b64 s[34:35], vcc
	s_cbranch_execz .LBB6_18916
; %bb.18915:                            ;   in Loop: Header=BB6_18303 Depth=3
	v_cmp_lt_i32_e32 vcc, -1, v3
	v_mov_b32_e32 v1, 0x7c
	v_cndmask_b32_e32 v1, -4, v1, vcc
	buffer_store_dword v1, off, s[0:3], s33 offset:180 ; 4-byte Folded Spill
	s_nop 0
	buffer_store_dword v2, off, s[0:3], s33 offset:184 ; 4-byte Folded Spill
.LBB6_18916:                            ;   in Loop: Header=BB6_18303 Depth=3
	s_or_b64 exec, exec, s[34:35]
.LBB6_18917:                            ;   in Loop: Header=BB6_18303 Depth=3
	s_or_b64 exec, exec, s[28:29]
	flat_load_sbyte v1, v[12:13] offset:1216 glc slc
	v_mov_b32_e32 v2, 0
	s_waitcnt vmcnt(0) lgkmcnt(0)
	v_cmp_ne_u16_e32 vcc, 0, v1
	s_and_saveexec_b64 s[28:29], vcc
	s_cbranch_execz .LBB6_18925
; %bb.18918:                            ;   in Loop: Header=BB6_18303 Depth=3
	v_cmp_ne_u16_e32 vcc, s46, v1
	v_bfrev_b32_e32 v2, 1
	s_and_saveexec_b64 s[34:35], vcc
	s_cbranch_execz .LBB6_18924
; %bb.18919:                            ;   in Loop: Header=BB6_18303 Depth=3
	v_and_b32_e32 v2, 0x7c, v1
	v_and_b32_e32 v3, 3, v1
	v_cmp_ne_u32_e32 vcc, s86, v2
                                        ; implicit-def: $vgpr2
	s_and_saveexec_b64 s[62:63], vcc
	s_xor_b64 s[36:37], exec, s[62:63]
	s_cbranch_execz .LBB6_18921
; %bb.18920:                            ;   in Loop: Header=BB6_18303 Depth=3
	v_and_b32_e32 v5, 0xff, v1
	v_bfe_u32 v7, v5, 2, 5
	v_ffbh_u32_e32 v5, v3
	v_min_u32_e32 v16, 32, v5
	v_mov_b32_e32 v2, v33
	v_subrev_u32_e32 v5, 29, v16
	v_lshlrev_b64 v[5:6], v5, v[1:2]
	v_sub_u32_e32 v2, 30, v16
	v_cmp_eq_u32_e32 vcc, 0, v7
	v_and_b32_e32 v5, 3, v5
	v_cndmask_b32_e32 v2, v7, v2, vcc
	v_and_b32_sdwa v1, sext(v1), s87 dst_sel:DWORD dst_unused:UNUSED_PAD src0_sel:WORD_0 src1_sel:DWORD
	v_cndmask_b32_e32 v3, v3, v5, vcc
	v_lshl_add_u32 v1, v2, 23, v1
	v_lshl_or_b32 v1, v3, 21, v1
	v_add_u32_e32 v2, 0x38000000, v1
                                        ; implicit-def: $vgpr3
                                        ; implicit-def: $vgpr1
.LBB6_18921:                            ;   in Loop: Header=BB6_18303 Depth=3
	s_andn2_saveexec_b64 s[36:37], s[36:37]
; %bb.18922:                            ;   in Loop: Header=BB6_18303 Depth=3
	v_cmp_lt_i16_e32 vcc, -1, v1
	v_mov_b32_e32 v1, 0xff800000
	v_mov_b32_e32 v2, 0x7f800000
	v_cndmask_b32_e32 v1, v1, v2, vcc
	v_cmp_eq_u32_e32 vcc, 0, v3
	v_mov_b32_e32 v2, 0x7f800001
	v_cndmask_b32_e32 v2, v2, v1, vcc
; %bb.18923:                            ;   in Loop: Header=BB6_18303 Depth=3
	s_or_b64 exec, exec, s[36:37]
.LBB6_18924:                            ;   in Loop: Header=BB6_18303 Depth=3
	s_or_b64 exec, exec, s[34:35]
.LBB6_18925:                            ;   in Loop: Header=BB6_18303 Depth=3
	s_or_b64 exec, exec, s[28:29]
	v_mul_f32_e32 v3, v4, v2
	v_and_b32_e32 v5, 0x7f800000, v3
	v_mov_b32_e32 v6, v33
	v_cmp_ne_u64_e32 vcc, s[76:77], v[5:6]
	v_and_b32_e32 v1, 0x7fffff, v3
	v_mov_b32_e32 v2, v33
                                        ; implicit-def: $vgpr5
	buffer_store_dword v5, off, s[0:3], s33 offset:172 ; 4-byte Folded Spill
	s_nop 0
	buffer_store_dword v6, off, s[0:3], s33 offset:176 ; 4-byte Folded Spill
	s_and_saveexec_b64 s[28:29], vcc
	s_xor_b64 s[34:35], exec, s[28:29]
	s_cbranch_execz .LBB6_18943
; %bb.18926:                            ;   in Loop: Header=BB6_18303 Depth=3
	v_and_b32_e32 v5, 0x7fffffff, v3
	v_mov_b32_e32 v6, v33
	v_cmp_gt_u64_e32 vcc, s[78:79], v[5:6]
	v_and_b32_sdwa v5, v3, s97 dst_sel:DWORD dst_unused:UNUSED_PAD src0_sel:BYTE_3 src1_sel:DWORD
                                        ; implicit-def: $vgpr6
	buffer_store_dword v6, off, s[0:3], s33 offset:172 ; 4-byte Folded Spill
	s_nop 0
	buffer_store_dword v7, off, s[0:3], s33 offset:176 ; 4-byte Folded Spill
	s_and_saveexec_b64 s[28:29], vcc
	s_xor_b64 s[36:37], exec, s[28:29]
	s_cbranch_execz .LBB6_18940
; %bb.18927:                            ;   in Loop: Header=BB6_18303 Depth=3
	v_cmp_ne_u32_e32 vcc, 0, v3
	v_mov_b32_e32 v6, 0
	buffer_store_dword v6, off, s[0:3], s33 offset:172 ; 4-byte Folded Spill
	s_nop 0
	buffer_store_dword v7, off, s[0:3], s33 offset:176 ; 4-byte Folded Spill
	s_and_saveexec_b64 s[38:39], vcc
	s_cbranch_execz .LBB6_18939
; %bb.18928:                            ;   in Loop: Header=BB6_18303 Depth=3
	v_bfe_u32 v6, v3, 23, 8
	v_cmp_gt_u32_e64 s[28:29], s47, v6
	v_sub_u32_e32 v3, 0x71, v6
	v_cmp_eq_u32_e32 vcc, 0, v6
	v_cndmask_b32_e64 v3, 0, v3, s[28:29]
	v_mov_b32_e32 v7, 0x70
	v_cndmask_b32_e32 v7, v3, v7, vcc
	v_or_b32_e32 v16, 0x800000, v1
	v_add_u32_e32 v3, 21, v7
	v_cndmask_b32_e32 v1, v16, v1, vcc
	v_lshlrev_b64 v[16:17], v3, -1
	v_add_u32_e32 v3, 20, v7
	v_bfi_b32 v16, v16, 0, v1
	v_lshlrev_b64 v[18:19], v3, 1
	v_lshrrev_b64 v[1:2], v7, v[1:2]
	v_bfi_b32 v17, v17, 0, 0
	v_cmp_eq_u64_e64 s[28:29], v[16:17], v[18:19]
	v_mov_b32_e32 v3, v2
	v_mov_b32_e32 v2, v1
	s_and_saveexec_b64 s[48:49], s[28:29]
; %bb.18929:                            ;   in Loop: Header=BB6_18303 Depth=3
	v_bfe_u32 v2, v1, 21, 1
	v_add_co_u32_e64 v2, s[28:29], v1, v2
	v_add_co_u32_e64 v2, s[28:29], -1, v2
; %bb.18930:                            ;   in Loop: Header=BB6_18303 Depth=3
	s_or_b64 exec, exec, s[48:49]
	v_add_u32_e32 v3, 0xffffff81, v6
	v_mov_b32_e32 v6, 0xffffff82
	v_cndmask_b32_e32 v3, v3, v6, vcc
	v_lshrrev_b32_e32 v6, 23, v1
	v_add3_u32 v7, v7, v3, v6
	v_add_u32_e32 v6, 14, v7
	v_and_b32_e32 v2, 0x1fffff, v2
	v_add_u32_e32 v1, v2, v1
	v_mov_b32_e32 v2, v33
	v_cmp_ne_u32_e32 vcc, 0, v6
                                        ; implicit-def: $vgpr3
	s_and_saveexec_b64 s[28:29], vcc
	s_xor_b64 s[28:29], exec, s[28:29]
; %bb.18931:                            ;   in Loop: Header=BB6_18303 Depth=3
	v_cmp_lt_u64_e32 vcc, s[88:89], v[1:2]
	v_add_u32_e32 v3, 15, v7
	v_cndmask_b32_e32 v3, v6, v3, vcc
	v_cndmask_b32_e64 v6, 0, 1, vcc
	v_lshrrev_b64 v[1:2], v6, v[1:2]
; %bb.18932:                            ;   in Loop: Header=BB6_18303 Depth=3
	s_andn2_saveexec_b64 s[28:29], s[28:29]
; %bb.18933:                            ;   in Loop: Header=BB6_18303 Depth=3
	v_bfe_u32 v3, v1, 23, 1
; %bb.18934:                            ;   in Loop: Header=BB6_18303 Depth=3
	s_or_b64 exec, exec, s[28:29]
	v_lshrrev_b64 v[1:2], 21, v[1:2]
	v_cmp_gt_i32_e32 vcc, 32, v3
	v_cndmask_b32_e32 v2, 0, v2, vcc
	v_cndmask_b32_e32 v1, 3, v1, vcc
	v_cmp_ne_u64_e32 vcc, 0, v[1:2]
	v_cmp_ne_u32_e64 s[28:29], 0, v3
	s_or_b64 s[28:29], s[28:29], vcc
                                        ; implicit-def: $vgpr2
	buffer_store_dword v2, off, s[0:3], s33 offset:172 ; 4-byte Folded Spill
	s_nop 0
	buffer_store_dword v3, off, s[0:3], s33 offset:176 ; 4-byte Folded Spill
	s_and_saveexec_b64 s[62:63], s[28:29]
	s_xor_b64 s[28:29], exec, s[62:63]
	s_cbranch_execz .LBB6_18936
; %bb.18935:                            ;   in Loop: Header=BB6_18303 Depth=3
	v_min_i32_e32 v2, 31, v3
	v_lshl_or_b32 v2, v2, 2, v5
	v_and_or_b32 v1, v1, 3, v2
	buffer_store_dword v1, off, s[0:3], s33 offset:172 ; 4-byte Folded Spill
	s_nop 0
	buffer_store_dword v2, off, s[0:3], s33 offset:176 ; 4-byte Folded Spill
                                        ; implicit-def: $vgpr5
.LBB6_18936:                            ;   in Loop: Header=BB6_18303 Depth=3
	s_andn2_saveexec_b64 s[28:29], s[28:29]
	s_cbranch_execz .LBB6_18938
; %bb.18937:                            ;   in Loop: Header=BB6_18303 Depth=3
	v_mov_b32_e32 v1, v5
	buffer_store_dword v1, off, s[0:3], s33 offset:172 ; 4-byte Folded Spill
	s_nop 0
	buffer_store_dword v2, off, s[0:3], s33 offset:176 ; 4-byte Folded Spill
.LBB6_18938:                            ;   in Loop: Header=BB6_18303 Depth=3
	s_or_b64 exec, exec, s[28:29]
.LBB6_18939:                            ;   in Loop: Header=BB6_18303 Depth=3
	s_or_b64 exec, exec, s[38:39]
                                        ; implicit-def: $vgpr5
.LBB6_18940:                            ;   in Loop: Header=BB6_18303 Depth=3
	s_andn2_saveexec_b64 s[28:29], s[36:37]
	s_cbranch_execz .LBB6_18942
; %bb.18941:                            ;   in Loop: Header=BB6_18303 Depth=3
	v_or_b32_e32 v1, 0x7b, v5
	buffer_store_dword v1, off, s[0:3], s33 offset:172 ; 4-byte Folded Spill
	s_nop 0
	buffer_store_dword v2, off, s[0:3], s33 offset:176 ; 4-byte Folded Spill
.LBB6_18942:                            ;   in Loop: Header=BB6_18303 Depth=3
	s_or_b64 exec, exec, s[28:29]
                                        ; implicit-def: $vgpr3
                                        ; implicit-def: $vgpr1_vgpr2
.LBB6_18943:                            ;   in Loop: Header=BB6_18303 Depth=3
	s_andn2_saveexec_b64 s[28:29], s[34:35]
	s_cbranch_execz .LBB6_18949
; %bb.18944:                            ;   in Loop: Header=BB6_18303 Depth=3
	v_cmp_ne_u64_e32 vcc, 0, v[1:2]
                                        ; implicit-def: $vgpr1
	buffer_store_dword v1, off, s[0:3], s33 offset:172 ; 4-byte Folded Spill
	s_nop 0
	buffer_store_dword v2, off, s[0:3], s33 offset:176 ; 4-byte Folded Spill
	s_and_saveexec_b64 s[62:63], vcc
	s_xor_b64 vcc, exec, s[62:63]
	s_cbranch_execz .LBB6_18946
; %bb.18945:                            ;   in Loop: Header=BB6_18303 Depth=3
	v_or_b32_sdwa v1, v3, s44 dst_sel:DWORD dst_unused:UNUSED_PAD src0_sel:BYTE_3 src1_sel:DWORD
	buffer_store_dword v1, off, s[0:3], s33 offset:172 ; 4-byte Folded Spill
	s_nop 0
	buffer_store_dword v2, off, s[0:3], s33 offset:176 ; 4-byte Folded Spill
                                        ; implicit-def: $vgpr3
.LBB6_18946:                            ;   in Loop: Header=BB6_18303 Depth=3
	s_andn2_saveexec_b64 s[34:35], vcc
	s_cbranch_execz .LBB6_18948
; %bb.18947:                            ;   in Loop: Header=BB6_18303 Depth=3
	v_cmp_lt_i32_e32 vcc, -1, v3
	v_mov_b32_e32 v1, 0x7c
	v_cndmask_b32_e32 v1, -4, v1, vcc
	buffer_store_dword v1, off, s[0:3], s33 offset:172 ; 4-byte Folded Spill
	s_nop 0
	buffer_store_dword v2, off, s[0:3], s33 offset:176 ; 4-byte Folded Spill
.LBB6_18948:                            ;   in Loop: Header=BB6_18303 Depth=3
	s_or_b64 exec, exec, s[34:35]
.LBB6_18949:                            ;   in Loop: Header=BB6_18303 Depth=3
	s_or_b64 exec, exec, s[28:29]
	flat_load_sbyte v1, v[12:13] offset:1280 glc slc
	v_mov_b32_e32 v2, 0
	s_waitcnt vmcnt(0) lgkmcnt(0)
	v_cmp_ne_u16_e32 vcc, 0, v1
	s_and_saveexec_b64 s[28:29], vcc
	s_cbranch_execz .LBB6_18957
; %bb.18950:                            ;   in Loop: Header=BB6_18303 Depth=3
	v_cmp_ne_u16_e32 vcc, s46, v1
	v_bfrev_b32_e32 v2, 1
	s_and_saveexec_b64 s[34:35], vcc
	s_cbranch_execz .LBB6_18956
; %bb.18951:                            ;   in Loop: Header=BB6_18303 Depth=3
	v_and_b32_e32 v2, 0x7c, v1
	v_and_b32_e32 v3, 3, v1
	v_cmp_ne_u32_e32 vcc, s86, v2
                                        ; implicit-def: $vgpr2
	s_and_saveexec_b64 s[62:63], vcc
	s_xor_b64 s[36:37], exec, s[62:63]
	s_cbranch_execz .LBB6_18953
; %bb.18952:                            ;   in Loop: Header=BB6_18303 Depth=3
	v_and_b32_e32 v5, 0xff, v1
	v_bfe_u32 v7, v5, 2, 5
	v_ffbh_u32_e32 v5, v3
	v_min_u32_e32 v16, 32, v5
	v_mov_b32_e32 v2, v33
	v_subrev_u32_e32 v5, 29, v16
	v_lshlrev_b64 v[5:6], v5, v[1:2]
	v_sub_u32_e32 v2, 30, v16
	v_cmp_eq_u32_e32 vcc, 0, v7
	v_and_b32_e32 v5, 3, v5
	v_cndmask_b32_e32 v2, v7, v2, vcc
	v_and_b32_sdwa v1, sext(v1), s87 dst_sel:DWORD dst_unused:UNUSED_PAD src0_sel:WORD_0 src1_sel:DWORD
	v_cndmask_b32_e32 v3, v3, v5, vcc
	v_lshl_add_u32 v1, v2, 23, v1
	v_lshl_or_b32 v1, v3, 21, v1
	v_add_u32_e32 v2, 0x38000000, v1
                                        ; implicit-def: $vgpr3
                                        ; implicit-def: $vgpr1
.LBB6_18953:                            ;   in Loop: Header=BB6_18303 Depth=3
	s_andn2_saveexec_b64 s[36:37], s[36:37]
; %bb.18954:                            ;   in Loop: Header=BB6_18303 Depth=3
	v_cmp_lt_i16_e32 vcc, -1, v1
	v_mov_b32_e32 v1, 0xff800000
	v_mov_b32_e32 v2, 0x7f800000
	v_cndmask_b32_e32 v1, v1, v2, vcc
	v_cmp_eq_u32_e32 vcc, 0, v3
	v_mov_b32_e32 v2, 0x7f800001
	v_cndmask_b32_e32 v2, v2, v1, vcc
; %bb.18955:                            ;   in Loop: Header=BB6_18303 Depth=3
	s_or_b64 exec, exec, s[36:37]
.LBB6_18956:                            ;   in Loop: Header=BB6_18303 Depth=3
	s_or_b64 exec, exec, s[34:35]
.LBB6_18957:                            ;   in Loop: Header=BB6_18303 Depth=3
	s_or_b64 exec, exec, s[28:29]
	v_mul_f32_e32 v3, v4, v2
	v_and_b32_e32 v5, 0x7f800000, v3
	v_mov_b32_e32 v6, v33
	v_cmp_ne_u64_e32 vcc, s[76:77], v[5:6]
	v_and_b32_e32 v1, 0x7fffff, v3
	v_mov_b32_e32 v2, v33
                                        ; implicit-def: $vgpr5
	buffer_store_dword v5, off, s[0:3], s33 offset:164 ; 4-byte Folded Spill
	s_nop 0
	buffer_store_dword v6, off, s[0:3], s33 offset:168 ; 4-byte Folded Spill
	s_and_saveexec_b64 s[28:29], vcc
	s_xor_b64 s[34:35], exec, s[28:29]
	s_cbranch_execz .LBB6_18975
; %bb.18958:                            ;   in Loop: Header=BB6_18303 Depth=3
	v_and_b32_e32 v5, 0x7fffffff, v3
	v_mov_b32_e32 v6, v33
	v_cmp_gt_u64_e32 vcc, s[78:79], v[5:6]
	v_and_b32_sdwa v5, v3, s97 dst_sel:DWORD dst_unused:UNUSED_PAD src0_sel:BYTE_3 src1_sel:DWORD
                                        ; implicit-def: $vgpr6
	buffer_store_dword v6, off, s[0:3], s33 offset:164 ; 4-byte Folded Spill
	s_nop 0
	buffer_store_dword v7, off, s[0:3], s33 offset:168 ; 4-byte Folded Spill
	s_and_saveexec_b64 s[28:29], vcc
	s_xor_b64 s[36:37], exec, s[28:29]
	s_cbranch_execz .LBB6_18972
; %bb.18959:                            ;   in Loop: Header=BB6_18303 Depth=3
	v_cmp_ne_u32_e32 vcc, 0, v3
	v_mov_b32_e32 v6, 0
	buffer_store_dword v6, off, s[0:3], s33 offset:164 ; 4-byte Folded Spill
	s_nop 0
	buffer_store_dword v7, off, s[0:3], s33 offset:168 ; 4-byte Folded Spill
	s_and_saveexec_b64 s[38:39], vcc
	s_cbranch_execz .LBB6_18971
; %bb.18960:                            ;   in Loop: Header=BB6_18303 Depth=3
	v_bfe_u32 v6, v3, 23, 8
	v_cmp_gt_u32_e64 s[28:29], s47, v6
	v_sub_u32_e32 v3, 0x71, v6
	v_cmp_eq_u32_e32 vcc, 0, v6
	v_cndmask_b32_e64 v3, 0, v3, s[28:29]
	v_mov_b32_e32 v7, 0x70
	v_cndmask_b32_e32 v7, v3, v7, vcc
	v_or_b32_e32 v16, 0x800000, v1
	v_add_u32_e32 v3, 21, v7
	v_cndmask_b32_e32 v1, v16, v1, vcc
	v_lshlrev_b64 v[16:17], v3, -1
	v_add_u32_e32 v3, 20, v7
	v_bfi_b32 v16, v16, 0, v1
	v_lshlrev_b64 v[18:19], v3, 1
	v_lshrrev_b64 v[1:2], v7, v[1:2]
	v_bfi_b32 v17, v17, 0, 0
	v_cmp_eq_u64_e64 s[28:29], v[16:17], v[18:19]
	v_mov_b32_e32 v3, v2
	v_mov_b32_e32 v2, v1
	s_and_saveexec_b64 s[48:49], s[28:29]
; %bb.18961:                            ;   in Loop: Header=BB6_18303 Depth=3
	v_bfe_u32 v2, v1, 21, 1
	v_add_co_u32_e64 v2, s[28:29], v1, v2
	v_add_co_u32_e64 v2, s[28:29], -1, v2
; %bb.18962:                            ;   in Loop: Header=BB6_18303 Depth=3
	s_or_b64 exec, exec, s[48:49]
	v_add_u32_e32 v3, 0xffffff81, v6
	v_mov_b32_e32 v6, 0xffffff82
	v_cndmask_b32_e32 v3, v3, v6, vcc
	v_lshrrev_b32_e32 v6, 23, v1
	v_add3_u32 v7, v7, v3, v6
	v_add_u32_e32 v6, 14, v7
	v_and_b32_e32 v2, 0x1fffff, v2
	v_add_u32_e32 v1, v2, v1
	v_mov_b32_e32 v2, v33
	v_cmp_ne_u32_e32 vcc, 0, v6
                                        ; implicit-def: $vgpr3
	s_and_saveexec_b64 s[28:29], vcc
	s_xor_b64 s[28:29], exec, s[28:29]
; %bb.18963:                            ;   in Loop: Header=BB6_18303 Depth=3
	v_cmp_lt_u64_e32 vcc, s[88:89], v[1:2]
	v_add_u32_e32 v3, 15, v7
	v_cndmask_b32_e32 v3, v6, v3, vcc
	v_cndmask_b32_e64 v6, 0, 1, vcc
	v_lshrrev_b64 v[1:2], v6, v[1:2]
; %bb.18964:                            ;   in Loop: Header=BB6_18303 Depth=3
	s_andn2_saveexec_b64 s[28:29], s[28:29]
; %bb.18965:                            ;   in Loop: Header=BB6_18303 Depth=3
	v_bfe_u32 v3, v1, 23, 1
; %bb.18966:                            ;   in Loop: Header=BB6_18303 Depth=3
	s_or_b64 exec, exec, s[28:29]
	v_lshrrev_b64 v[1:2], 21, v[1:2]
	v_cmp_gt_i32_e32 vcc, 32, v3
	v_cndmask_b32_e32 v2, 0, v2, vcc
	v_cndmask_b32_e32 v1, 3, v1, vcc
	v_cmp_ne_u64_e32 vcc, 0, v[1:2]
	v_cmp_ne_u32_e64 s[28:29], 0, v3
	s_or_b64 s[28:29], s[28:29], vcc
                                        ; implicit-def: $vgpr2
	buffer_store_dword v2, off, s[0:3], s33 offset:164 ; 4-byte Folded Spill
	s_nop 0
	buffer_store_dword v3, off, s[0:3], s33 offset:168 ; 4-byte Folded Spill
	s_and_saveexec_b64 s[62:63], s[28:29]
	s_xor_b64 s[28:29], exec, s[62:63]
	s_cbranch_execz .LBB6_18968
; %bb.18967:                            ;   in Loop: Header=BB6_18303 Depth=3
	v_min_i32_e32 v2, 31, v3
	v_lshl_or_b32 v2, v2, 2, v5
	v_and_or_b32 v1, v1, 3, v2
	buffer_store_dword v1, off, s[0:3], s33 offset:164 ; 4-byte Folded Spill
	s_nop 0
	buffer_store_dword v2, off, s[0:3], s33 offset:168 ; 4-byte Folded Spill
                                        ; implicit-def: $vgpr5
.LBB6_18968:                            ;   in Loop: Header=BB6_18303 Depth=3
	s_andn2_saveexec_b64 s[28:29], s[28:29]
	s_cbranch_execz .LBB6_18970
; %bb.18969:                            ;   in Loop: Header=BB6_18303 Depth=3
	v_mov_b32_e32 v1, v5
	buffer_store_dword v1, off, s[0:3], s33 offset:164 ; 4-byte Folded Spill
	s_nop 0
	buffer_store_dword v2, off, s[0:3], s33 offset:168 ; 4-byte Folded Spill
.LBB6_18970:                            ;   in Loop: Header=BB6_18303 Depth=3
	s_or_b64 exec, exec, s[28:29]
.LBB6_18971:                            ;   in Loop: Header=BB6_18303 Depth=3
	s_or_b64 exec, exec, s[38:39]
                                        ; implicit-def: $vgpr5
.LBB6_18972:                            ;   in Loop: Header=BB6_18303 Depth=3
	s_andn2_saveexec_b64 s[28:29], s[36:37]
	s_cbranch_execz .LBB6_18974
; %bb.18973:                            ;   in Loop: Header=BB6_18303 Depth=3
	v_or_b32_e32 v1, 0x7b, v5
	buffer_store_dword v1, off, s[0:3], s33 offset:164 ; 4-byte Folded Spill
	s_nop 0
	buffer_store_dword v2, off, s[0:3], s33 offset:168 ; 4-byte Folded Spill
.LBB6_18974:                            ;   in Loop: Header=BB6_18303 Depth=3
	s_or_b64 exec, exec, s[28:29]
                                        ; implicit-def: $vgpr3
                                        ; implicit-def: $vgpr1_vgpr2
.LBB6_18975:                            ;   in Loop: Header=BB6_18303 Depth=3
	s_andn2_saveexec_b64 s[28:29], s[34:35]
	s_cbranch_execz .LBB6_18981
; %bb.18976:                            ;   in Loop: Header=BB6_18303 Depth=3
	v_cmp_ne_u64_e32 vcc, 0, v[1:2]
                                        ; implicit-def: $vgpr1
	buffer_store_dword v1, off, s[0:3], s33 offset:164 ; 4-byte Folded Spill
	s_nop 0
	buffer_store_dword v2, off, s[0:3], s33 offset:168 ; 4-byte Folded Spill
	s_and_saveexec_b64 s[62:63], vcc
	s_xor_b64 vcc, exec, s[62:63]
	s_cbranch_execz .LBB6_18978
; %bb.18977:                            ;   in Loop: Header=BB6_18303 Depth=3
	v_or_b32_sdwa v1, v3, s44 dst_sel:DWORD dst_unused:UNUSED_PAD src0_sel:BYTE_3 src1_sel:DWORD
	buffer_store_dword v1, off, s[0:3], s33 offset:164 ; 4-byte Folded Spill
	s_nop 0
	buffer_store_dword v2, off, s[0:3], s33 offset:168 ; 4-byte Folded Spill
                                        ; implicit-def: $vgpr3
.LBB6_18978:                            ;   in Loop: Header=BB6_18303 Depth=3
	s_andn2_saveexec_b64 s[34:35], vcc
	s_cbranch_execz .LBB6_18980
; %bb.18979:                            ;   in Loop: Header=BB6_18303 Depth=3
	v_cmp_lt_i32_e32 vcc, -1, v3
	v_mov_b32_e32 v1, 0x7c
	v_cndmask_b32_e32 v1, -4, v1, vcc
	buffer_store_dword v1, off, s[0:3], s33 offset:164 ; 4-byte Folded Spill
	s_nop 0
	buffer_store_dword v2, off, s[0:3], s33 offset:168 ; 4-byte Folded Spill
.LBB6_18980:                            ;   in Loop: Header=BB6_18303 Depth=3
	s_or_b64 exec, exec, s[34:35]
.LBB6_18981:                            ;   in Loop: Header=BB6_18303 Depth=3
	s_or_b64 exec, exec, s[28:29]
	flat_load_sbyte v1, v[12:13] offset:1344 glc slc
	v_mov_b32_e32 v2, 0
	s_waitcnt vmcnt(0) lgkmcnt(0)
	v_cmp_ne_u16_e32 vcc, 0, v1
	s_and_saveexec_b64 s[28:29], vcc
	s_cbranch_execz .LBB6_18989
; %bb.18982:                            ;   in Loop: Header=BB6_18303 Depth=3
	v_cmp_ne_u16_e32 vcc, s46, v1
	v_bfrev_b32_e32 v2, 1
	s_and_saveexec_b64 s[34:35], vcc
	s_cbranch_execz .LBB6_18988
; %bb.18983:                            ;   in Loop: Header=BB6_18303 Depth=3
	v_and_b32_e32 v2, 0x7c, v1
	v_and_b32_e32 v3, 3, v1
	v_cmp_ne_u32_e32 vcc, s86, v2
                                        ; implicit-def: $vgpr2
	s_and_saveexec_b64 s[62:63], vcc
	s_xor_b64 s[36:37], exec, s[62:63]
	s_cbranch_execz .LBB6_18985
; %bb.18984:                            ;   in Loop: Header=BB6_18303 Depth=3
	v_and_b32_e32 v5, 0xff, v1
	v_bfe_u32 v7, v5, 2, 5
	v_ffbh_u32_e32 v5, v3
	v_min_u32_e32 v16, 32, v5
	v_mov_b32_e32 v2, v33
	v_subrev_u32_e32 v5, 29, v16
	v_lshlrev_b64 v[5:6], v5, v[1:2]
	v_sub_u32_e32 v2, 30, v16
	v_cmp_eq_u32_e32 vcc, 0, v7
	v_and_b32_e32 v5, 3, v5
	v_cndmask_b32_e32 v2, v7, v2, vcc
	v_and_b32_sdwa v1, sext(v1), s87 dst_sel:DWORD dst_unused:UNUSED_PAD src0_sel:WORD_0 src1_sel:DWORD
	v_cndmask_b32_e32 v3, v3, v5, vcc
	v_lshl_add_u32 v1, v2, 23, v1
	v_lshl_or_b32 v1, v3, 21, v1
	v_add_u32_e32 v2, 0x38000000, v1
                                        ; implicit-def: $vgpr3
                                        ; implicit-def: $vgpr1
.LBB6_18985:                            ;   in Loop: Header=BB6_18303 Depth=3
	s_andn2_saveexec_b64 s[36:37], s[36:37]
; %bb.18986:                            ;   in Loop: Header=BB6_18303 Depth=3
	v_cmp_lt_i16_e32 vcc, -1, v1
	v_mov_b32_e32 v1, 0xff800000
	v_mov_b32_e32 v2, 0x7f800000
	v_cndmask_b32_e32 v1, v1, v2, vcc
	v_cmp_eq_u32_e32 vcc, 0, v3
	v_mov_b32_e32 v2, 0x7f800001
	v_cndmask_b32_e32 v2, v2, v1, vcc
; %bb.18987:                            ;   in Loop: Header=BB6_18303 Depth=3
	s_or_b64 exec, exec, s[36:37]
.LBB6_18988:                            ;   in Loop: Header=BB6_18303 Depth=3
	s_or_b64 exec, exec, s[34:35]
.LBB6_18989:                            ;   in Loop: Header=BB6_18303 Depth=3
	s_or_b64 exec, exec, s[28:29]
	v_mul_f32_e32 v3, v4, v2
	v_and_b32_e32 v5, 0x7f800000, v3
	v_mov_b32_e32 v6, v33
	v_cmp_ne_u64_e32 vcc, s[76:77], v[5:6]
	v_and_b32_e32 v1, 0x7fffff, v3
	v_mov_b32_e32 v2, v33
                                        ; implicit-def: $vgpr5
	buffer_store_dword v5, off, s[0:3], s33 offset:156 ; 4-byte Folded Spill
	s_nop 0
	buffer_store_dword v6, off, s[0:3], s33 offset:160 ; 4-byte Folded Spill
	s_and_saveexec_b64 s[28:29], vcc
	s_xor_b64 s[34:35], exec, s[28:29]
	s_cbranch_execz .LBB6_19007
; %bb.18990:                            ;   in Loop: Header=BB6_18303 Depth=3
	v_and_b32_e32 v5, 0x7fffffff, v3
	v_mov_b32_e32 v6, v33
	v_cmp_gt_u64_e32 vcc, s[78:79], v[5:6]
	v_and_b32_sdwa v5, v3, s97 dst_sel:DWORD dst_unused:UNUSED_PAD src0_sel:BYTE_3 src1_sel:DWORD
                                        ; implicit-def: $vgpr6
	buffer_store_dword v6, off, s[0:3], s33 offset:156 ; 4-byte Folded Spill
	s_nop 0
	buffer_store_dword v7, off, s[0:3], s33 offset:160 ; 4-byte Folded Spill
	s_and_saveexec_b64 s[28:29], vcc
	s_xor_b64 s[36:37], exec, s[28:29]
	s_cbranch_execz .LBB6_19004
; %bb.18991:                            ;   in Loop: Header=BB6_18303 Depth=3
	v_cmp_ne_u32_e32 vcc, 0, v3
	v_mov_b32_e32 v6, 0
	buffer_store_dword v6, off, s[0:3], s33 offset:156 ; 4-byte Folded Spill
	s_nop 0
	buffer_store_dword v7, off, s[0:3], s33 offset:160 ; 4-byte Folded Spill
	s_and_saveexec_b64 s[38:39], vcc
	s_cbranch_execz .LBB6_19003
; %bb.18992:                            ;   in Loop: Header=BB6_18303 Depth=3
	v_bfe_u32 v6, v3, 23, 8
	v_cmp_gt_u32_e64 s[28:29], s47, v6
	v_sub_u32_e32 v3, 0x71, v6
	v_cmp_eq_u32_e32 vcc, 0, v6
	v_cndmask_b32_e64 v3, 0, v3, s[28:29]
	v_mov_b32_e32 v7, 0x70
	v_cndmask_b32_e32 v7, v3, v7, vcc
	v_or_b32_e32 v16, 0x800000, v1
	v_add_u32_e32 v3, 21, v7
	v_cndmask_b32_e32 v1, v16, v1, vcc
	v_lshlrev_b64 v[16:17], v3, -1
	v_add_u32_e32 v3, 20, v7
	v_bfi_b32 v16, v16, 0, v1
	v_lshlrev_b64 v[18:19], v3, 1
	v_lshrrev_b64 v[1:2], v7, v[1:2]
	v_bfi_b32 v17, v17, 0, 0
	v_cmp_eq_u64_e64 s[28:29], v[16:17], v[18:19]
	v_mov_b32_e32 v3, v2
	v_mov_b32_e32 v2, v1
	s_and_saveexec_b64 s[48:49], s[28:29]
; %bb.18993:                            ;   in Loop: Header=BB6_18303 Depth=3
	v_bfe_u32 v2, v1, 21, 1
	v_add_co_u32_e64 v2, s[28:29], v1, v2
	v_add_co_u32_e64 v2, s[28:29], -1, v2
; %bb.18994:                            ;   in Loop: Header=BB6_18303 Depth=3
	s_or_b64 exec, exec, s[48:49]
	v_add_u32_e32 v3, 0xffffff81, v6
	v_mov_b32_e32 v6, 0xffffff82
	v_cndmask_b32_e32 v3, v3, v6, vcc
	v_lshrrev_b32_e32 v6, 23, v1
	v_add3_u32 v7, v7, v3, v6
	v_add_u32_e32 v6, 14, v7
	v_and_b32_e32 v2, 0x1fffff, v2
	v_add_u32_e32 v1, v2, v1
	v_mov_b32_e32 v2, v33
	v_cmp_ne_u32_e32 vcc, 0, v6
                                        ; implicit-def: $vgpr3
	s_and_saveexec_b64 s[28:29], vcc
	s_xor_b64 s[28:29], exec, s[28:29]
; %bb.18995:                            ;   in Loop: Header=BB6_18303 Depth=3
	v_cmp_lt_u64_e32 vcc, s[88:89], v[1:2]
	v_add_u32_e32 v3, 15, v7
	v_cndmask_b32_e32 v3, v6, v3, vcc
	v_cndmask_b32_e64 v6, 0, 1, vcc
	v_lshrrev_b64 v[1:2], v6, v[1:2]
; %bb.18996:                            ;   in Loop: Header=BB6_18303 Depth=3
	s_andn2_saveexec_b64 s[28:29], s[28:29]
; %bb.18997:                            ;   in Loop: Header=BB6_18303 Depth=3
	v_bfe_u32 v3, v1, 23, 1
; %bb.18998:                            ;   in Loop: Header=BB6_18303 Depth=3
	s_or_b64 exec, exec, s[28:29]
	v_lshrrev_b64 v[1:2], 21, v[1:2]
	v_cmp_gt_i32_e32 vcc, 32, v3
	v_cndmask_b32_e32 v2, 0, v2, vcc
	v_cndmask_b32_e32 v1, 3, v1, vcc
	v_cmp_ne_u64_e32 vcc, 0, v[1:2]
	v_cmp_ne_u32_e64 s[28:29], 0, v3
	s_or_b64 s[28:29], s[28:29], vcc
                                        ; implicit-def: $vgpr2
	buffer_store_dword v2, off, s[0:3], s33 offset:156 ; 4-byte Folded Spill
	s_nop 0
	buffer_store_dword v3, off, s[0:3], s33 offset:160 ; 4-byte Folded Spill
	s_and_saveexec_b64 s[62:63], s[28:29]
	s_xor_b64 s[28:29], exec, s[62:63]
	s_cbranch_execz .LBB6_19000
; %bb.18999:                            ;   in Loop: Header=BB6_18303 Depth=3
	v_min_i32_e32 v2, 31, v3
	v_lshl_or_b32 v2, v2, 2, v5
	v_and_or_b32 v1, v1, 3, v2
	buffer_store_dword v1, off, s[0:3], s33 offset:156 ; 4-byte Folded Spill
	s_nop 0
	buffer_store_dword v2, off, s[0:3], s33 offset:160 ; 4-byte Folded Spill
                                        ; implicit-def: $vgpr5
.LBB6_19000:                            ;   in Loop: Header=BB6_18303 Depth=3
	s_andn2_saveexec_b64 s[28:29], s[28:29]
	s_cbranch_execz .LBB6_19002
; %bb.19001:                            ;   in Loop: Header=BB6_18303 Depth=3
	v_mov_b32_e32 v1, v5
	buffer_store_dword v1, off, s[0:3], s33 offset:156 ; 4-byte Folded Spill
	s_nop 0
	buffer_store_dword v2, off, s[0:3], s33 offset:160 ; 4-byte Folded Spill
.LBB6_19002:                            ;   in Loop: Header=BB6_18303 Depth=3
	s_or_b64 exec, exec, s[28:29]
.LBB6_19003:                            ;   in Loop: Header=BB6_18303 Depth=3
	s_or_b64 exec, exec, s[38:39]
                                        ; implicit-def: $vgpr5
.LBB6_19004:                            ;   in Loop: Header=BB6_18303 Depth=3
	s_andn2_saveexec_b64 s[28:29], s[36:37]
	s_cbranch_execz .LBB6_19006
; %bb.19005:                            ;   in Loop: Header=BB6_18303 Depth=3
	v_or_b32_e32 v1, 0x7b, v5
	buffer_store_dword v1, off, s[0:3], s33 offset:156 ; 4-byte Folded Spill
	s_nop 0
	buffer_store_dword v2, off, s[0:3], s33 offset:160 ; 4-byte Folded Spill
.LBB6_19006:                            ;   in Loop: Header=BB6_18303 Depth=3
	s_or_b64 exec, exec, s[28:29]
                                        ; implicit-def: $vgpr3
                                        ; implicit-def: $vgpr1_vgpr2
.LBB6_19007:                            ;   in Loop: Header=BB6_18303 Depth=3
	s_andn2_saveexec_b64 s[28:29], s[34:35]
	s_cbranch_execz .LBB6_19013
; %bb.19008:                            ;   in Loop: Header=BB6_18303 Depth=3
	v_cmp_ne_u64_e32 vcc, 0, v[1:2]
                                        ; implicit-def: $vgpr1
	buffer_store_dword v1, off, s[0:3], s33 offset:156 ; 4-byte Folded Spill
	s_nop 0
	buffer_store_dword v2, off, s[0:3], s33 offset:160 ; 4-byte Folded Spill
	s_and_saveexec_b64 s[62:63], vcc
	s_xor_b64 vcc, exec, s[62:63]
	s_cbranch_execz .LBB6_19010
; %bb.19009:                            ;   in Loop: Header=BB6_18303 Depth=3
	v_or_b32_sdwa v1, v3, s44 dst_sel:DWORD dst_unused:UNUSED_PAD src0_sel:BYTE_3 src1_sel:DWORD
	buffer_store_dword v1, off, s[0:3], s33 offset:156 ; 4-byte Folded Spill
	s_nop 0
	buffer_store_dword v2, off, s[0:3], s33 offset:160 ; 4-byte Folded Spill
                                        ; implicit-def: $vgpr3
.LBB6_19010:                            ;   in Loop: Header=BB6_18303 Depth=3
	s_andn2_saveexec_b64 s[34:35], vcc
	s_cbranch_execz .LBB6_19012
; %bb.19011:                            ;   in Loop: Header=BB6_18303 Depth=3
	v_cmp_lt_i32_e32 vcc, -1, v3
	v_mov_b32_e32 v1, 0x7c
	v_cndmask_b32_e32 v1, -4, v1, vcc
	buffer_store_dword v1, off, s[0:3], s33 offset:156 ; 4-byte Folded Spill
	s_nop 0
	buffer_store_dword v2, off, s[0:3], s33 offset:160 ; 4-byte Folded Spill
.LBB6_19012:                            ;   in Loop: Header=BB6_18303 Depth=3
	s_or_b64 exec, exec, s[34:35]
.LBB6_19013:                            ;   in Loop: Header=BB6_18303 Depth=3
	s_or_b64 exec, exec, s[28:29]
	flat_load_sbyte v1, v[12:13] offset:1408 glc slc
	v_mov_b32_e32 v2, 0
	s_waitcnt vmcnt(0) lgkmcnt(0)
	v_cmp_ne_u16_e32 vcc, 0, v1
	s_and_saveexec_b64 s[28:29], vcc
	s_cbranch_execz .LBB6_19021
; %bb.19014:                            ;   in Loop: Header=BB6_18303 Depth=3
	v_cmp_ne_u16_e32 vcc, s46, v1
	v_bfrev_b32_e32 v2, 1
	s_and_saveexec_b64 s[34:35], vcc
	s_cbranch_execz .LBB6_19020
; %bb.19015:                            ;   in Loop: Header=BB6_18303 Depth=3
	v_and_b32_e32 v2, 0x7c, v1
	v_and_b32_e32 v3, 3, v1
	v_cmp_ne_u32_e32 vcc, s86, v2
                                        ; implicit-def: $vgpr2
	s_and_saveexec_b64 s[62:63], vcc
	s_xor_b64 s[36:37], exec, s[62:63]
	s_cbranch_execz .LBB6_19017
; %bb.19016:                            ;   in Loop: Header=BB6_18303 Depth=3
	v_and_b32_e32 v5, 0xff, v1
	v_bfe_u32 v7, v5, 2, 5
	v_ffbh_u32_e32 v5, v3
	v_min_u32_e32 v16, 32, v5
	v_mov_b32_e32 v2, v33
	v_subrev_u32_e32 v5, 29, v16
	v_lshlrev_b64 v[5:6], v5, v[1:2]
	v_sub_u32_e32 v2, 30, v16
	v_cmp_eq_u32_e32 vcc, 0, v7
	v_and_b32_e32 v5, 3, v5
	v_cndmask_b32_e32 v2, v7, v2, vcc
	v_and_b32_sdwa v1, sext(v1), s87 dst_sel:DWORD dst_unused:UNUSED_PAD src0_sel:WORD_0 src1_sel:DWORD
	v_cndmask_b32_e32 v3, v3, v5, vcc
	v_lshl_add_u32 v1, v2, 23, v1
	v_lshl_or_b32 v1, v3, 21, v1
	v_add_u32_e32 v2, 0x38000000, v1
                                        ; implicit-def: $vgpr3
                                        ; implicit-def: $vgpr1
.LBB6_19017:                            ;   in Loop: Header=BB6_18303 Depth=3
	s_andn2_saveexec_b64 s[36:37], s[36:37]
; %bb.19018:                            ;   in Loop: Header=BB6_18303 Depth=3
	v_cmp_lt_i16_e32 vcc, -1, v1
	v_mov_b32_e32 v1, 0xff800000
	v_mov_b32_e32 v2, 0x7f800000
	v_cndmask_b32_e32 v1, v1, v2, vcc
	v_cmp_eq_u32_e32 vcc, 0, v3
	v_mov_b32_e32 v2, 0x7f800001
	v_cndmask_b32_e32 v2, v2, v1, vcc
; %bb.19019:                            ;   in Loop: Header=BB6_18303 Depth=3
	s_or_b64 exec, exec, s[36:37]
.LBB6_19020:                            ;   in Loop: Header=BB6_18303 Depth=3
	s_or_b64 exec, exec, s[34:35]
.LBB6_19021:                            ;   in Loop: Header=BB6_18303 Depth=3
	s_or_b64 exec, exec, s[28:29]
	v_mul_f32_e32 v3, v4, v2
	v_and_b32_e32 v5, 0x7f800000, v3
	v_mov_b32_e32 v6, v33
	v_cmp_ne_u64_e32 vcc, s[76:77], v[5:6]
	v_and_b32_e32 v1, 0x7fffff, v3
	v_mov_b32_e32 v2, v33
                                        ; implicit-def: $vgpr5
	buffer_store_dword v5, off, s[0:3], s33 offset:148 ; 4-byte Folded Spill
	s_nop 0
	buffer_store_dword v6, off, s[0:3], s33 offset:152 ; 4-byte Folded Spill
	s_and_saveexec_b64 s[28:29], vcc
	s_xor_b64 s[34:35], exec, s[28:29]
	s_cbranch_execz .LBB6_19039
; %bb.19022:                            ;   in Loop: Header=BB6_18303 Depth=3
	v_and_b32_e32 v5, 0x7fffffff, v3
	v_mov_b32_e32 v6, v33
	v_cmp_gt_u64_e32 vcc, s[78:79], v[5:6]
	v_and_b32_sdwa v5, v3, s97 dst_sel:DWORD dst_unused:UNUSED_PAD src0_sel:BYTE_3 src1_sel:DWORD
                                        ; implicit-def: $vgpr6
	buffer_store_dword v6, off, s[0:3], s33 offset:148 ; 4-byte Folded Spill
	s_nop 0
	buffer_store_dword v7, off, s[0:3], s33 offset:152 ; 4-byte Folded Spill
	s_and_saveexec_b64 s[28:29], vcc
	s_xor_b64 s[36:37], exec, s[28:29]
	s_cbranch_execz .LBB6_19036
; %bb.19023:                            ;   in Loop: Header=BB6_18303 Depth=3
	v_cmp_ne_u32_e32 vcc, 0, v3
	v_mov_b32_e32 v6, 0
	buffer_store_dword v6, off, s[0:3], s33 offset:148 ; 4-byte Folded Spill
	s_nop 0
	buffer_store_dword v7, off, s[0:3], s33 offset:152 ; 4-byte Folded Spill
	s_and_saveexec_b64 s[38:39], vcc
	s_cbranch_execz .LBB6_19035
; %bb.19024:                            ;   in Loop: Header=BB6_18303 Depth=3
	v_bfe_u32 v6, v3, 23, 8
	v_cmp_gt_u32_e64 s[28:29], s47, v6
	v_sub_u32_e32 v3, 0x71, v6
	v_cmp_eq_u32_e32 vcc, 0, v6
	v_cndmask_b32_e64 v3, 0, v3, s[28:29]
	v_mov_b32_e32 v7, 0x70
	v_cndmask_b32_e32 v7, v3, v7, vcc
	v_or_b32_e32 v16, 0x800000, v1
	v_add_u32_e32 v3, 21, v7
	v_cndmask_b32_e32 v1, v16, v1, vcc
	v_lshlrev_b64 v[16:17], v3, -1
	v_add_u32_e32 v3, 20, v7
	v_bfi_b32 v16, v16, 0, v1
	v_lshlrev_b64 v[18:19], v3, 1
	v_lshrrev_b64 v[1:2], v7, v[1:2]
	v_bfi_b32 v17, v17, 0, 0
	v_cmp_eq_u64_e64 s[28:29], v[16:17], v[18:19]
	v_mov_b32_e32 v3, v2
	v_mov_b32_e32 v2, v1
	s_and_saveexec_b64 s[48:49], s[28:29]
; %bb.19025:                            ;   in Loop: Header=BB6_18303 Depth=3
	v_bfe_u32 v2, v1, 21, 1
	v_add_co_u32_e64 v2, s[28:29], v1, v2
	v_add_co_u32_e64 v2, s[28:29], -1, v2
; %bb.19026:                            ;   in Loop: Header=BB6_18303 Depth=3
	s_or_b64 exec, exec, s[48:49]
	v_add_u32_e32 v3, 0xffffff81, v6
	v_mov_b32_e32 v6, 0xffffff82
	v_cndmask_b32_e32 v3, v3, v6, vcc
	v_lshrrev_b32_e32 v6, 23, v1
	v_add3_u32 v7, v7, v3, v6
	v_add_u32_e32 v6, 14, v7
	v_and_b32_e32 v2, 0x1fffff, v2
	v_add_u32_e32 v1, v2, v1
	v_mov_b32_e32 v2, v33
	v_cmp_ne_u32_e32 vcc, 0, v6
                                        ; implicit-def: $vgpr3
	s_and_saveexec_b64 s[28:29], vcc
	s_xor_b64 s[28:29], exec, s[28:29]
; %bb.19027:                            ;   in Loop: Header=BB6_18303 Depth=3
	v_cmp_lt_u64_e32 vcc, s[88:89], v[1:2]
	v_add_u32_e32 v3, 15, v7
	v_cndmask_b32_e32 v3, v6, v3, vcc
	v_cndmask_b32_e64 v6, 0, 1, vcc
	v_lshrrev_b64 v[1:2], v6, v[1:2]
; %bb.19028:                            ;   in Loop: Header=BB6_18303 Depth=3
	s_andn2_saveexec_b64 s[28:29], s[28:29]
; %bb.19029:                            ;   in Loop: Header=BB6_18303 Depth=3
	v_bfe_u32 v3, v1, 23, 1
; %bb.19030:                            ;   in Loop: Header=BB6_18303 Depth=3
	s_or_b64 exec, exec, s[28:29]
	v_lshrrev_b64 v[1:2], 21, v[1:2]
	v_cmp_gt_i32_e32 vcc, 32, v3
	v_cndmask_b32_e32 v2, 0, v2, vcc
	v_cndmask_b32_e32 v1, 3, v1, vcc
	v_cmp_ne_u64_e32 vcc, 0, v[1:2]
	v_cmp_ne_u32_e64 s[28:29], 0, v3
	s_or_b64 s[28:29], s[28:29], vcc
                                        ; implicit-def: $vgpr2
	buffer_store_dword v2, off, s[0:3], s33 offset:148 ; 4-byte Folded Spill
	s_nop 0
	buffer_store_dword v3, off, s[0:3], s33 offset:152 ; 4-byte Folded Spill
	s_and_saveexec_b64 s[62:63], s[28:29]
	s_xor_b64 s[28:29], exec, s[62:63]
	s_cbranch_execz .LBB6_19032
; %bb.19031:                            ;   in Loop: Header=BB6_18303 Depth=3
	v_min_i32_e32 v2, 31, v3
	v_lshl_or_b32 v2, v2, 2, v5
	v_and_or_b32 v1, v1, 3, v2
	buffer_store_dword v1, off, s[0:3], s33 offset:148 ; 4-byte Folded Spill
	s_nop 0
	buffer_store_dword v2, off, s[0:3], s33 offset:152 ; 4-byte Folded Spill
                                        ; implicit-def: $vgpr5
.LBB6_19032:                            ;   in Loop: Header=BB6_18303 Depth=3
	s_andn2_saveexec_b64 s[28:29], s[28:29]
	s_cbranch_execz .LBB6_19034
; %bb.19033:                            ;   in Loop: Header=BB6_18303 Depth=3
	v_mov_b32_e32 v1, v5
	buffer_store_dword v1, off, s[0:3], s33 offset:148 ; 4-byte Folded Spill
	s_nop 0
	buffer_store_dword v2, off, s[0:3], s33 offset:152 ; 4-byte Folded Spill
.LBB6_19034:                            ;   in Loop: Header=BB6_18303 Depth=3
	s_or_b64 exec, exec, s[28:29]
.LBB6_19035:                            ;   in Loop: Header=BB6_18303 Depth=3
	s_or_b64 exec, exec, s[38:39]
                                        ; implicit-def: $vgpr5
.LBB6_19036:                            ;   in Loop: Header=BB6_18303 Depth=3
	s_andn2_saveexec_b64 s[28:29], s[36:37]
	s_cbranch_execz .LBB6_19038
; %bb.19037:                            ;   in Loop: Header=BB6_18303 Depth=3
	v_or_b32_e32 v1, 0x7b, v5
	buffer_store_dword v1, off, s[0:3], s33 offset:148 ; 4-byte Folded Spill
	s_nop 0
	buffer_store_dword v2, off, s[0:3], s33 offset:152 ; 4-byte Folded Spill
.LBB6_19038:                            ;   in Loop: Header=BB6_18303 Depth=3
	s_or_b64 exec, exec, s[28:29]
                                        ; implicit-def: $vgpr3
                                        ; implicit-def: $vgpr1_vgpr2
.LBB6_19039:                            ;   in Loop: Header=BB6_18303 Depth=3
	s_andn2_saveexec_b64 s[28:29], s[34:35]
	s_cbranch_execz .LBB6_19045
; %bb.19040:                            ;   in Loop: Header=BB6_18303 Depth=3
	v_cmp_ne_u64_e32 vcc, 0, v[1:2]
                                        ; implicit-def: $vgpr1
	buffer_store_dword v1, off, s[0:3], s33 offset:148 ; 4-byte Folded Spill
	s_nop 0
	buffer_store_dword v2, off, s[0:3], s33 offset:152 ; 4-byte Folded Spill
	s_and_saveexec_b64 s[62:63], vcc
	s_xor_b64 vcc, exec, s[62:63]
	s_cbranch_execz .LBB6_19042
; %bb.19041:                            ;   in Loop: Header=BB6_18303 Depth=3
	v_or_b32_sdwa v1, v3, s44 dst_sel:DWORD dst_unused:UNUSED_PAD src0_sel:BYTE_3 src1_sel:DWORD
	buffer_store_dword v1, off, s[0:3], s33 offset:148 ; 4-byte Folded Spill
	s_nop 0
	buffer_store_dword v2, off, s[0:3], s33 offset:152 ; 4-byte Folded Spill
                                        ; implicit-def: $vgpr3
.LBB6_19042:                            ;   in Loop: Header=BB6_18303 Depth=3
	s_andn2_saveexec_b64 s[34:35], vcc
	s_cbranch_execz .LBB6_19044
; %bb.19043:                            ;   in Loop: Header=BB6_18303 Depth=3
	v_cmp_lt_i32_e32 vcc, -1, v3
	v_mov_b32_e32 v1, 0x7c
	v_cndmask_b32_e32 v1, -4, v1, vcc
	buffer_store_dword v1, off, s[0:3], s33 offset:148 ; 4-byte Folded Spill
	s_nop 0
	buffer_store_dword v2, off, s[0:3], s33 offset:152 ; 4-byte Folded Spill
.LBB6_19044:                            ;   in Loop: Header=BB6_18303 Depth=3
	s_or_b64 exec, exec, s[34:35]
.LBB6_19045:                            ;   in Loop: Header=BB6_18303 Depth=3
	s_or_b64 exec, exec, s[28:29]
	flat_load_sbyte v1, v[12:13] offset:1472 glc slc
	v_mov_b32_e32 v2, 0
	s_waitcnt vmcnt(0) lgkmcnt(0)
	v_cmp_ne_u16_e32 vcc, 0, v1
	s_and_saveexec_b64 s[28:29], vcc
	s_cbranch_execz .LBB6_19053
; %bb.19046:                            ;   in Loop: Header=BB6_18303 Depth=3
	v_cmp_ne_u16_e32 vcc, s46, v1
	v_bfrev_b32_e32 v2, 1
	s_and_saveexec_b64 s[34:35], vcc
	s_cbranch_execz .LBB6_19052
; %bb.19047:                            ;   in Loop: Header=BB6_18303 Depth=3
	v_and_b32_e32 v2, 0x7c, v1
	v_and_b32_e32 v3, 3, v1
	v_cmp_ne_u32_e32 vcc, s86, v2
                                        ; implicit-def: $vgpr2
	s_and_saveexec_b64 s[62:63], vcc
	s_xor_b64 s[36:37], exec, s[62:63]
	s_cbranch_execz .LBB6_19049
; %bb.19048:                            ;   in Loop: Header=BB6_18303 Depth=3
	v_and_b32_e32 v5, 0xff, v1
	v_bfe_u32 v7, v5, 2, 5
	v_ffbh_u32_e32 v5, v3
	v_min_u32_e32 v16, 32, v5
	v_mov_b32_e32 v2, v33
	v_subrev_u32_e32 v5, 29, v16
	v_lshlrev_b64 v[5:6], v5, v[1:2]
	v_sub_u32_e32 v2, 30, v16
	v_cmp_eq_u32_e32 vcc, 0, v7
	v_and_b32_e32 v5, 3, v5
	v_cndmask_b32_e32 v2, v7, v2, vcc
	v_and_b32_sdwa v1, sext(v1), s87 dst_sel:DWORD dst_unused:UNUSED_PAD src0_sel:WORD_0 src1_sel:DWORD
	v_cndmask_b32_e32 v3, v3, v5, vcc
	v_lshl_add_u32 v1, v2, 23, v1
	v_lshl_or_b32 v1, v3, 21, v1
	v_add_u32_e32 v2, 0x38000000, v1
                                        ; implicit-def: $vgpr3
                                        ; implicit-def: $vgpr1
.LBB6_19049:                            ;   in Loop: Header=BB6_18303 Depth=3
	s_andn2_saveexec_b64 s[36:37], s[36:37]
; %bb.19050:                            ;   in Loop: Header=BB6_18303 Depth=3
	v_cmp_lt_i16_e32 vcc, -1, v1
	v_mov_b32_e32 v1, 0xff800000
	v_mov_b32_e32 v2, 0x7f800000
	v_cndmask_b32_e32 v1, v1, v2, vcc
	v_cmp_eq_u32_e32 vcc, 0, v3
	v_mov_b32_e32 v2, 0x7f800001
	v_cndmask_b32_e32 v2, v2, v1, vcc
; %bb.19051:                            ;   in Loop: Header=BB6_18303 Depth=3
	s_or_b64 exec, exec, s[36:37]
.LBB6_19052:                            ;   in Loop: Header=BB6_18303 Depth=3
	s_or_b64 exec, exec, s[34:35]
.LBB6_19053:                            ;   in Loop: Header=BB6_18303 Depth=3
	s_or_b64 exec, exec, s[28:29]
	v_mul_f32_e32 v3, v4, v2
	v_and_b32_e32 v5, 0x7f800000, v3
	v_mov_b32_e32 v6, v33
	v_cmp_ne_u64_e32 vcc, s[76:77], v[5:6]
	v_and_b32_e32 v1, 0x7fffff, v3
	v_mov_b32_e32 v2, v33
                                        ; implicit-def: $vgpr46
	s_and_saveexec_b64 s[28:29], vcc
	s_xor_b64 s[34:35], exec, s[28:29]
	s_cbranch_execz .LBB6_19071
; %bb.19054:                            ;   in Loop: Header=BB6_18303 Depth=3
	v_and_b32_e32 v5, 0x7fffffff, v3
	v_mov_b32_e32 v6, v33
	v_cmp_gt_u64_e32 vcc, s[78:79], v[5:6]
	v_and_b32_sdwa v5, v3, s97 dst_sel:DWORD dst_unused:UNUSED_PAD src0_sel:BYTE_3 src1_sel:DWORD
                                        ; implicit-def: $vgpr46
	s_and_saveexec_b64 s[28:29], vcc
	s_xor_b64 s[36:37], exec, s[28:29]
	s_cbranch_execz .LBB6_19068
; %bb.19055:                            ;   in Loop: Header=BB6_18303 Depth=3
	v_cmp_ne_u32_e32 vcc, 0, v3
	v_mov_b32_e32 v46, 0
	s_and_saveexec_b64 s[38:39], vcc
	s_cbranch_execz .LBB6_19067
; %bb.19056:                            ;   in Loop: Header=BB6_18303 Depth=3
	v_bfe_u32 v6, v3, 23, 8
	v_cmp_gt_u32_e64 s[28:29], s47, v6
	v_sub_u32_e32 v3, 0x71, v6
	v_cmp_eq_u32_e32 vcc, 0, v6
	v_cndmask_b32_e64 v3, 0, v3, s[28:29]
	v_mov_b32_e32 v7, 0x70
	v_cndmask_b32_e32 v7, v3, v7, vcc
	v_or_b32_e32 v16, 0x800000, v1
	v_add_u32_e32 v3, 21, v7
	v_cndmask_b32_e32 v1, v16, v1, vcc
	v_lshlrev_b64 v[16:17], v3, -1
	v_add_u32_e32 v3, 20, v7
	v_bfi_b32 v16, v16, 0, v1
	v_lshlrev_b64 v[18:19], v3, 1
	v_lshrrev_b64 v[1:2], v7, v[1:2]
	v_bfi_b32 v17, v17, 0, 0
	v_cmp_eq_u64_e64 s[28:29], v[16:17], v[18:19]
	v_mov_b32_e32 v3, v2
	v_mov_b32_e32 v2, v1
	s_and_saveexec_b64 s[48:49], s[28:29]
; %bb.19057:                            ;   in Loop: Header=BB6_18303 Depth=3
	v_bfe_u32 v2, v1, 21, 1
	v_add_co_u32_e64 v2, s[28:29], v1, v2
	v_add_co_u32_e64 v2, s[28:29], -1, v2
; %bb.19058:                            ;   in Loop: Header=BB6_18303 Depth=3
	s_or_b64 exec, exec, s[48:49]
	v_add_u32_e32 v3, 0xffffff81, v6
	v_mov_b32_e32 v6, 0xffffff82
	v_cndmask_b32_e32 v3, v3, v6, vcc
	v_lshrrev_b32_e32 v6, 23, v1
	v_add3_u32 v7, v7, v3, v6
	v_add_u32_e32 v6, 14, v7
	v_and_b32_e32 v2, 0x1fffff, v2
	v_add_u32_e32 v1, v2, v1
	v_mov_b32_e32 v2, v33
	v_cmp_ne_u32_e32 vcc, 0, v6
                                        ; implicit-def: $vgpr3
	s_and_saveexec_b64 s[28:29], vcc
	s_xor_b64 s[28:29], exec, s[28:29]
; %bb.19059:                            ;   in Loop: Header=BB6_18303 Depth=3
	v_cmp_lt_u64_e32 vcc, s[88:89], v[1:2]
	v_add_u32_e32 v3, 15, v7
	v_cndmask_b32_e32 v3, v6, v3, vcc
	v_cndmask_b32_e64 v6, 0, 1, vcc
	v_lshrrev_b64 v[1:2], v6, v[1:2]
; %bb.19060:                            ;   in Loop: Header=BB6_18303 Depth=3
	s_andn2_saveexec_b64 s[28:29], s[28:29]
; %bb.19061:                            ;   in Loop: Header=BB6_18303 Depth=3
	v_bfe_u32 v3, v1, 23, 1
; %bb.19062:                            ;   in Loop: Header=BB6_18303 Depth=3
	s_or_b64 exec, exec, s[28:29]
	v_lshrrev_b64 v[1:2], 21, v[1:2]
	v_cmp_gt_i32_e32 vcc, 32, v3
	v_cndmask_b32_e32 v2, 0, v2, vcc
	v_cndmask_b32_e32 v1, 3, v1, vcc
	v_cmp_ne_u64_e32 vcc, 0, v[1:2]
	v_cmp_ne_u32_e64 s[28:29], 0, v3
	s_or_b64 s[28:29], s[28:29], vcc
                                        ; implicit-def: $vgpr46
	s_and_saveexec_b64 s[62:63], s[28:29]
	s_xor_b64 s[28:29], exec, s[62:63]
; %bb.19063:                            ;   in Loop: Header=BB6_18303 Depth=3
	v_min_i32_e32 v2, 31, v3
	v_lshl_or_b32 v2, v2, 2, v5
	v_and_or_b32 v46, v1, 3, v2
                                        ; implicit-def: $vgpr5
; %bb.19064:                            ;   in Loop: Header=BB6_18303 Depth=3
	s_andn2_saveexec_b64 s[28:29], s[28:29]
; %bb.19065:                            ;   in Loop: Header=BB6_18303 Depth=3
	v_mov_b32_e32 v46, v5
; %bb.19066:                            ;   in Loop: Header=BB6_18303 Depth=3
	s_or_b64 exec, exec, s[28:29]
.LBB6_19067:                            ;   in Loop: Header=BB6_18303 Depth=3
	s_or_b64 exec, exec, s[38:39]
                                        ; implicit-def: $vgpr5
.LBB6_19068:                            ;   in Loop: Header=BB6_18303 Depth=3
	s_andn2_saveexec_b64 s[28:29], s[36:37]
; %bb.19069:                            ;   in Loop: Header=BB6_18303 Depth=3
	v_or_b32_e32 v46, 0x7b, v5
; %bb.19070:                            ;   in Loop: Header=BB6_18303 Depth=3
	s_or_b64 exec, exec, s[28:29]
                                        ; implicit-def: $vgpr3
                                        ; implicit-def: $vgpr1_vgpr2
.LBB6_19071:                            ;   in Loop: Header=BB6_18303 Depth=3
	s_andn2_saveexec_b64 s[28:29], s[34:35]
	s_cbranch_execz .LBB6_19077
; %bb.19072:                            ;   in Loop: Header=BB6_18303 Depth=3
	v_cmp_ne_u64_e32 vcc, 0, v[1:2]
                                        ; implicit-def: $vgpr46
	s_and_saveexec_b64 s[62:63], vcc
	s_xor_b64 vcc, exec, s[62:63]
; %bb.19073:                            ;   in Loop: Header=BB6_18303 Depth=3
	v_or_b32_sdwa v46, v3, s44 dst_sel:DWORD dst_unused:UNUSED_PAD src0_sel:BYTE_3 src1_sel:DWORD
                                        ; implicit-def: $vgpr3
; %bb.19074:                            ;   in Loop: Header=BB6_18303 Depth=3
	s_andn2_saveexec_b64 s[34:35], vcc
; %bb.19075:                            ;   in Loop: Header=BB6_18303 Depth=3
	v_cmp_lt_i32_e32 vcc, -1, v3
	v_mov_b32_e32 v1, 0x7c
	v_cndmask_b32_e32 v46, -4, v1, vcc
; %bb.19076:                            ;   in Loop: Header=BB6_18303 Depth=3
	s_or_b64 exec, exec, s[34:35]
.LBB6_19077:                            ;   in Loop: Header=BB6_18303 Depth=3
	s_or_b64 exec, exec, s[28:29]
	flat_load_sbyte v1, v[12:13] offset:1536 glc slc
	v_mov_b32_e32 v2, 0
	s_waitcnt vmcnt(0) lgkmcnt(0)
	v_cmp_ne_u16_e32 vcc, 0, v1
	s_and_saveexec_b64 s[28:29], vcc
	s_cbranch_execz .LBB6_19085
; %bb.19078:                            ;   in Loop: Header=BB6_18303 Depth=3
	v_cmp_ne_u16_e32 vcc, s46, v1
	v_bfrev_b32_e32 v2, 1
	s_and_saveexec_b64 s[34:35], vcc
	s_cbranch_execz .LBB6_19084
; %bb.19079:                            ;   in Loop: Header=BB6_18303 Depth=3
	v_and_b32_e32 v2, 0x7c, v1
	v_and_b32_e32 v3, 3, v1
	v_cmp_ne_u32_e32 vcc, s86, v2
                                        ; implicit-def: $vgpr2
	s_and_saveexec_b64 s[62:63], vcc
	s_xor_b64 s[36:37], exec, s[62:63]
	s_cbranch_execz .LBB6_19081
; %bb.19080:                            ;   in Loop: Header=BB6_18303 Depth=3
	v_and_b32_e32 v5, 0xff, v1
	v_bfe_u32 v7, v5, 2, 5
	v_ffbh_u32_e32 v5, v3
	v_min_u32_e32 v16, 32, v5
	v_mov_b32_e32 v2, v33
	v_subrev_u32_e32 v5, 29, v16
	v_lshlrev_b64 v[5:6], v5, v[1:2]
	v_sub_u32_e32 v2, 30, v16
	v_cmp_eq_u32_e32 vcc, 0, v7
	v_and_b32_e32 v5, 3, v5
	v_cndmask_b32_e32 v2, v7, v2, vcc
	v_and_b32_sdwa v1, sext(v1), s87 dst_sel:DWORD dst_unused:UNUSED_PAD src0_sel:WORD_0 src1_sel:DWORD
	v_cndmask_b32_e32 v3, v3, v5, vcc
	v_lshl_add_u32 v1, v2, 23, v1
	v_lshl_or_b32 v1, v3, 21, v1
	v_add_u32_e32 v2, 0x38000000, v1
                                        ; implicit-def: $vgpr3
                                        ; implicit-def: $vgpr1
.LBB6_19081:                            ;   in Loop: Header=BB6_18303 Depth=3
	s_andn2_saveexec_b64 s[36:37], s[36:37]
; %bb.19082:                            ;   in Loop: Header=BB6_18303 Depth=3
	v_cmp_lt_i16_e32 vcc, -1, v1
	v_mov_b32_e32 v1, 0xff800000
	v_mov_b32_e32 v2, 0x7f800000
	v_cndmask_b32_e32 v1, v1, v2, vcc
	v_cmp_eq_u32_e32 vcc, 0, v3
	v_mov_b32_e32 v2, 0x7f800001
	v_cndmask_b32_e32 v2, v2, v1, vcc
; %bb.19083:                            ;   in Loop: Header=BB6_18303 Depth=3
	s_or_b64 exec, exec, s[36:37]
.LBB6_19084:                            ;   in Loop: Header=BB6_18303 Depth=3
	s_or_b64 exec, exec, s[34:35]
.LBB6_19085:                            ;   in Loop: Header=BB6_18303 Depth=3
	s_or_b64 exec, exec, s[28:29]
	v_mul_f32_e32 v3, v4, v2
	v_and_b32_e32 v5, 0x7f800000, v3
	v_mov_b32_e32 v6, v33
	v_cmp_ne_u64_e32 vcc, s[76:77], v[5:6]
	v_and_b32_e32 v1, 0x7fffff, v3
	v_mov_b32_e32 v2, v33
                                        ; implicit-def: $vgpr5
	buffer_store_dword v5, off, s[0:3], s33 offset:140 ; 4-byte Folded Spill
	s_nop 0
	buffer_store_dword v6, off, s[0:3], s33 offset:144 ; 4-byte Folded Spill
	s_and_saveexec_b64 s[28:29], vcc
	s_xor_b64 s[34:35], exec, s[28:29]
	s_cbranch_execz .LBB6_19103
; %bb.19086:                            ;   in Loop: Header=BB6_18303 Depth=3
	v_and_b32_e32 v5, 0x7fffffff, v3
	v_mov_b32_e32 v6, v33
	v_cmp_gt_u64_e32 vcc, s[78:79], v[5:6]
	v_and_b32_sdwa v5, v3, s97 dst_sel:DWORD dst_unused:UNUSED_PAD src0_sel:BYTE_3 src1_sel:DWORD
                                        ; implicit-def: $vgpr6
	buffer_store_dword v6, off, s[0:3], s33 offset:140 ; 4-byte Folded Spill
	s_nop 0
	buffer_store_dword v7, off, s[0:3], s33 offset:144 ; 4-byte Folded Spill
	s_and_saveexec_b64 s[28:29], vcc
	s_xor_b64 s[36:37], exec, s[28:29]
	s_cbranch_execz .LBB6_19100
; %bb.19087:                            ;   in Loop: Header=BB6_18303 Depth=3
	v_cmp_ne_u32_e32 vcc, 0, v3
	v_mov_b32_e32 v6, 0
	buffer_store_dword v6, off, s[0:3], s33 offset:140 ; 4-byte Folded Spill
	s_nop 0
	buffer_store_dword v7, off, s[0:3], s33 offset:144 ; 4-byte Folded Spill
	s_and_saveexec_b64 s[38:39], vcc
	s_cbranch_execz .LBB6_19099
; %bb.19088:                            ;   in Loop: Header=BB6_18303 Depth=3
	v_bfe_u32 v6, v3, 23, 8
	v_cmp_gt_u32_e64 s[28:29], s47, v6
	v_sub_u32_e32 v3, 0x71, v6
	v_cmp_eq_u32_e32 vcc, 0, v6
	v_cndmask_b32_e64 v3, 0, v3, s[28:29]
	v_mov_b32_e32 v7, 0x70
	v_cndmask_b32_e32 v7, v3, v7, vcc
	v_or_b32_e32 v16, 0x800000, v1
	v_add_u32_e32 v3, 21, v7
	v_cndmask_b32_e32 v1, v16, v1, vcc
	v_lshlrev_b64 v[16:17], v3, -1
	v_add_u32_e32 v3, 20, v7
	v_bfi_b32 v16, v16, 0, v1
	v_lshlrev_b64 v[18:19], v3, 1
	v_lshrrev_b64 v[1:2], v7, v[1:2]
	v_bfi_b32 v17, v17, 0, 0
	v_cmp_eq_u64_e64 s[28:29], v[16:17], v[18:19]
	v_mov_b32_e32 v3, v2
	v_mov_b32_e32 v2, v1
	s_and_saveexec_b64 s[48:49], s[28:29]
; %bb.19089:                            ;   in Loop: Header=BB6_18303 Depth=3
	v_bfe_u32 v2, v1, 21, 1
	v_add_co_u32_e64 v2, s[28:29], v1, v2
	v_add_co_u32_e64 v2, s[28:29], -1, v2
; %bb.19090:                            ;   in Loop: Header=BB6_18303 Depth=3
	s_or_b64 exec, exec, s[48:49]
	v_add_u32_e32 v3, 0xffffff81, v6
	v_mov_b32_e32 v6, 0xffffff82
	v_cndmask_b32_e32 v3, v3, v6, vcc
	v_lshrrev_b32_e32 v6, 23, v1
	v_add3_u32 v7, v7, v3, v6
	v_add_u32_e32 v6, 14, v7
	v_and_b32_e32 v2, 0x1fffff, v2
	v_add_u32_e32 v1, v2, v1
	v_mov_b32_e32 v2, v33
	v_cmp_ne_u32_e32 vcc, 0, v6
                                        ; implicit-def: $vgpr3
	s_and_saveexec_b64 s[28:29], vcc
	s_xor_b64 s[28:29], exec, s[28:29]
; %bb.19091:                            ;   in Loop: Header=BB6_18303 Depth=3
	v_cmp_lt_u64_e32 vcc, s[88:89], v[1:2]
	v_add_u32_e32 v3, 15, v7
	v_cndmask_b32_e32 v3, v6, v3, vcc
	v_cndmask_b32_e64 v6, 0, 1, vcc
	v_lshrrev_b64 v[1:2], v6, v[1:2]
; %bb.19092:                            ;   in Loop: Header=BB6_18303 Depth=3
	s_andn2_saveexec_b64 s[28:29], s[28:29]
; %bb.19093:                            ;   in Loop: Header=BB6_18303 Depth=3
	v_bfe_u32 v3, v1, 23, 1
; %bb.19094:                            ;   in Loop: Header=BB6_18303 Depth=3
	s_or_b64 exec, exec, s[28:29]
	v_lshrrev_b64 v[1:2], 21, v[1:2]
	v_cmp_gt_i32_e32 vcc, 32, v3
	v_cndmask_b32_e32 v2, 0, v2, vcc
	v_cndmask_b32_e32 v1, 3, v1, vcc
	v_cmp_ne_u64_e32 vcc, 0, v[1:2]
	v_cmp_ne_u32_e64 s[28:29], 0, v3
	s_or_b64 s[28:29], s[28:29], vcc
                                        ; implicit-def: $vgpr2
	buffer_store_dword v2, off, s[0:3], s33 offset:140 ; 4-byte Folded Spill
	s_nop 0
	buffer_store_dword v3, off, s[0:3], s33 offset:144 ; 4-byte Folded Spill
	s_and_saveexec_b64 s[62:63], s[28:29]
	s_xor_b64 s[28:29], exec, s[62:63]
	s_cbranch_execz .LBB6_19096
; %bb.19095:                            ;   in Loop: Header=BB6_18303 Depth=3
	v_min_i32_e32 v2, 31, v3
	v_lshl_or_b32 v2, v2, 2, v5
	v_and_or_b32 v1, v1, 3, v2
	buffer_store_dword v1, off, s[0:3], s33 offset:140 ; 4-byte Folded Spill
	s_nop 0
	buffer_store_dword v2, off, s[0:3], s33 offset:144 ; 4-byte Folded Spill
                                        ; implicit-def: $vgpr5
.LBB6_19096:                            ;   in Loop: Header=BB6_18303 Depth=3
	s_andn2_saveexec_b64 s[28:29], s[28:29]
	s_cbranch_execz .LBB6_19098
; %bb.19097:                            ;   in Loop: Header=BB6_18303 Depth=3
	v_mov_b32_e32 v1, v5
	buffer_store_dword v1, off, s[0:3], s33 offset:140 ; 4-byte Folded Spill
	s_nop 0
	buffer_store_dword v2, off, s[0:3], s33 offset:144 ; 4-byte Folded Spill
.LBB6_19098:                            ;   in Loop: Header=BB6_18303 Depth=3
	s_or_b64 exec, exec, s[28:29]
.LBB6_19099:                            ;   in Loop: Header=BB6_18303 Depth=3
	s_or_b64 exec, exec, s[38:39]
                                        ; implicit-def: $vgpr5
.LBB6_19100:                            ;   in Loop: Header=BB6_18303 Depth=3
	s_andn2_saveexec_b64 s[28:29], s[36:37]
	s_cbranch_execz .LBB6_19102
; %bb.19101:                            ;   in Loop: Header=BB6_18303 Depth=3
	v_or_b32_e32 v1, 0x7b, v5
	buffer_store_dword v1, off, s[0:3], s33 offset:140 ; 4-byte Folded Spill
	s_nop 0
	buffer_store_dword v2, off, s[0:3], s33 offset:144 ; 4-byte Folded Spill
.LBB6_19102:                            ;   in Loop: Header=BB6_18303 Depth=3
	s_or_b64 exec, exec, s[28:29]
                                        ; implicit-def: $vgpr3
                                        ; implicit-def: $vgpr1_vgpr2
.LBB6_19103:                            ;   in Loop: Header=BB6_18303 Depth=3
	s_andn2_saveexec_b64 s[28:29], s[34:35]
	s_cbranch_execz .LBB6_19109
; %bb.19104:                            ;   in Loop: Header=BB6_18303 Depth=3
	v_cmp_ne_u64_e32 vcc, 0, v[1:2]
                                        ; implicit-def: $vgpr1
	buffer_store_dword v1, off, s[0:3], s33 offset:140 ; 4-byte Folded Spill
	s_nop 0
	buffer_store_dword v2, off, s[0:3], s33 offset:144 ; 4-byte Folded Spill
	s_and_saveexec_b64 s[62:63], vcc
	s_xor_b64 vcc, exec, s[62:63]
	s_cbranch_execz .LBB6_19106
; %bb.19105:                            ;   in Loop: Header=BB6_18303 Depth=3
	v_or_b32_sdwa v1, v3, s44 dst_sel:DWORD dst_unused:UNUSED_PAD src0_sel:BYTE_3 src1_sel:DWORD
	buffer_store_dword v1, off, s[0:3], s33 offset:140 ; 4-byte Folded Spill
	s_nop 0
	buffer_store_dword v2, off, s[0:3], s33 offset:144 ; 4-byte Folded Spill
                                        ; implicit-def: $vgpr3
.LBB6_19106:                            ;   in Loop: Header=BB6_18303 Depth=3
	s_andn2_saveexec_b64 s[34:35], vcc
	s_cbranch_execz .LBB6_19108
; %bb.19107:                            ;   in Loop: Header=BB6_18303 Depth=3
	v_cmp_lt_i32_e32 vcc, -1, v3
	v_mov_b32_e32 v1, 0x7c
	v_cndmask_b32_e32 v1, -4, v1, vcc
	buffer_store_dword v1, off, s[0:3], s33 offset:140 ; 4-byte Folded Spill
	s_nop 0
	buffer_store_dword v2, off, s[0:3], s33 offset:144 ; 4-byte Folded Spill
.LBB6_19108:                            ;   in Loop: Header=BB6_18303 Depth=3
	s_or_b64 exec, exec, s[34:35]
.LBB6_19109:                            ;   in Loop: Header=BB6_18303 Depth=3
	s_or_b64 exec, exec, s[28:29]
	flat_load_sbyte v1, v[12:13] offset:1600 glc slc
	v_mov_b32_e32 v2, 0
	s_waitcnt vmcnt(0) lgkmcnt(0)
	v_cmp_ne_u16_e32 vcc, 0, v1
	s_and_saveexec_b64 s[28:29], vcc
	s_cbranch_execz .LBB6_19117
; %bb.19110:                            ;   in Loop: Header=BB6_18303 Depth=3
	v_cmp_ne_u16_e32 vcc, s46, v1
	v_bfrev_b32_e32 v2, 1
	s_and_saveexec_b64 s[34:35], vcc
	s_cbranch_execz .LBB6_19116
; %bb.19111:                            ;   in Loop: Header=BB6_18303 Depth=3
	v_and_b32_e32 v2, 0x7c, v1
	v_and_b32_e32 v3, 3, v1
	v_cmp_ne_u32_e32 vcc, s86, v2
                                        ; implicit-def: $vgpr2
	s_and_saveexec_b64 s[62:63], vcc
	s_xor_b64 s[36:37], exec, s[62:63]
	s_cbranch_execz .LBB6_19113
; %bb.19112:                            ;   in Loop: Header=BB6_18303 Depth=3
	v_and_b32_e32 v5, 0xff, v1
	v_bfe_u32 v7, v5, 2, 5
	v_ffbh_u32_e32 v5, v3
	v_min_u32_e32 v16, 32, v5
	v_mov_b32_e32 v2, v33
	v_subrev_u32_e32 v5, 29, v16
	v_lshlrev_b64 v[5:6], v5, v[1:2]
	v_sub_u32_e32 v2, 30, v16
	v_cmp_eq_u32_e32 vcc, 0, v7
	v_and_b32_e32 v5, 3, v5
	v_cndmask_b32_e32 v2, v7, v2, vcc
	v_and_b32_sdwa v1, sext(v1), s87 dst_sel:DWORD dst_unused:UNUSED_PAD src0_sel:WORD_0 src1_sel:DWORD
	v_cndmask_b32_e32 v3, v3, v5, vcc
	v_lshl_add_u32 v1, v2, 23, v1
	v_lshl_or_b32 v1, v3, 21, v1
	v_add_u32_e32 v2, 0x38000000, v1
                                        ; implicit-def: $vgpr3
                                        ; implicit-def: $vgpr1
.LBB6_19113:                            ;   in Loop: Header=BB6_18303 Depth=3
	s_andn2_saveexec_b64 s[36:37], s[36:37]
; %bb.19114:                            ;   in Loop: Header=BB6_18303 Depth=3
	v_cmp_lt_i16_e32 vcc, -1, v1
	v_mov_b32_e32 v1, 0xff800000
	v_mov_b32_e32 v2, 0x7f800000
	v_cndmask_b32_e32 v1, v1, v2, vcc
	v_cmp_eq_u32_e32 vcc, 0, v3
	v_mov_b32_e32 v2, 0x7f800001
	v_cndmask_b32_e32 v2, v2, v1, vcc
; %bb.19115:                            ;   in Loop: Header=BB6_18303 Depth=3
	s_or_b64 exec, exec, s[36:37]
.LBB6_19116:                            ;   in Loop: Header=BB6_18303 Depth=3
	s_or_b64 exec, exec, s[34:35]
.LBB6_19117:                            ;   in Loop: Header=BB6_18303 Depth=3
	s_or_b64 exec, exec, s[28:29]
	v_mul_f32_e32 v3, v4, v2
	v_and_b32_e32 v5, 0x7f800000, v3
	v_mov_b32_e32 v6, v33
	v_cmp_ne_u64_e32 vcc, s[76:77], v[5:6]
	v_and_b32_e32 v1, 0x7fffff, v3
	v_mov_b32_e32 v2, v33
                                        ; implicit-def: $vgpr5
	buffer_store_dword v5, off, s[0:3], s33 offset:132 ; 4-byte Folded Spill
	s_nop 0
	buffer_store_dword v6, off, s[0:3], s33 offset:136 ; 4-byte Folded Spill
	s_and_saveexec_b64 s[28:29], vcc
	s_xor_b64 s[34:35], exec, s[28:29]
	s_cbranch_execz .LBB6_19135
; %bb.19118:                            ;   in Loop: Header=BB6_18303 Depth=3
	v_and_b32_e32 v5, 0x7fffffff, v3
	v_mov_b32_e32 v6, v33
	v_cmp_gt_u64_e32 vcc, s[78:79], v[5:6]
	v_and_b32_sdwa v5, v3, s97 dst_sel:DWORD dst_unused:UNUSED_PAD src0_sel:BYTE_3 src1_sel:DWORD
                                        ; implicit-def: $vgpr6
	buffer_store_dword v6, off, s[0:3], s33 offset:132 ; 4-byte Folded Spill
	s_nop 0
	buffer_store_dword v7, off, s[0:3], s33 offset:136 ; 4-byte Folded Spill
	s_and_saveexec_b64 s[28:29], vcc
	s_xor_b64 s[36:37], exec, s[28:29]
	s_cbranch_execz .LBB6_19132
; %bb.19119:                            ;   in Loop: Header=BB6_18303 Depth=3
	v_cmp_ne_u32_e32 vcc, 0, v3
	v_mov_b32_e32 v6, 0
	buffer_store_dword v6, off, s[0:3], s33 offset:132 ; 4-byte Folded Spill
	s_nop 0
	buffer_store_dword v7, off, s[0:3], s33 offset:136 ; 4-byte Folded Spill
	s_and_saveexec_b64 s[38:39], vcc
	s_cbranch_execz .LBB6_19131
; %bb.19120:                            ;   in Loop: Header=BB6_18303 Depth=3
	v_bfe_u32 v6, v3, 23, 8
	v_cmp_gt_u32_e64 s[28:29], s47, v6
	v_sub_u32_e32 v3, 0x71, v6
	v_cmp_eq_u32_e32 vcc, 0, v6
	v_cndmask_b32_e64 v3, 0, v3, s[28:29]
	v_mov_b32_e32 v7, 0x70
	v_cndmask_b32_e32 v7, v3, v7, vcc
	v_or_b32_e32 v16, 0x800000, v1
	v_add_u32_e32 v3, 21, v7
	v_cndmask_b32_e32 v1, v16, v1, vcc
	v_lshlrev_b64 v[16:17], v3, -1
	v_add_u32_e32 v3, 20, v7
	v_bfi_b32 v16, v16, 0, v1
	v_lshlrev_b64 v[18:19], v3, 1
	v_lshrrev_b64 v[1:2], v7, v[1:2]
	v_bfi_b32 v17, v17, 0, 0
	v_cmp_eq_u64_e64 s[28:29], v[16:17], v[18:19]
	v_mov_b32_e32 v3, v2
	v_mov_b32_e32 v2, v1
	s_and_saveexec_b64 s[48:49], s[28:29]
; %bb.19121:                            ;   in Loop: Header=BB6_18303 Depth=3
	v_bfe_u32 v2, v1, 21, 1
	v_add_co_u32_e64 v2, s[28:29], v1, v2
	v_add_co_u32_e64 v2, s[28:29], -1, v2
; %bb.19122:                            ;   in Loop: Header=BB6_18303 Depth=3
	s_or_b64 exec, exec, s[48:49]
	v_add_u32_e32 v3, 0xffffff81, v6
	v_mov_b32_e32 v6, 0xffffff82
	v_cndmask_b32_e32 v3, v3, v6, vcc
	v_lshrrev_b32_e32 v6, 23, v1
	v_add3_u32 v7, v7, v3, v6
	v_add_u32_e32 v6, 14, v7
	v_and_b32_e32 v2, 0x1fffff, v2
	v_add_u32_e32 v1, v2, v1
	v_mov_b32_e32 v2, v33
	v_cmp_ne_u32_e32 vcc, 0, v6
                                        ; implicit-def: $vgpr3
	s_and_saveexec_b64 s[28:29], vcc
	s_xor_b64 s[28:29], exec, s[28:29]
; %bb.19123:                            ;   in Loop: Header=BB6_18303 Depth=3
	v_cmp_lt_u64_e32 vcc, s[88:89], v[1:2]
	v_add_u32_e32 v3, 15, v7
	v_cndmask_b32_e32 v3, v6, v3, vcc
	v_cndmask_b32_e64 v6, 0, 1, vcc
	v_lshrrev_b64 v[1:2], v6, v[1:2]
; %bb.19124:                            ;   in Loop: Header=BB6_18303 Depth=3
	s_andn2_saveexec_b64 s[28:29], s[28:29]
; %bb.19125:                            ;   in Loop: Header=BB6_18303 Depth=3
	v_bfe_u32 v3, v1, 23, 1
; %bb.19126:                            ;   in Loop: Header=BB6_18303 Depth=3
	s_or_b64 exec, exec, s[28:29]
	v_lshrrev_b64 v[1:2], 21, v[1:2]
	v_cmp_gt_i32_e32 vcc, 32, v3
	v_cndmask_b32_e32 v2, 0, v2, vcc
	v_cndmask_b32_e32 v1, 3, v1, vcc
	v_cmp_ne_u64_e32 vcc, 0, v[1:2]
	v_cmp_ne_u32_e64 s[28:29], 0, v3
	s_or_b64 s[28:29], s[28:29], vcc
                                        ; implicit-def: $vgpr2
	buffer_store_dword v2, off, s[0:3], s33 offset:132 ; 4-byte Folded Spill
	s_nop 0
	buffer_store_dword v3, off, s[0:3], s33 offset:136 ; 4-byte Folded Spill
	s_and_saveexec_b64 s[62:63], s[28:29]
	s_xor_b64 s[28:29], exec, s[62:63]
	s_cbranch_execz .LBB6_19128
; %bb.19127:                            ;   in Loop: Header=BB6_18303 Depth=3
	v_min_i32_e32 v2, 31, v3
	v_lshl_or_b32 v2, v2, 2, v5
	v_and_or_b32 v1, v1, 3, v2
	buffer_store_dword v1, off, s[0:3], s33 offset:132 ; 4-byte Folded Spill
	s_nop 0
	buffer_store_dword v2, off, s[0:3], s33 offset:136 ; 4-byte Folded Spill
                                        ; implicit-def: $vgpr5
.LBB6_19128:                            ;   in Loop: Header=BB6_18303 Depth=3
	s_andn2_saveexec_b64 s[28:29], s[28:29]
	s_cbranch_execz .LBB6_19130
; %bb.19129:                            ;   in Loop: Header=BB6_18303 Depth=3
	v_mov_b32_e32 v1, v5
	buffer_store_dword v1, off, s[0:3], s33 offset:132 ; 4-byte Folded Spill
	s_nop 0
	buffer_store_dword v2, off, s[0:3], s33 offset:136 ; 4-byte Folded Spill
.LBB6_19130:                            ;   in Loop: Header=BB6_18303 Depth=3
	s_or_b64 exec, exec, s[28:29]
.LBB6_19131:                            ;   in Loop: Header=BB6_18303 Depth=3
	s_or_b64 exec, exec, s[38:39]
                                        ; implicit-def: $vgpr5
.LBB6_19132:                            ;   in Loop: Header=BB6_18303 Depth=3
	s_andn2_saveexec_b64 s[28:29], s[36:37]
	s_cbranch_execz .LBB6_19134
; %bb.19133:                            ;   in Loop: Header=BB6_18303 Depth=3
	v_or_b32_e32 v1, 0x7b, v5
	buffer_store_dword v1, off, s[0:3], s33 offset:132 ; 4-byte Folded Spill
	s_nop 0
	buffer_store_dword v2, off, s[0:3], s33 offset:136 ; 4-byte Folded Spill
.LBB6_19134:                            ;   in Loop: Header=BB6_18303 Depth=3
	s_or_b64 exec, exec, s[28:29]
                                        ; implicit-def: $vgpr3
                                        ; implicit-def: $vgpr1_vgpr2
.LBB6_19135:                            ;   in Loop: Header=BB6_18303 Depth=3
	s_andn2_saveexec_b64 s[28:29], s[34:35]
	s_cbranch_execz .LBB6_19141
; %bb.19136:                            ;   in Loop: Header=BB6_18303 Depth=3
	v_cmp_ne_u64_e32 vcc, 0, v[1:2]
                                        ; implicit-def: $vgpr1
	buffer_store_dword v1, off, s[0:3], s33 offset:132 ; 4-byte Folded Spill
	s_nop 0
	buffer_store_dword v2, off, s[0:3], s33 offset:136 ; 4-byte Folded Spill
	s_and_saveexec_b64 s[62:63], vcc
	s_xor_b64 vcc, exec, s[62:63]
	s_cbranch_execz .LBB6_19138
; %bb.19137:                            ;   in Loop: Header=BB6_18303 Depth=3
	v_or_b32_sdwa v1, v3, s44 dst_sel:DWORD dst_unused:UNUSED_PAD src0_sel:BYTE_3 src1_sel:DWORD
	buffer_store_dword v1, off, s[0:3], s33 offset:132 ; 4-byte Folded Spill
	s_nop 0
	buffer_store_dword v2, off, s[0:3], s33 offset:136 ; 4-byte Folded Spill
                                        ; implicit-def: $vgpr3
.LBB6_19138:                            ;   in Loop: Header=BB6_18303 Depth=3
	s_andn2_saveexec_b64 s[34:35], vcc
	s_cbranch_execz .LBB6_19140
; %bb.19139:                            ;   in Loop: Header=BB6_18303 Depth=3
	v_cmp_lt_i32_e32 vcc, -1, v3
	v_mov_b32_e32 v1, 0x7c
	v_cndmask_b32_e32 v1, -4, v1, vcc
	buffer_store_dword v1, off, s[0:3], s33 offset:132 ; 4-byte Folded Spill
	s_nop 0
	buffer_store_dword v2, off, s[0:3], s33 offset:136 ; 4-byte Folded Spill
.LBB6_19140:                            ;   in Loop: Header=BB6_18303 Depth=3
	s_or_b64 exec, exec, s[34:35]
.LBB6_19141:                            ;   in Loop: Header=BB6_18303 Depth=3
	s_or_b64 exec, exec, s[28:29]
	flat_load_sbyte v1, v[12:13] offset:1664 glc slc
	v_mov_b32_e32 v2, 0
	s_waitcnt vmcnt(0) lgkmcnt(0)
	v_cmp_ne_u16_e32 vcc, 0, v1
	s_and_saveexec_b64 s[28:29], vcc
	s_cbranch_execz .LBB6_19149
; %bb.19142:                            ;   in Loop: Header=BB6_18303 Depth=3
	v_cmp_ne_u16_e32 vcc, s46, v1
	v_bfrev_b32_e32 v2, 1
	s_and_saveexec_b64 s[34:35], vcc
	s_cbranch_execz .LBB6_19148
; %bb.19143:                            ;   in Loop: Header=BB6_18303 Depth=3
	v_and_b32_e32 v2, 0x7c, v1
	v_and_b32_e32 v3, 3, v1
	v_cmp_ne_u32_e32 vcc, s86, v2
                                        ; implicit-def: $vgpr2
	s_and_saveexec_b64 s[62:63], vcc
	s_xor_b64 s[36:37], exec, s[62:63]
	s_cbranch_execz .LBB6_19145
; %bb.19144:                            ;   in Loop: Header=BB6_18303 Depth=3
	v_and_b32_e32 v5, 0xff, v1
	v_bfe_u32 v7, v5, 2, 5
	v_ffbh_u32_e32 v5, v3
	v_min_u32_e32 v16, 32, v5
	v_mov_b32_e32 v2, v33
	v_subrev_u32_e32 v5, 29, v16
	v_lshlrev_b64 v[5:6], v5, v[1:2]
	v_sub_u32_e32 v2, 30, v16
	v_cmp_eq_u32_e32 vcc, 0, v7
	v_and_b32_e32 v5, 3, v5
	v_cndmask_b32_e32 v2, v7, v2, vcc
	v_and_b32_sdwa v1, sext(v1), s87 dst_sel:DWORD dst_unused:UNUSED_PAD src0_sel:WORD_0 src1_sel:DWORD
	v_cndmask_b32_e32 v3, v3, v5, vcc
	v_lshl_add_u32 v1, v2, 23, v1
	v_lshl_or_b32 v1, v3, 21, v1
	v_add_u32_e32 v2, 0x38000000, v1
                                        ; implicit-def: $vgpr3
                                        ; implicit-def: $vgpr1
.LBB6_19145:                            ;   in Loop: Header=BB6_18303 Depth=3
	s_andn2_saveexec_b64 s[36:37], s[36:37]
; %bb.19146:                            ;   in Loop: Header=BB6_18303 Depth=3
	v_cmp_lt_i16_e32 vcc, -1, v1
	v_mov_b32_e32 v1, 0xff800000
	v_mov_b32_e32 v2, 0x7f800000
	v_cndmask_b32_e32 v1, v1, v2, vcc
	v_cmp_eq_u32_e32 vcc, 0, v3
	v_mov_b32_e32 v2, 0x7f800001
	v_cndmask_b32_e32 v2, v2, v1, vcc
; %bb.19147:                            ;   in Loop: Header=BB6_18303 Depth=3
	s_or_b64 exec, exec, s[36:37]
.LBB6_19148:                            ;   in Loop: Header=BB6_18303 Depth=3
	s_or_b64 exec, exec, s[34:35]
.LBB6_19149:                            ;   in Loop: Header=BB6_18303 Depth=3
	s_or_b64 exec, exec, s[28:29]
	v_mul_f32_e32 v3, v4, v2
	v_and_b32_e32 v5, 0x7f800000, v3
	v_mov_b32_e32 v6, v33
	v_cmp_ne_u64_e32 vcc, s[76:77], v[5:6]
	v_and_b32_e32 v1, 0x7fffff, v3
	v_mov_b32_e32 v2, v33
                                        ; implicit-def: $vgpr5
	buffer_store_dword v5, off, s[0:3], s33 offset:124 ; 4-byte Folded Spill
	s_nop 0
	buffer_store_dword v6, off, s[0:3], s33 offset:128 ; 4-byte Folded Spill
	s_and_saveexec_b64 s[28:29], vcc
	s_xor_b64 s[34:35], exec, s[28:29]
	s_cbranch_execz .LBB6_19167
; %bb.19150:                            ;   in Loop: Header=BB6_18303 Depth=3
	v_and_b32_e32 v5, 0x7fffffff, v3
	v_mov_b32_e32 v6, v33
	v_cmp_gt_u64_e32 vcc, s[78:79], v[5:6]
	v_and_b32_sdwa v5, v3, s97 dst_sel:DWORD dst_unused:UNUSED_PAD src0_sel:BYTE_3 src1_sel:DWORD
                                        ; implicit-def: $vgpr6
	buffer_store_dword v6, off, s[0:3], s33 offset:124 ; 4-byte Folded Spill
	s_nop 0
	buffer_store_dword v7, off, s[0:3], s33 offset:128 ; 4-byte Folded Spill
	s_and_saveexec_b64 s[28:29], vcc
	s_xor_b64 s[36:37], exec, s[28:29]
	s_cbranch_execz .LBB6_19164
; %bb.19151:                            ;   in Loop: Header=BB6_18303 Depth=3
	v_cmp_ne_u32_e32 vcc, 0, v3
	v_mov_b32_e32 v6, 0
	buffer_store_dword v6, off, s[0:3], s33 offset:124 ; 4-byte Folded Spill
	s_nop 0
	buffer_store_dword v7, off, s[0:3], s33 offset:128 ; 4-byte Folded Spill
	s_and_saveexec_b64 s[38:39], vcc
	s_cbranch_execz .LBB6_19163
; %bb.19152:                            ;   in Loop: Header=BB6_18303 Depth=3
	v_bfe_u32 v6, v3, 23, 8
	v_cmp_gt_u32_e64 s[28:29], s47, v6
	v_sub_u32_e32 v3, 0x71, v6
	v_cmp_eq_u32_e32 vcc, 0, v6
	v_cndmask_b32_e64 v3, 0, v3, s[28:29]
	v_mov_b32_e32 v7, 0x70
	v_cndmask_b32_e32 v7, v3, v7, vcc
	v_or_b32_e32 v16, 0x800000, v1
	v_add_u32_e32 v3, 21, v7
	v_cndmask_b32_e32 v1, v16, v1, vcc
	v_lshlrev_b64 v[16:17], v3, -1
	v_add_u32_e32 v3, 20, v7
	v_bfi_b32 v16, v16, 0, v1
	v_lshlrev_b64 v[18:19], v3, 1
	v_lshrrev_b64 v[1:2], v7, v[1:2]
	v_bfi_b32 v17, v17, 0, 0
	v_cmp_eq_u64_e64 s[28:29], v[16:17], v[18:19]
	v_mov_b32_e32 v3, v2
	v_mov_b32_e32 v2, v1
	s_and_saveexec_b64 s[48:49], s[28:29]
; %bb.19153:                            ;   in Loop: Header=BB6_18303 Depth=3
	v_bfe_u32 v2, v1, 21, 1
	v_add_co_u32_e64 v2, s[28:29], v1, v2
	v_add_co_u32_e64 v2, s[28:29], -1, v2
; %bb.19154:                            ;   in Loop: Header=BB6_18303 Depth=3
	s_or_b64 exec, exec, s[48:49]
	v_add_u32_e32 v3, 0xffffff81, v6
	v_mov_b32_e32 v6, 0xffffff82
	v_cndmask_b32_e32 v3, v3, v6, vcc
	v_lshrrev_b32_e32 v6, 23, v1
	v_add3_u32 v7, v7, v3, v6
	v_add_u32_e32 v6, 14, v7
	v_and_b32_e32 v2, 0x1fffff, v2
	v_add_u32_e32 v1, v2, v1
	v_mov_b32_e32 v2, v33
	v_cmp_ne_u32_e32 vcc, 0, v6
                                        ; implicit-def: $vgpr3
	s_and_saveexec_b64 s[28:29], vcc
	s_xor_b64 s[28:29], exec, s[28:29]
; %bb.19155:                            ;   in Loop: Header=BB6_18303 Depth=3
	v_cmp_lt_u64_e32 vcc, s[88:89], v[1:2]
	v_add_u32_e32 v3, 15, v7
	v_cndmask_b32_e32 v3, v6, v3, vcc
	v_cndmask_b32_e64 v6, 0, 1, vcc
	v_lshrrev_b64 v[1:2], v6, v[1:2]
; %bb.19156:                            ;   in Loop: Header=BB6_18303 Depth=3
	s_andn2_saveexec_b64 s[28:29], s[28:29]
; %bb.19157:                            ;   in Loop: Header=BB6_18303 Depth=3
	v_bfe_u32 v3, v1, 23, 1
; %bb.19158:                            ;   in Loop: Header=BB6_18303 Depth=3
	s_or_b64 exec, exec, s[28:29]
	v_lshrrev_b64 v[1:2], 21, v[1:2]
	v_cmp_gt_i32_e32 vcc, 32, v3
	v_cndmask_b32_e32 v2, 0, v2, vcc
	v_cndmask_b32_e32 v1, 3, v1, vcc
	v_cmp_ne_u64_e32 vcc, 0, v[1:2]
	v_cmp_ne_u32_e64 s[28:29], 0, v3
	s_or_b64 s[28:29], s[28:29], vcc
                                        ; implicit-def: $vgpr2
	buffer_store_dword v2, off, s[0:3], s33 offset:124 ; 4-byte Folded Spill
	s_nop 0
	buffer_store_dword v3, off, s[0:3], s33 offset:128 ; 4-byte Folded Spill
	s_and_saveexec_b64 s[62:63], s[28:29]
	s_xor_b64 s[28:29], exec, s[62:63]
	s_cbranch_execz .LBB6_19160
; %bb.19159:                            ;   in Loop: Header=BB6_18303 Depth=3
	v_min_i32_e32 v2, 31, v3
	v_lshl_or_b32 v2, v2, 2, v5
	v_and_or_b32 v1, v1, 3, v2
	buffer_store_dword v1, off, s[0:3], s33 offset:124 ; 4-byte Folded Spill
	s_nop 0
	buffer_store_dword v2, off, s[0:3], s33 offset:128 ; 4-byte Folded Spill
                                        ; implicit-def: $vgpr5
.LBB6_19160:                            ;   in Loop: Header=BB6_18303 Depth=3
	s_andn2_saveexec_b64 s[28:29], s[28:29]
	s_cbranch_execz .LBB6_19162
; %bb.19161:                            ;   in Loop: Header=BB6_18303 Depth=3
	v_mov_b32_e32 v1, v5
	buffer_store_dword v1, off, s[0:3], s33 offset:124 ; 4-byte Folded Spill
	s_nop 0
	buffer_store_dword v2, off, s[0:3], s33 offset:128 ; 4-byte Folded Spill
.LBB6_19162:                            ;   in Loop: Header=BB6_18303 Depth=3
	s_or_b64 exec, exec, s[28:29]
.LBB6_19163:                            ;   in Loop: Header=BB6_18303 Depth=3
	s_or_b64 exec, exec, s[38:39]
                                        ; implicit-def: $vgpr5
.LBB6_19164:                            ;   in Loop: Header=BB6_18303 Depth=3
	s_andn2_saveexec_b64 s[28:29], s[36:37]
	s_cbranch_execz .LBB6_19166
; %bb.19165:                            ;   in Loop: Header=BB6_18303 Depth=3
	v_or_b32_e32 v1, 0x7b, v5
	buffer_store_dword v1, off, s[0:3], s33 offset:124 ; 4-byte Folded Spill
	s_nop 0
	buffer_store_dword v2, off, s[0:3], s33 offset:128 ; 4-byte Folded Spill
.LBB6_19166:                            ;   in Loop: Header=BB6_18303 Depth=3
	s_or_b64 exec, exec, s[28:29]
                                        ; implicit-def: $vgpr3
                                        ; implicit-def: $vgpr1_vgpr2
.LBB6_19167:                            ;   in Loop: Header=BB6_18303 Depth=3
	s_andn2_saveexec_b64 s[28:29], s[34:35]
	s_cbranch_execz .LBB6_19173
; %bb.19168:                            ;   in Loop: Header=BB6_18303 Depth=3
	v_cmp_ne_u64_e32 vcc, 0, v[1:2]
                                        ; implicit-def: $vgpr1
	buffer_store_dword v1, off, s[0:3], s33 offset:124 ; 4-byte Folded Spill
	s_nop 0
	buffer_store_dword v2, off, s[0:3], s33 offset:128 ; 4-byte Folded Spill
	s_and_saveexec_b64 s[62:63], vcc
	s_xor_b64 vcc, exec, s[62:63]
	s_cbranch_execz .LBB6_19170
; %bb.19169:                            ;   in Loop: Header=BB6_18303 Depth=3
	v_or_b32_sdwa v1, v3, s44 dst_sel:DWORD dst_unused:UNUSED_PAD src0_sel:BYTE_3 src1_sel:DWORD
	buffer_store_dword v1, off, s[0:3], s33 offset:124 ; 4-byte Folded Spill
	s_nop 0
	buffer_store_dword v2, off, s[0:3], s33 offset:128 ; 4-byte Folded Spill
                                        ; implicit-def: $vgpr3
.LBB6_19170:                            ;   in Loop: Header=BB6_18303 Depth=3
	s_andn2_saveexec_b64 s[34:35], vcc
	s_cbranch_execz .LBB6_19172
; %bb.19171:                            ;   in Loop: Header=BB6_18303 Depth=3
	v_cmp_lt_i32_e32 vcc, -1, v3
	v_mov_b32_e32 v1, 0x7c
	v_cndmask_b32_e32 v1, -4, v1, vcc
	buffer_store_dword v1, off, s[0:3], s33 offset:124 ; 4-byte Folded Spill
	s_nop 0
	buffer_store_dword v2, off, s[0:3], s33 offset:128 ; 4-byte Folded Spill
.LBB6_19172:                            ;   in Loop: Header=BB6_18303 Depth=3
	s_or_b64 exec, exec, s[34:35]
.LBB6_19173:                            ;   in Loop: Header=BB6_18303 Depth=3
	s_or_b64 exec, exec, s[28:29]
	flat_load_sbyte v1, v[12:13] offset:1728 glc slc
	v_mov_b32_e32 v2, 0
	s_waitcnt vmcnt(0) lgkmcnt(0)
	v_cmp_ne_u16_e32 vcc, 0, v1
	s_and_saveexec_b64 s[28:29], vcc
	s_cbranch_execz .LBB6_19181
; %bb.19174:                            ;   in Loop: Header=BB6_18303 Depth=3
	v_cmp_ne_u16_e32 vcc, s46, v1
	v_bfrev_b32_e32 v2, 1
	s_and_saveexec_b64 s[34:35], vcc
	s_cbranch_execz .LBB6_19180
; %bb.19175:                            ;   in Loop: Header=BB6_18303 Depth=3
	v_and_b32_e32 v2, 0x7c, v1
	v_and_b32_e32 v3, 3, v1
	v_cmp_ne_u32_e32 vcc, s86, v2
                                        ; implicit-def: $vgpr2
	s_and_saveexec_b64 s[62:63], vcc
	s_xor_b64 s[36:37], exec, s[62:63]
	s_cbranch_execz .LBB6_19177
; %bb.19176:                            ;   in Loop: Header=BB6_18303 Depth=3
	v_and_b32_e32 v5, 0xff, v1
	v_bfe_u32 v7, v5, 2, 5
	v_ffbh_u32_e32 v5, v3
	v_min_u32_e32 v16, 32, v5
	v_mov_b32_e32 v2, v33
	v_subrev_u32_e32 v5, 29, v16
	v_lshlrev_b64 v[5:6], v5, v[1:2]
	v_sub_u32_e32 v2, 30, v16
	v_cmp_eq_u32_e32 vcc, 0, v7
	v_and_b32_e32 v5, 3, v5
	v_cndmask_b32_e32 v2, v7, v2, vcc
	v_and_b32_sdwa v1, sext(v1), s87 dst_sel:DWORD dst_unused:UNUSED_PAD src0_sel:WORD_0 src1_sel:DWORD
	v_cndmask_b32_e32 v3, v3, v5, vcc
	v_lshl_add_u32 v1, v2, 23, v1
	v_lshl_or_b32 v1, v3, 21, v1
	v_add_u32_e32 v2, 0x38000000, v1
                                        ; implicit-def: $vgpr3
                                        ; implicit-def: $vgpr1
.LBB6_19177:                            ;   in Loop: Header=BB6_18303 Depth=3
	s_andn2_saveexec_b64 s[36:37], s[36:37]
; %bb.19178:                            ;   in Loop: Header=BB6_18303 Depth=3
	v_cmp_lt_i16_e32 vcc, -1, v1
	v_mov_b32_e32 v1, 0xff800000
	v_mov_b32_e32 v2, 0x7f800000
	v_cndmask_b32_e32 v1, v1, v2, vcc
	v_cmp_eq_u32_e32 vcc, 0, v3
	v_mov_b32_e32 v2, 0x7f800001
	v_cndmask_b32_e32 v2, v2, v1, vcc
; %bb.19179:                            ;   in Loop: Header=BB6_18303 Depth=3
	s_or_b64 exec, exec, s[36:37]
.LBB6_19180:                            ;   in Loop: Header=BB6_18303 Depth=3
	s_or_b64 exec, exec, s[34:35]
.LBB6_19181:                            ;   in Loop: Header=BB6_18303 Depth=3
	s_or_b64 exec, exec, s[28:29]
	v_mul_f32_e32 v3, v4, v2
	v_and_b32_e32 v5, 0x7f800000, v3
	v_mov_b32_e32 v6, v33
	v_cmp_ne_u64_e32 vcc, s[76:77], v[5:6]
	v_and_b32_e32 v1, 0x7fffff, v3
	v_mov_b32_e32 v2, v33
                                        ; implicit-def: $vgpr5
	buffer_store_dword v5, off, s[0:3], s33 offset:116 ; 4-byte Folded Spill
	s_nop 0
	buffer_store_dword v6, off, s[0:3], s33 offset:120 ; 4-byte Folded Spill
	s_and_saveexec_b64 s[28:29], vcc
	s_xor_b64 s[34:35], exec, s[28:29]
	s_cbranch_execz .LBB6_19199
; %bb.19182:                            ;   in Loop: Header=BB6_18303 Depth=3
	v_and_b32_e32 v5, 0x7fffffff, v3
	v_mov_b32_e32 v6, v33
	v_cmp_gt_u64_e32 vcc, s[78:79], v[5:6]
	v_and_b32_sdwa v5, v3, s97 dst_sel:DWORD dst_unused:UNUSED_PAD src0_sel:BYTE_3 src1_sel:DWORD
                                        ; implicit-def: $vgpr6
	buffer_store_dword v6, off, s[0:3], s33 offset:116 ; 4-byte Folded Spill
	s_nop 0
	buffer_store_dword v7, off, s[0:3], s33 offset:120 ; 4-byte Folded Spill
	s_and_saveexec_b64 s[28:29], vcc
	s_xor_b64 s[36:37], exec, s[28:29]
	s_cbranch_execz .LBB6_19196
; %bb.19183:                            ;   in Loop: Header=BB6_18303 Depth=3
	v_cmp_ne_u32_e32 vcc, 0, v3
	v_mov_b32_e32 v6, 0
	buffer_store_dword v6, off, s[0:3], s33 offset:116 ; 4-byte Folded Spill
	s_nop 0
	buffer_store_dword v7, off, s[0:3], s33 offset:120 ; 4-byte Folded Spill
	s_and_saveexec_b64 s[38:39], vcc
	s_cbranch_execz .LBB6_19195
; %bb.19184:                            ;   in Loop: Header=BB6_18303 Depth=3
	v_bfe_u32 v6, v3, 23, 8
	v_cmp_gt_u32_e64 s[28:29], s47, v6
	v_sub_u32_e32 v3, 0x71, v6
	v_cmp_eq_u32_e32 vcc, 0, v6
	v_cndmask_b32_e64 v3, 0, v3, s[28:29]
	v_mov_b32_e32 v7, 0x70
	v_cndmask_b32_e32 v7, v3, v7, vcc
	v_or_b32_e32 v16, 0x800000, v1
	v_add_u32_e32 v3, 21, v7
	v_cndmask_b32_e32 v1, v16, v1, vcc
	v_lshlrev_b64 v[16:17], v3, -1
	v_add_u32_e32 v3, 20, v7
	v_bfi_b32 v16, v16, 0, v1
	v_lshlrev_b64 v[18:19], v3, 1
	v_lshrrev_b64 v[1:2], v7, v[1:2]
	v_bfi_b32 v17, v17, 0, 0
	v_cmp_eq_u64_e64 s[28:29], v[16:17], v[18:19]
	v_mov_b32_e32 v3, v2
	v_mov_b32_e32 v2, v1
	s_and_saveexec_b64 s[48:49], s[28:29]
; %bb.19185:                            ;   in Loop: Header=BB6_18303 Depth=3
	v_bfe_u32 v2, v1, 21, 1
	v_add_co_u32_e64 v2, s[28:29], v1, v2
	v_add_co_u32_e64 v2, s[28:29], -1, v2
; %bb.19186:                            ;   in Loop: Header=BB6_18303 Depth=3
	s_or_b64 exec, exec, s[48:49]
	v_add_u32_e32 v3, 0xffffff81, v6
	v_mov_b32_e32 v6, 0xffffff82
	v_cndmask_b32_e32 v3, v3, v6, vcc
	v_lshrrev_b32_e32 v6, 23, v1
	v_add3_u32 v7, v7, v3, v6
	v_add_u32_e32 v6, 14, v7
	v_and_b32_e32 v2, 0x1fffff, v2
	v_add_u32_e32 v1, v2, v1
	v_mov_b32_e32 v2, v33
	v_cmp_ne_u32_e32 vcc, 0, v6
                                        ; implicit-def: $vgpr3
	s_and_saveexec_b64 s[28:29], vcc
	s_xor_b64 s[28:29], exec, s[28:29]
; %bb.19187:                            ;   in Loop: Header=BB6_18303 Depth=3
	v_cmp_lt_u64_e32 vcc, s[88:89], v[1:2]
	v_add_u32_e32 v3, 15, v7
	v_cndmask_b32_e32 v3, v6, v3, vcc
	v_cndmask_b32_e64 v6, 0, 1, vcc
	v_lshrrev_b64 v[1:2], v6, v[1:2]
; %bb.19188:                            ;   in Loop: Header=BB6_18303 Depth=3
	s_andn2_saveexec_b64 s[28:29], s[28:29]
; %bb.19189:                            ;   in Loop: Header=BB6_18303 Depth=3
	v_bfe_u32 v3, v1, 23, 1
; %bb.19190:                            ;   in Loop: Header=BB6_18303 Depth=3
	s_or_b64 exec, exec, s[28:29]
	v_lshrrev_b64 v[1:2], 21, v[1:2]
	v_cmp_gt_i32_e32 vcc, 32, v3
	v_cndmask_b32_e32 v2, 0, v2, vcc
	v_cndmask_b32_e32 v1, 3, v1, vcc
	v_cmp_ne_u64_e32 vcc, 0, v[1:2]
	v_cmp_ne_u32_e64 s[28:29], 0, v3
	s_or_b64 s[28:29], s[28:29], vcc
                                        ; implicit-def: $vgpr2
	buffer_store_dword v2, off, s[0:3], s33 offset:116 ; 4-byte Folded Spill
	s_nop 0
	buffer_store_dword v3, off, s[0:3], s33 offset:120 ; 4-byte Folded Spill
	s_and_saveexec_b64 s[62:63], s[28:29]
	s_xor_b64 s[28:29], exec, s[62:63]
	s_cbranch_execz .LBB6_19192
; %bb.19191:                            ;   in Loop: Header=BB6_18303 Depth=3
	v_min_i32_e32 v2, 31, v3
	v_lshl_or_b32 v2, v2, 2, v5
	v_and_or_b32 v1, v1, 3, v2
	buffer_store_dword v1, off, s[0:3], s33 offset:116 ; 4-byte Folded Spill
	s_nop 0
	buffer_store_dword v2, off, s[0:3], s33 offset:120 ; 4-byte Folded Spill
                                        ; implicit-def: $vgpr5
.LBB6_19192:                            ;   in Loop: Header=BB6_18303 Depth=3
	s_andn2_saveexec_b64 s[28:29], s[28:29]
	s_cbranch_execz .LBB6_19194
; %bb.19193:                            ;   in Loop: Header=BB6_18303 Depth=3
	v_mov_b32_e32 v1, v5
	buffer_store_dword v1, off, s[0:3], s33 offset:116 ; 4-byte Folded Spill
	s_nop 0
	buffer_store_dword v2, off, s[0:3], s33 offset:120 ; 4-byte Folded Spill
.LBB6_19194:                            ;   in Loop: Header=BB6_18303 Depth=3
	s_or_b64 exec, exec, s[28:29]
.LBB6_19195:                            ;   in Loop: Header=BB6_18303 Depth=3
	s_or_b64 exec, exec, s[38:39]
                                        ; implicit-def: $vgpr5
.LBB6_19196:                            ;   in Loop: Header=BB6_18303 Depth=3
	s_andn2_saveexec_b64 s[28:29], s[36:37]
	s_cbranch_execz .LBB6_19198
; %bb.19197:                            ;   in Loop: Header=BB6_18303 Depth=3
	v_or_b32_e32 v1, 0x7b, v5
	buffer_store_dword v1, off, s[0:3], s33 offset:116 ; 4-byte Folded Spill
	s_nop 0
	buffer_store_dword v2, off, s[0:3], s33 offset:120 ; 4-byte Folded Spill
.LBB6_19198:                            ;   in Loop: Header=BB6_18303 Depth=3
	s_or_b64 exec, exec, s[28:29]
                                        ; implicit-def: $vgpr3
                                        ; implicit-def: $vgpr1_vgpr2
.LBB6_19199:                            ;   in Loop: Header=BB6_18303 Depth=3
	s_andn2_saveexec_b64 s[28:29], s[34:35]
	s_cbranch_execz .LBB6_19205
; %bb.19200:                            ;   in Loop: Header=BB6_18303 Depth=3
	v_cmp_ne_u64_e32 vcc, 0, v[1:2]
                                        ; implicit-def: $vgpr1
	buffer_store_dword v1, off, s[0:3], s33 offset:116 ; 4-byte Folded Spill
	s_nop 0
	buffer_store_dword v2, off, s[0:3], s33 offset:120 ; 4-byte Folded Spill
	s_and_saveexec_b64 s[62:63], vcc
	s_xor_b64 vcc, exec, s[62:63]
	s_cbranch_execz .LBB6_19202
; %bb.19201:                            ;   in Loop: Header=BB6_18303 Depth=3
	v_or_b32_sdwa v1, v3, s44 dst_sel:DWORD dst_unused:UNUSED_PAD src0_sel:BYTE_3 src1_sel:DWORD
	buffer_store_dword v1, off, s[0:3], s33 offset:116 ; 4-byte Folded Spill
	s_nop 0
	buffer_store_dword v2, off, s[0:3], s33 offset:120 ; 4-byte Folded Spill
                                        ; implicit-def: $vgpr3
.LBB6_19202:                            ;   in Loop: Header=BB6_18303 Depth=3
	s_andn2_saveexec_b64 s[34:35], vcc
	s_cbranch_execz .LBB6_19204
; %bb.19203:                            ;   in Loop: Header=BB6_18303 Depth=3
	v_cmp_lt_i32_e32 vcc, -1, v3
	v_mov_b32_e32 v1, 0x7c
	v_cndmask_b32_e32 v1, -4, v1, vcc
	buffer_store_dword v1, off, s[0:3], s33 offset:116 ; 4-byte Folded Spill
	s_nop 0
	buffer_store_dword v2, off, s[0:3], s33 offset:120 ; 4-byte Folded Spill
.LBB6_19204:                            ;   in Loop: Header=BB6_18303 Depth=3
	s_or_b64 exec, exec, s[34:35]
.LBB6_19205:                            ;   in Loop: Header=BB6_18303 Depth=3
	s_or_b64 exec, exec, s[28:29]
	flat_load_sbyte v1, v[12:13] offset:1792 glc slc
	v_mov_b32_e32 v2, 0
	s_waitcnt vmcnt(0) lgkmcnt(0)
	v_cmp_ne_u16_e32 vcc, 0, v1
	s_and_saveexec_b64 s[28:29], vcc
	s_cbranch_execz .LBB6_19213
; %bb.19206:                            ;   in Loop: Header=BB6_18303 Depth=3
	v_cmp_ne_u16_e32 vcc, s46, v1
	v_bfrev_b32_e32 v2, 1
	s_and_saveexec_b64 s[34:35], vcc
	s_cbranch_execz .LBB6_19212
; %bb.19207:                            ;   in Loop: Header=BB6_18303 Depth=3
	v_and_b32_e32 v2, 0x7c, v1
	v_and_b32_e32 v3, 3, v1
	v_cmp_ne_u32_e32 vcc, s86, v2
                                        ; implicit-def: $vgpr2
	s_and_saveexec_b64 s[62:63], vcc
	s_xor_b64 s[36:37], exec, s[62:63]
	s_cbranch_execz .LBB6_19209
; %bb.19208:                            ;   in Loop: Header=BB6_18303 Depth=3
	v_and_b32_e32 v5, 0xff, v1
	v_bfe_u32 v7, v5, 2, 5
	v_ffbh_u32_e32 v5, v3
	v_min_u32_e32 v16, 32, v5
	v_mov_b32_e32 v2, v33
	v_subrev_u32_e32 v5, 29, v16
	v_lshlrev_b64 v[5:6], v5, v[1:2]
	v_sub_u32_e32 v2, 30, v16
	v_cmp_eq_u32_e32 vcc, 0, v7
	v_and_b32_e32 v5, 3, v5
	v_cndmask_b32_e32 v2, v7, v2, vcc
	v_and_b32_sdwa v1, sext(v1), s87 dst_sel:DWORD dst_unused:UNUSED_PAD src0_sel:WORD_0 src1_sel:DWORD
	v_cndmask_b32_e32 v3, v3, v5, vcc
	v_lshl_add_u32 v1, v2, 23, v1
	v_lshl_or_b32 v1, v3, 21, v1
	v_add_u32_e32 v2, 0x38000000, v1
                                        ; implicit-def: $vgpr3
                                        ; implicit-def: $vgpr1
.LBB6_19209:                            ;   in Loop: Header=BB6_18303 Depth=3
	s_andn2_saveexec_b64 s[36:37], s[36:37]
; %bb.19210:                            ;   in Loop: Header=BB6_18303 Depth=3
	v_cmp_lt_i16_e32 vcc, -1, v1
	v_mov_b32_e32 v1, 0xff800000
	v_mov_b32_e32 v2, 0x7f800000
	v_cndmask_b32_e32 v1, v1, v2, vcc
	v_cmp_eq_u32_e32 vcc, 0, v3
	v_mov_b32_e32 v2, 0x7f800001
	v_cndmask_b32_e32 v2, v2, v1, vcc
; %bb.19211:                            ;   in Loop: Header=BB6_18303 Depth=3
	s_or_b64 exec, exec, s[36:37]
.LBB6_19212:                            ;   in Loop: Header=BB6_18303 Depth=3
	s_or_b64 exec, exec, s[34:35]
.LBB6_19213:                            ;   in Loop: Header=BB6_18303 Depth=3
	s_or_b64 exec, exec, s[28:29]
	v_mul_f32_e32 v3, v4, v2
	v_and_b32_e32 v5, 0x7f800000, v3
	v_mov_b32_e32 v6, v33
	v_cmp_ne_u64_e32 vcc, s[76:77], v[5:6]
	v_and_b32_e32 v1, 0x7fffff, v3
	v_mov_b32_e32 v2, v33
                                        ; implicit-def: $vgpr5
	buffer_store_dword v5, off, s[0:3], s33 offset:108 ; 4-byte Folded Spill
	s_nop 0
	buffer_store_dword v6, off, s[0:3], s33 offset:112 ; 4-byte Folded Spill
	s_and_saveexec_b64 s[28:29], vcc
	s_xor_b64 s[34:35], exec, s[28:29]
	s_cbranch_execz .LBB6_19231
; %bb.19214:                            ;   in Loop: Header=BB6_18303 Depth=3
	v_and_b32_e32 v5, 0x7fffffff, v3
	v_mov_b32_e32 v6, v33
	v_cmp_gt_u64_e32 vcc, s[78:79], v[5:6]
	v_and_b32_sdwa v5, v3, s97 dst_sel:DWORD dst_unused:UNUSED_PAD src0_sel:BYTE_3 src1_sel:DWORD
                                        ; implicit-def: $vgpr6
	buffer_store_dword v6, off, s[0:3], s33 offset:108 ; 4-byte Folded Spill
	s_nop 0
	buffer_store_dword v7, off, s[0:3], s33 offset:112 ; 4-byte Folded Spill
	s_and_saveexec_b64 s[28:29], vcc
	s_xor_b64 s[36:37], exec, s[28:29]
	s_cbranch_execz .LBB6_19228
; %bb.19215:                            ;   in Loop: Header=BB6_18303 Depth=3
	v_cmp_ne_u32_e32 vcc, 0, v3
	v_mov_b32_e32 v6, 0
	buffer_store_dword v6, off, s[0:3], s33 offset:108 ; 4-byte Folded Spill
	s_nop 0
	buffer_store_dword v7, off, s[0:3], s33 offset:112 ; 4-byte Folded Spill
	s_and_saveexec_b64 s[38:39], vcc
	s_cbranch_execz .LBB6_19227
; %bb.19216:                            ;   in Loop: Header=BB6_18303 Depth=3
	v_bfe_u32 v6, v3, 23, 8
	v_cmp_gt_u32_e64 s[28:29], s47, v6
	v_sub_u32_e32 v3, 0x71, v6
	v_cmp_eq_u32_e32 vcc, 0, v6
	v_cndmask_b32_e64 v3, 0, v3, s[28:29]
	v_mov_b32_e32 v7, 0x70
	v_cndmask_b32_e32 v7, v3, v7, vcc
	v_or_b32_e32 v16, 0x800000, v1
	v_add_u32_e32 v3, 21, v7
	v_cndmask_b32_e32 v1, v16, v1, vcc
	v_lshlrev_b64 v[16:17], v3, -1
	v_add_u32_e32 v3, 20, v7
	v_bfi_b32 v16, v16, 0, v1
	v_lshlrev_b64 v[18:19], v3, 1
	v_lshrrev_b64 v[1:2], v7, v[1:2]
	v_bfi_b32 v17, v17, 0, 0
	v_cmp_eq_u64_e64 s[28:29], v[16:17], v[18:19]
	v_mov_b32_e32 v3, v2
	v_mov_b32_e32 v2, v1
	s_and_saveexec_b64 s[48:49], s[28:29]
; %bb.19217:                            ;   in Loop: Header=BB6_18303 Depth=3
	v_bfe_u32 v2, v1, 21, 1
	v_add_co_u32_e64 v2, s[28:29], v1, v2
	v_add_co_u32_e64 v2, s[28:29], -1, v2
; %bb.19218:                            ;   in Loop: Header=BB6_18303 Depth=3
	s_or_b64 exec, exec, s[48:49]
	v_add_u32_e32 v3, 0xffffff81, v6
	v_mov_b32_e32 v6, 0xffffff82
	v_cndmask_b32_e32 v3, v3, v6, vcc
	v_lshrrev_b32_e32 v6, 23, v1
	v_add3_u32 v7, v7, v3, v6
	v_add_u32_e32 v6, 14, v7
	v_and_b32_e32 v2, 0x1fffff, v2
	v_add_u32_e32 v1, v2, v1
	v_mov_b32_e32 v2, v33
	v_cmp_ne_u32_e32 vcc, 0, v6
                                        ; implicit-def: $vgpr3
	s_and_saveexec_b64 s[28:29], vcc
	s_xor_b64 s[28:29], exec, s[28:29]
; %bb.19219:                            ;   in Loop: Header=BB6_18303 Depth=3
	v_cmp_lt_u64_e32 vcc, s[88:89], v[1:2]
	v_add_u32_e32 v3, 15, v7
	v_cndmask_b32_e32 v3, v6, v3, vcc
	v_cndmask_b32_e64 v6, 0, 1, vcc
	v_lshrrev_b64 v[1:2], v6, v[1:2]
; %bb.19220:                            ;   in Loop: Header=BB6_18303 Depth=3
	s_andn2_saveexec_b64 s[28:29], s[28:29]
; %bb.19221:                            ;   in Loop: Header=BB6_18303 Depth=3
	v_bfe_u32 v3, v1, 23, 1
; %bb.19222:                            ;   in Loop: Header=BB6_18303 Depth=3
	s_or_b64 exec, exec, s[28:29]
	v_lshrrev_b64 v[1:2], 21, v[1:2]
	v_cmp_gt_i32_e32 vcc, 32, v3
	v_cndmask_b32_e32 v2, 0, v2, vcc
	v_cndmask_b32_e32 v1, 3, v1, vcc
	v_cmp_ne_u64_e32 vcc, 0, v[1:2]
	v_cmp_ne_u32_e64 s[28:29], 0, v3
	s_or_b64 s[28:29], s[28:29], vcc
                                        ; implicit-def: $vgpr2
	buffer_store_dword v2, off, s[0:3], s33 offset:108 ; 4-byte Folded Spill
	s_nop 0
	buffer_store_dword v3, off, s[0:3], s33 offset:112 ; 4-byte Folded Spill
	s_and_saveexec_b64 s[62:63], s[28:29]
	s_xor_b64 s[28:29], exec, s[62:63]
	s_cbranch_execz .LBB6_19224
; %bb.19223:                            ;   in Loop: Header=BB6_18303 Depth=3
	v_min_i32_e32 v2, 31, v3
	v_lshl_or_b32 v2, v2, 2, v5
	v_and_or_b32 v1, v1, 3, v2
	buffer_store_dword v1, off, s[0:3], s33 offset:108 ; 4-byte Folded Spill
	s_nop 0
	buffer_store_dword v2, off, s[0:3], s33 offset:112 ; 4-byte Folded Spill
                                        ; implicit-def: $vgpr5
.LBB6_19224:                            ;   in Loop: Header=BB6_18303 Depth=3
	s_andn2_saveexec_b64 s[28:29], s[28:29]
	s_cbranch_execz .LBB6_19226
; %bb.19225:                            ;   in Loop: Header=BB6_18303 Depth=3
	v_mov_b32_e32 v1, v5
	buffer_store_dword v1, off, s[0:3], s33 offset:108 ; 4-byte Folded Spill
	s_nop 0
	buffer_store_dword v2, off, s[0:3], s33 offset:112 ; 4-byte Folded Spill
.LBB6_19226:                            ;   in Loop: Header=BB6_18303 Depth=3
	s_or_b64 exec, exec, s[28:29]
.LBB6_19227:                            ;   in Loop: Header=BB6_18303 Depth=3
	s_or_b64 exec, exec, s[38:39]
                                        ; implicit-def: $vgpr5
.LBB6_19228:                            ;   in Loop: Header=BB6_18303 Depth=3
	s_andn2_saveexec_b64 s[28:29], s[36:37]
	s_cbranch_execz .LBB6_19230
; %bb.19229:                            ;   in Loop: Header=BB6_18303 Depth=3
	v_or_b32_e32 v1, 0x7b, v5
	buffer_store_dword v1, off, s[0:3], s33 offset:108 ; 4-byte Folded Spill
	s_nop 0
	buffer_store_dword v2, off, s[0:3], s33 offset:112 ; 4-byte Folded Spill
.LBB6_19230:                            ;   in Loop: Header=BB6_18303 Depth=3
	s_or_b64 exec, exec, s[28:29]
                                        ; implicit-def: $vgpr3
                                        ; implicit-def: $vgpr1_vgpr2
.LBB6_19231:                            ;   in Loop: Header=BB6_18303 Depth=3
	s_andn2_saveexec_b64 s[28:29], s[34:35]
	s_cbranch_execz .LBB6_19237
; %bb.19232:                            ;   in Loop: Header=BB6_18303 Depth=3
	v_cmp_ne_u64_e32 vcc, 0, v[1:2]
                                        ; implicit-def: $vgpr1
	buffer_store_dword v1, off, s[0:3], s33 offset:108 ; 4-byte Folded Spill
	s_nop 0
	buffer_store_dword v2, off, s[0:3], s33 offset:112 ; 4-byte Folded Spill
	s_and_saveexec_b64 s[62:63], vcc
	s_xor_b64 vcc, exec, s[62:63]
	s_cbranch_execz .LBB6_19234
; %bb.19233:                            ;   in Loop: Header=BB6_18303 Depth=3
	v_or_b32_sdwa v1, v3, s44 dst_sel:DWORD dst_unused:UNUSED_PAD src0_sel:BYTE_3 src1_sel:DWORD
	buffer_store_dword v1, off, s[0:3], s33 offset:108 ; 4-byte Folded Spill
	s_nop 0
	buffer_store_dword v2, off, s[0:3], s33 offset:112 ; 4-byte Folded Spill
                                        ; implicit-def: $vgpr3
.LBB6_19234:                            ;   in Loop: Header=BB6_18303 Depth=3
	s_andn2_saveexec_b64 s[34:35], vcc
	s_cbranch_execz .LBB6_19236
; %bb.19235:                            ;   in Loop: Header=BB6_18303 Depth=3
	v_cmp_lt_i32_e32 vcc, -1, v3
	v_mov_b32_e32 v1, 0x7c
	v_cndmask_b32_e32 v1, -4, v1, vcc
	buffer_store_dword v1, off, s[0:3], s33 offset:108 ; 4-byte Folded Spill
	s_nop 0
	buffer_store_dword v2, off, s[0:3], s33 offset:112 ; 4-byte Folded Spill
.LBB6_19236:                            ;   in Loop: Header=BB6_18303 Depth=3
	s_or_b64 exec, exec, s[34:35]
.LBB6_19237:                            ;   in Loop: Header=BB6_18303 Depth=3
	s_or_b64 exec, exec, s[28:29]
	flat_load_sbyte v1, v[12:13] offset:1856 glc slc
	v_mov_b32_e32 v2, 0
	s_waitcnt vmcnt(0) lgkmcnt(0)
	v_cmp_ne_u16_e32 vcc, 0, v1
	s_and_saveexec_b64 s[28:29], vcc
	s_cbranch_execz .LBB6_19245
; %bb.19238:                            ;   in Loop: Header=BB6_18303 Depth=3
	v_cmp_ne_u16_e32 vcc, s46, v1
	v_bfrev_b32_e32 v2, 1
	s_and_saveexec_b64 s[34:35], vcc
	s_cbranch_execz .LBB6_19244
; %bb.19239:                            ;   in Loop: Header=BB6_18303 Depth=3
	v_and_b32_e32 v2, 0x7c, v1
	v_and_b32_e32 v3, 3, v1
	v_cmp_ne_u32_e32 vcc, s86, v2
                                        ; implicit-def: $vgpr2
	s_and_saveexec_b64 s[62:63], vcc
	s_xor_b64 s[36:37], exec, s[62:63]
	s_cbranch_execz .LBB6_19241
; %bb.19240:                            ;   in Loop: Header=BB6_18303 Depth=3
	v_and_b32_e32 v5, 0xff, v1
	v_bfe_u32 v7, v5, 2, 5
	v_ffbh_u32_e32 v5, v3
	v_min_u32_e32 v16, 32, v5
	v_mov_b32_e32 v2, v33
	v_subrev_u32_e32 v5, 29, v16
	v_lshlrev_b64 v[5:6], v5, v[1:2]
	v_sub_u32_e32 v2, 30, v16
	v_cmp_eq_u32_e32 vcc, 0, v7
	v_and_b32_e32 v5, 3, v5
	v_cndmask_b32_e32 v2, v7, v2, vcc
	v_and_b32_sdwa v1, sext(v1), s87 dst_sel:DWORD dst_unused:UNUSED_PAD src0_sel:WORD_0 src1_sel:DWORD
	v_cndmask_b32_e32 v3, v3, v5, vcc
	v_lshl_add_u32 v1, v2, 23, v1
	v_lshl_or_b32 v1, v3, 21, v1
	v_add_u32_e32 v2, 0x38000000, v1
                                        ; implicit-def: $vgpr3
                                        ; implicit-def: $vgpr1
.LBB6_19241:                            ;   in Loop: Header=BB6_18303 Depth=3
	s_andn2_saveexec_b64 s[36:37], s[36:37]
; %bb.19242:                            ;   in Loop: Header=BB6_18303 Depth=3
	v_cmp_lt_i16_e32 vcc, -1, v1
	v_mov_b32_e32 v1, 0xff800000
	v_mov_b32_e32 v2, 0x7f800000
	v_cndmask_b32_e32 v1, v1, v2, vcc
	v_cmp_eq_u32_e32 vcc, 0, v3
	v_mov_b32_e32 v2, 0x7f800001
	v_cndmask_b32_e32 v2, v2, v1, vcc
; %bb.19243:                            ;   in Loop: Header=BB6_18303 Depth=3
	s_or_b64 exec, exec, s[36:37]
.LBB6_19244:                            ;   in Loop: Header=BB6_18303 Depth=3
	s_or_b64 exec, exec, s[34:35]
.LBB6_19245:                            ;   in Loop: Header=BB6_18303 Depth=3
	s_or_b64 exec, exec, s[28:29]
	v_mul_f32_e32 v3, v4, v2
	v_and_b32_e32 v5, 0x7f800000, v3
	v_mov_b32_e32 v6, v33
	v_cmp_ne_u64_e32 vcc, s[76:77], v[5:6]
	v_and_b32_e32 v1, 0x7fffff, v3
	v_mov_b32_e32 v2, v33
                                        ; implicit-def: $vgpr5
	buffer_store_dword v5, off, s[0:3], s33 offset:100 ; 4-byte Folded Spill
	s_nop 0
	buffer_store_dword v6, off, s[0:3], s33 offset:104 ; 4-byte Folded Spill
	s_and_saveexec_b64 s[28:29], vcc
	s_xor_b64 s[34:35], exec, s[28:29]
	s_cbranch_execz .LBB6_19263
; %bb.19246:                            ;   in Loop: Header=BB6_18303 Depth=3
	v_and_b32_e32 v5, 0x7fffffff, v3
	v_mov_b32_e32 v6, v33
	v_cmp_gt_u64_e32 vcc, s[78:79], v[5:6]
	v_and_b32_sdwa v5, v3, s97 dst_sel:DWORD dst_unused:UNUSED_PAD src0_sel:BYTE_3 src1_sel:DWORD
                                        ; implicit-def: $vgpr6
	buffer_store_dword v6, off, s[0:3], s33 offset:100 ; 4-byte Folded Spill
	s_nop 0
	buffer_store_dword v7, off, s[0:3], s33 offset:104 ; 4-byte Folded Spill
	s_and_saveexec_b64 s[28:29], vcc
	s_xor_b64 s[36:37], exec, s[28:29]
	s_cbranch_execz .LBB6_19260
; %bb.19247:                            ;   in Loop: Header=BB6_18303 Depth=3
	v_cmp_ne_u32_e32 vcc, 0, v3
	v_mov_b32_e32 v6, 0
	buffer_store_dword v6, off, s[0:3], s33 offset:100 ; 4-byte Folded Spill
	s_nop 0
	buffer_store_dword v7, off, s[0:3], s33 offset:104 ; 4-byte Folded Spill
	s_and_saveexec_b64 s[38:39], vcc
	s_cbranch_execz .LBB6_19259
; %bb.19248:                            ;   in Loop: Header=BB6_18303 Depth=3
	v_bfe_u32 v6, v3, 23, 8
	v_cmp_gt_u32_e64 s[28:29], s47, v6
	v_sub_u32_e32 v3, 0x71, v6
	v_cmp_eq_u32_e32 vcc, 0, v6
	v_cndmask_b32_e64 v3, 0, v3, s[28:29]
	v_mov_b32_e32 v7, 0x70
	v_cndmask_b32_e32 v7, v3, v7, vcc
	v_or_b32_e32 v16, 0x800000, v1
	v_add_u32_e32 v3, 21, v7
	v_cndmask_b32_e32 v1, v16, v1, vcc
	v_lshlrev_b64 v[16:17], v3, -1
	v_add_u32_e32 v3, 20, v7
	v_bfi_b32 v16, v16, 0, v1
	v_lshlrev_b64 v[18:19], v3, 1
	v_lshrrev_b64 v[1:2], v7, v[1:2]
	v_bfi_b32 v17, v17, 0, 0
	v_cmp_eq_u64_e64 s[28:29], v[16:17], v[18:19]
	v_mov_b32_e32 v3, v2
	v_mov_b32_e32 v2, v1
	s_and_saveexec_b64 s[48:49], s[28:29]
; %bb.19249:                            ;   in Loop: Header=BB6_18303 Depth=3
	v_bfe_u32 v2, v1, 21, 1
	v_add_co_u32_e64 v2, s[28:29], v1, v2
	v_add_co_u32_e64 v2, s[28:29], -1, v2
; %bb.19250:                            ;   in Loop: Header=BB6_18303 Depth=3
	s_or_b64 exec, exec, s[48:49]
	v_add_u32_e32 v3, 0xffffff81, v6
	v_mov_b32_e32 v6, 0xffffff82
	v_cndmask_b32_e32 v3, v3, v6, vcc
	v_lshrrev_b32_e32 v6, 23, v1
	v_add3_u32 v7, v7, v3, v6
	v_add_u32_e32 v6, 14, v7
	v_and_b32_e32 v2, 0x1fffff, v2
	v_add_u32_e32 v1, v2, v1
	v_mov_b32_e32 v2, v33
	v_cmp_ne_u32_e32 vcc, 0, v6
                                        ; implicit-def: $vgpr3
	s_and_saveexec_b64 s[28:29], vcc
	s_xor_b64 s[28:29], exec, s[28:29]
; %bb.19251:                            ;   in Loop: Header=BB6_18303 Depth=3
	v_cmp_lt_u64_e32 vcc, s[88:89], v[1:2]
	v_add_u32_e32 v3, 15, v7
	v_cndmask_b32_e32 v3, v6, v3, vcc
	v_cndmask_b32_e64 v6, 0, 1, vcc
	v_lshrrev_b64 v[1:2], v6, v[1:2]
; %bb.19252:                            ;   in Loop: Header=BB6_18303 Depth=3
	s_andn2_saveexec_b64 s[28:29], s[28:29]
; %bb.19253:                            ;   in Loop: Header=BB6_18303 Depth=3
	v_bfe_u32 v3, v1, 23, 1
; %bb.19254:                            ;   in Loop: Header=BB6_18303 Depth=3
	s_or_b64 exec, exec, s[28:29]
	v_lshrrev_b64 v[1:2], 21, v[1:2]
	v_cmp_gt_i32_e32 vcc, 32, v3
	v_cndmask_b32_e32 v2, 0, v2, vcc
	v_cndmask_b32_e32 v1, 3, v1, vcc
	v_cmp_ne_u64_e32 vcc, 0, v[1:2]
	v_cmp_ne_u32_e64 s[28:29], 0, v3
	s_or_b64 s[28:29], s[28:29], vcc
                                        ; implicit-def: $vgpr2
	buffer_store_dword v2, off, s[0:3], s33 offset:100 ; 4-byte Folded Spill
	s_nop 0
	buffer_store_dword v3, off, s[0:3], s33 offset:104 ; 4-byte Folded Spill
	s_and_saveexec_b64 s[62:63], s[28:29]
	s_xor_b64 s[28:29], exec, s[62:63]
	s_cbranch_execz .LBB6_19256
; %bb.19255:                            ;   in Loop: Header=BB6_18303 Depth=3
	v_min_i32_e32 v2, 31, v3
	v_lshl_or_b32 v2, v2, 2, v5
	v_and_or_b32 v1, v1, 3, v2
	buffer_store_dword v1, off, s[0:3], s33 offset:100 ; 4-byte Folded Spill
	s_nop 0
	buffer_store_dword v2, off, s[0:3], s33 offset:104 ; 4-byte Folded Spill
                                        ; implicit-def: $vgpr5
.LBB6_19256:                            ;   in Loop: Header=BB6_18303 Depth=3
	s_andn2_saveexec_b64 s[28:29], s[28:29]
	s_cbranch_execz .LBB6_19258
; %bb.19257:                            ;   in Loop: Header=BB6_18303 Depth=3
	v_mov_b32_e32 v1, v5
	buffer_store_dword v1, off, s[0:3], s33 offset:100 ; 4-byte Folded Spill
	s_nop 0
	buffer_store_dword v2, off, s[0:3], s33 offset:104 ; 4-byte Folded Spill
.LBB6_19258:                            ;   in Loop: Header=BB6_18303 Depth=3
	s_or_b64 exec, exec, s[28:29]
.LBB6_19259:                            ;   in Loop: Header=BB6_18303 Depth=3
	s_or_b64 exec, exec, s[38:39]
                                        ; implicit-def: $vgpr5
.LBB6_19260:                            ;   in Loop: Header=BB6_18303 Depth=3
	s_andn2_saveexec_b64 s[28:29], s[36:37]
	s_cbranch_execz .LBB6_19262
; %bb.19261:                            ;   in Loop: Header=BB6_18303 Depth=3
	v_or_b32_e32 v1, 0x7b, v5
	buffer_store_dword v1, off, s[0:3], s33 offset:100 ; 4-byte Folded Spill
	s_nop 0
	buffer_store_dword v2, off, s[0:3], s33 offset:104 ; 4-byte Folded Spill
.LBB6_19262:                            ;   in Loop: Header=BB6_18303 Depth=3
	s_or_b64 exec, exec, s[28:29]
                                        ; implicit-def: $vgpr3
                                        ; implicit-def: $vgpr1_vgpr2
.LBB6_19263:                            ;   in Loop: Header=BB6_18303 Depth=3
	s_andn2_saveexec_b64 s[28:29], s[34:35]
	s_cbranch_execz .LBB6_19269
; %bb.19264:                            ;   in Loop: Header=BB6_18303 Depth=3
	v_cmp_ne_u64_e32 vcc, 0, v[1:2]
                                        ; implicit-def: $vgpr1
	buffer_store_dword v1, off, s[0:3], s33 offset:100 ; 4-byte Folded Spill
	s_nop 0
	buffer_store_dword v2, off, s[0:3], s33 offset:104 ; 4-byte Folded Spill
	s_and_saveexec_b64 s[62:63], vcc
	s_xor_b64 vcc, exec, s[62:63]
	s_cbranch_execz .LBB6_19266
; %bb.19265:                            ;   in Loop: Header=BB6_18303 Depth=3
	v_or_b32_sdwa v1, v3, s44 dst_sel:DWORD dst_unused:UNUSED_PAD src0_sel:BYTE_3 src1_sel:DWORD
	buffer_store_dword v1, off, s[0:3], s33 offset:100 ; 4-byte Folded Spill
	s_nop 0
	buffer_store_dword v2, off, s[0:3], s33 offset:104 ; 4-byte Folded Spill
                                        ; implicit-def: $vgpr3
.LBB6_19266:                            ;   in Loop: Header=BB6_18303 Depth=3
	s_andn2_saveexec_b64 s[34:35], vcc
	s_cbranch_execz .LBB6_19268
; %bb.19267:                            ;   in Loop: Header=BB6_18303 Depth=3
	v_cmp_lt_i32_e32 vcc, -1, v3
	v_mov_b32_e32 v1, 0x7c
	v_cndmask_b32_e32 v1, -4, v1, vcc
	buffer_store_dword v1, off, s[0:3], s33 offset:100 ; 4-byte Folded Spill
	s_nop 0
	buffer_store_dword v2, off, s[0:3], s33 offset:104 ; 4-byte Folded Spill
.LBB6_19268:                            ;   in Loop: Header=BB6_18303 Depth=3
	s_or_b64 exec, exec, s[34:35]
.LBB6_19269:                            ;   in Loop: Header=BB6_18303 Depth=3
	s_or_b64 exec, exec, s[28:29]
	flat_load_sbyte v1, v[12:13] offset:1920 glc slc
	v_mov_b32_e32 v2, 0
	s_waitcnt vmcnt(0) lgkmcnt(0)
	v_cmp_ne_u16_e32 vcc, 0, v1
	s_and_saveexec_b64 s[28:29], vcc
	s_cbranch_execz .LBB6_19277
; %bb.19270:                            ;   in Loop: Header=BB6_18303 Depth=3
	v_cmp_ne_u16_e32 vcc, s46, v1
	v_bfrev_b32_e32 v2, 1
	s_and_saveexec_b64 s[34:35], vcc
	s_cbranch_execz .LBB6_19276
; %bb.19271:                            ;   in Loop: Header=BB6_18303 Depth=3
	v_and_b32_e32 v2, 0x7c, v1
	v_and_b32_e32 v3, 3, v1
	v_cmp_ne_u32_e32 vcc, s86, v2
                                        ; implicit-def: $vgpr2
	s_and_saveexec_b64 s[62:63], vcc
	s_xor_b64 s[36:37], exec, s[62:63]
	s_cbranch_execz .LBB6_19273
; %bb.19272:                            ;   in Loop: Header=BB6_18303 Depth=3
	v_and_b32_e32 v5, 0xff, v1
	v_bfe_u32 v7, v5, 2, 5
	v_ffbh_u32_e32 v5, v3
	v_min_u32_e32 v16, 32, v5
	v_mov_b32_e32 v2, v33
	v_subrev_u32_e32 v5, 29, v16
	v_lshlrev_b64 v[5:6], v5, v[1:2]
	v_sub_u32_e32 v2, 30, v16
	v_cmp_eq_u32_e32 vcc, 0, v7
	v_and_b32_e32 v5, 3, v5
	v_cndmask_b32_e32 v2, v7, v2, vcc
	v_and_b32_sdwa v1, sext(v1), s87 dst_sel:DWORD dst_unused:UNUSED_PAD src0_sel:WORD_0 src1_sel:DWORD
	v_cndmask_b32_e32 v3, v3, v5, vcc
	v_lshl_add_u32 v1, v2, 23, v1
	v_lshl_or_b32 v1, v3, 21, v1
	v_add_u32_e32 v2, 0x38000000, v1
                                        ; implicit-def: $vgpr3
                                        ; implicit-def: $vgpr1
.LBB6_19273:                            ;   in Loop: Header=BB6_18303 Depth=3
	s_andn2_saveexec_b64 s[36:37], s[36:37]
; %bb.19274:                            ;   in Loop: Header=BB6_18303 Depth=3
	v_cmp_lt_i16_e32 vcc, -1, v1
	v_mov_b32_e32 v1, 0xff800000
	v_mov_b32_e32 v2, 0x7f800000
	v_cndmask_b32_e32 v1, v1, v2, vcc
	v_cmp_eq_u32_e32 vcc, 0, v3
	v_mov_b32_e32 v2, 0x7f800001
	v_cndmask_b32_e32 v2, v2, v1, vcc
; %bb.19275:                            ;   in Loop: Header=BB6_18303 Depth=3
	s_or_b64 exec, exec, s[36:37]
.LBB6_19276:                            ;   in Loop: Header=BB6_18303 Depth=3
	s_or_b64 exec, exec, s[34:35]
.LBB6_19277:                            ;   in Loop: Header=BB6_18303 Depth=3
	s_or_b64 exec, exec, s[28:29]
	v_mul_f32_e32 v3, v4, v2
	v_and_b32_e32 v5, 0x7f800000, v3
	v_mov_b32_e32 v6, v33
	v_cmp_ne_u64_e32 vcc, s[76:77], v[5:6]
	v_and_b32_e32 v1, 0x7fffff, v3
	v_mov_b32_e32 v2, v33
                                        ; implicit-def: $vgpr5
	buffer_store_dword v5, off, s[0:3], s33 offset:92 ; 4-byte Folded Spill
	s_nop 0
	buffer_store_dword v6, off, s[0:3], s33 offset:96 ; 4-byte Folded Spill
	s_and_saveexec_b64 s[28:29], vcc
	s_xor_b64 s[34:35], exec, s[28:29]
	s_cbranch_execz .LBB6_19295
; %bb.19278:                            ;   in Loop: Header=BB6_18303 Depth=3
	v_and_b32_e32 v5, 0x7fffffff, v3
	v_mov_b32_e32 v6, v33
	v_cmp_gt_u64_e32 vcc, s[78:79], v[5:6]
	v_and_b32_sdwa v5, v3, s97 dst_sel:DWORD dst_unused:UNUSED_PAD src0_sel:BYTE_3 src1_sel:DWORD
                                        ; implicit-def: $vgpr6
	buffer_store_dword v6, off, s[0:3], s33 offset:92 ; 4-byte Folded Spill
	s_nop 0
	buffer_store_dword v7, off, s[0:3], s33 offset:96 ; 4-byte Folded Spill
	s_and_saveexec_b64 s[28:29], vcc
	s_xor_b64 s[36:37], exec, s[28:29]
	s_cbranch_execz .LBB6_19292
; %bb.19279:                            ;   in Loop: Header=BB6_18303 Depth=3
	v_cmp_ne_u32_e32 vcc, 0, v3
	v_mov_b32_e32 v6, 0
	buffer_store_dword v6, off, s[0:3], s33 offset:92 ; 4-byte Folded Spill
	s_nop 0
	buffer_store_dword v7, off, s[0:3], s33 offset:96 ; 4-byte Folded Spill
	s_and_saveexec_b64 s[38:39], vcc
	s_cbranch_execz .LBB6_19291
; %bb.19280:                            ;   in Loop: Header=BB6_18303 Depth=3
	v_bfe_u32 v6, v3, 23, 8
	v_cmp_gt_u32_e64 s[28:29], s47, v6
	v_sub_u32_e32 v3, 0x71, v6
	v_cmp_eq_u32_e32 vcc, 0, v6
	v_cndmask_b32_e64 v3, 0, v3, s[28:29]
	v_mov_b32_e32 v7, 0x70
	v_cndmask_b32_e32 v7, v3, v7, vcc
	v_or_b32_e32 v16, 0x800000, v1
	v_add_u32_e32 v3, 21, v7
	v_cndmask_b32_e32 v1, v16, v1, vcc
	v_lshlrev_b64 v[16:17], v3, -1
	v_add_u32_e32 v3, 20, v7
	v_bfi_b32 v16, v16, 0, v1
	v_lshlrev_b64 v[18:19], v3, 1
	v_lshrrev_b64 v[1:2], v7, v[1:2]
	v_bfi_b32 v17, v17, 0, 0
	v_cmp_eq_u64_e64 s[28:29], v[16:17], v[18:19]
	v_mov_b32_e32 v3, v2
	v_mov_b32_e32 v2, v1
	s_and_saveexec_b64 s[48:49], s[28:29]
; %bb.19281:                            ;   in Loop: Header=BB6_18303 Depth=3
	v_bfe_u32 v2, v1, 21, 1
	v_add_co_u32_e64 v2, s[28:29], v1, v2
	v_add_co_u32_e64 v2, s[28:29], -1, v2
; %bb.19282:                            ;   in Loop: Header=BB6_18303 Depth=3
	s_or_b64 exec, exec, s[48:49]
	v_add_u32_e32 v3, 0xffffff81, v6
	v_mov_b32_e32 v6, 0xffffff82
	v_cndmask_b32_e32 v3, v3, v6, vcc
	v_lshrrev_b32_e32 v6, 23, v1
	v_add3_u32 v7, v7, v3, v6
	v_add_u32_e32 v6, 14, v7
	v_and_b32_e32 v2, 0x1fffff, v2
	v_add_u32_e32 v1, v2, v1
	v_mov_b32_e32 v2, v33
	v_cmp_ne_u32_e32 vcc, 0, v6
                                        ; implicit-def: $vgpr3
	s_and_saveexec_b64 s[28:29], vcc
	s_xor_b64 s[28:29], exec, s[28:29]
; %bb.19283:                            ;   in Loop: Header=BB6_18303 Depth=3
	v_cmp_lt_u64_e32 vcc, s[88:89], v[1:2]
	v_add_u32_e32 v3, 15, v7
	v_cndmask_b32_e32 v3, v6, v3, vcc
	v_cndmask_b32_e64 v6, 0, 1, vcc
	v_lshrrev_b64 v[1:2], v6, v[1:2]
; %bb.19284:                            ;   in Loop: Header=BB6_18303 Depth=3
	s_andn2_saveexec_b64 s[28:29], s[28:29]
; %bb.19285:                            ;   in Loop: Header=BB6_18303 Depth=3
	v_bfe_u32 v3, v1, 23, 1
; %bb.19286:                            ;   in Loop: Header=BB6_18303 Depth=3
	s_or_b64 exec, exec, s[28:29]
	v_lshrrev_b64 v[1:2], 21, v[1:2]
	v_cmp_gt_i32_e32 vcc, 32, v3
	v_cndmask_b32_e32 v2, 0, v2, vcc
	v_cndmask_b32_e32 v1, 3, v1, vcc
	v_cmp_ne_u64_e32 vcc, 0, v[1:2]
	v_cmp_ne_u32_e64 s[28:29], 0, v3
	s_or_b64 s[28:29], s[28:29], vcc
                                        ; implicit-def: $vgpr2
	buffer_store_dword v2, off, s[0:3], s33 offset:92 ; 4-byte Folded Spill
	s_nop 0
	buffer_store_dword v3, off, s[0:3], s33 offset:96 ; 4-byte Folded Spill
	s_and_saveexec_b64 s[62:63], s[28:29]
	s_xor_b64 s[28:29], exec, s[62:63]
	s_cbranch_execz .LBB6_19288
; %bb.19287:                            ;   in Loop: Header=BB6_18303 Depth=3
	v_min_i32_e32 v2, 31, v3
	v_lshl_or_b32 v2, v2, 2, v5
	v_and_or_b32 v1, v1, 3, v2
	buffer_store_dword v1, off, s[0:3], s33 offset:92 ; 4-byte Folded Spill
	s_nop 0
	buffer_store_dword v2, off, s[0:3], s33 offset:96 ; 4-byte Folded Spill
                                        ; implicit-def: $vgpr5
.LBB6_19288:                            ;   in Loop: Header=BB6_18303 Depth=3
	s_andn2_saveexec_b64 s[28:29], s[28:29]
	s_cbranch_execz .LBB6_19290
; %bb.19289:                            ;   in Loop: Header=BB6_18303 Depth=3
	v_mov_b32_e32 v1, v5
	buffer_store_dword v1, off, s[0:3], s33 offset:92 ; 4-byte Folded Spill
	s_nop 0
	buffer_store_dword v2, off, s[0:3], s33 offset:96 ; 4-byte Folded Spill
.LBB6_19290:                            ;   in Loop: Header=BB6_18303 Depth=3
	s_or_b64 exec, exec, s[28:29]
.LBB6_19291:                            ;   in Loop: Header=BB6_18303 Depth=3
	s_or_b64 exec, exec, s[38:39]
                                        ; implicit-def: $vgpr5
.LBB6_19292:                            ;   in Loop: Header=BB6_18303 Depth=3
	s_andn2_saveexec_b64 s[28:29], s[36:37]
	s_cbranch_execz .LBB6_19294
; %bb.19293:                            ;   in Loop: Header=BB6_18303 Depth=3
	v_or_b32_e32 v1, 0x7b, v5
	buffer_store_dword v1, off, s[0:3], s33 offset:92 ; 4-byte Folded Spill
	s_nop 0
	buffer_store_dword v2, off, s[0:3], s33 offset:96 ; 4-byte Folded Spill
.LBB6_19294:                            ;   in Loop: Header=BB6_18303 Depth=3
	s_or_b64 exec, exec, s[28:29]
                                        ; implicit-def: $vgpr3
                                        ; implicit-def: $vgpr1_vgpr2
.LBB6_19295:                            ;   in Loop: Header=BB6_18303 Depth=3
	s_andn2_saveexec_b64 s[28:29], s[34:35]
	s_cbranch_execz .LBB6_19301
; %bb.19296:                            ;   in Loop: Header=BB6_18303 Depth=3
	v_cmp_ne_u64_e32 vcc, 0, v[1:2]
                                        ; implicit-def: $vgpr1
	buffer_store_dword v1, off, s[0:3], s33 offset:92 ; 4-byte Folded Spill
	s_nop 0
	buffer_store_dword v2, off, s[0:3], s33 offset:96 ; 4-byte Folded Spill
	s_and_saveexec_b64 s[62:63], vcc
	s_xor_b64 vcc, exec, s[62:63]
	s_cbranch_execz .LBB6_19298
; %bb.19297:                            ;   in Loop: Header=BB6_18303 Depth=3
	v_or_b32_sdwa v1, v3, s44 dst_sel:DWORD dst_unused:UNUSED_PAD src0_sel:BYTE_3 src1_sel:DWORD
	buffer_store_dword v1, off, s[0:3], s33 offset:92 ; 4-byte Folded Spill
	s_nop 0
	buffer_store_dword v2, off, s[0:3], s33 offset:96 ; 4-byte Folded Spill
                                        ; implicit-def: $vgpr3
.LBB6_19298:                            ;   in Loop: Header=BB6_18303 Depth=3
	s_andn2_saveexec_b64 s[34:35], vcc
	s_cbranch_execz .LBB6_19300
; %bb.19299:                            ;   in Loop: Header=BB6_18303 Depth=3
	v_cmp_lt_i32_e32 vcc, -1, v3
	v_mov_b32_e32 v1, 0x7c
	v_cndmask_b32_e32 v1, -4, v1, vcc
	buffer_store_dword v1, off, s[0:3], s33 offset:92 ; 4-byte Folded Spill
	s_nop 0
	buffer_store_dword v2, off, s[0:3], s33 offset:96 ; 4-byte Folded Spill
.LBB6_19300:                            ;   in Loop: Header=BB6_18303 Depth=3
	s_or_b64 exec, exec, s[34:35]
.LBB6_19301:                            ;   in Loop: Header=BB6_18303 Depth=3
	s_or_b64 exec, exec, s[28:29]
	flat_load_sbyte v1, v[12:13] offset:1984 glc slc
	v_mov_b32_e32 v2, 0
	s_waitcnt vmcnt(0) lgkmcnt(0)
	v_cmp_ne_u16_e32 vcc, 0, v1
	s_and_saveexec_b64 s[28:29], vcc
	s_cbranch_execz .LBB6_19309
; %bb.19302:                            ;   in Loop: Header=BB6_18303 Depth=3
	v_cmp_ne_u16_e32 vcc, s46, v1
	v_bfrev_b32_e32 v2, 1
	s_and_saveexec_b64 s[34:35], vcc
	s_cbranch_execz .LBB6_19308
; %bb.19303:                            ;   in Loop: Header=BB6_18303 Depth=3
	v_and_b32_e32 v2, 0x7c, v1
	v_and_b32_e32 v3, 3, v1
	v_cmp_ne_u32_e32 vcc, s86, v2
                                        ; implicit-def: $vgpr2
	s_and_saveexec_b64 s[62:63], vcc
	s_xor_b64 s[36:37], exec, s[62:63]
	s_cbranch_execz .LBB6_19305
; %bb.19304:                            ;   in Loop: Header=BB6_18303 Depth=3
	v_and_b32_e32 v5, 0xff, v1
	v_bfe_u32 v7, v5, 2, 5
	v_ffbh_u32_e32 v5, v3
	v_min_u32_e32 v16, 32, v5
	v_mov_b32_e32 v2, v33
	v_subrev_u32_e32 v5, 29, v16
	v_lshlrev_b64 v[5:6], v5, v[1:2]
	v_sub_u32_e32 v2, 30, v16
	v_cmp_eq_u32_e32 vcc, 0, v7
	v_and_b32_e32 v5, 3, v5
	v_cndmask_b32_e32 v2, v7, v2, vcc
	v_and_b32_sdwa v1, sext(v1), s87 dst_sel:DWORD dst_unused:UNUSED_PAD src0_sel:WORD_0 src1_sel:DWORD
	v_cndmask_b32_e32 v3, v3, v5, vcc
	v_lshl_add_u32 v1, v2, 23, v1
	v_lshl_or_b32 v1, v3, 21, v1
	v_add_u32_e32 v2, 0x38000000, v1
                                        ; implicit-def: $vgpr3
                                        ; implicit-def: $vgpr1
.LBB6_19305:                            ;   in Loop: Header=BB6_18303 Depth=3
	s_andn2_saveexec_b64 s[36:37], s[36:37]
; %bb.19306:                            ;   in Loop: Header=BB6_18303 Depth=3
	v_cmp_lt_i16_e32 vcc, -1, v1
	v_mov_b32_e32 v1, 0xff800000
	v_mov_b32_e32 v2, 0x7f800000
	v_cndmask_b32_e32 v1, v1, v2, vcc
	v_cmp_eq_u32_e32 vcc, 0, v3
	v_mov_b32_e32 v2, 0x7f800001
	v_cndmask_b32_e32 v2, v2, v1, vcc
; %bb.19307:                            ;   in Loop: Header=BB6_18303 Depth=3
	s_or_b64 exec, exec, s[36:37]
.LBB6_19308:                            ;   in Loop: Header=BB6_18303 Depth=3
	s_or_b64 exec, exec, s[34:35]
.LBB6_19309:                            ;   in Loop: Header=BB6_18303 Depth=3
	s_or_b64 exec, exec, s[28:29]
	v_mul_f32_e32 v3, v4, v2
	v_and_b32_e32 v4, 0x7f800000, v3
	v_mov_b32_e32 v5, v33
	v_cmp_ne_u64_e32 vcc, s[76:77], v[4:5]
	v_and_b32_e32 v1, 0x7fffff, v3
	v_mov_b32_e32 v2, v33
                                        ; implicit-def: $vgpr4
	buffer_store_dword v4, off, s[0:3], s33 offset:84 ; 4-byte Folded Spill
	s_nop 0
	buffer_store_dword v5, off, s[0:3], s33 offset:88 ; 4-byte Folded Spill
	s_and_saveexec_b64 s[28:29], vcc
	s_xor_b64 s[34:35], exec, s[28:29]
	s_cbranch_execz .LBB6_19327
; %bb.19310:                            ;   in Loop: Header=BB6_18303 Depth=3
	v_and_b32_e32 v4, 0x7fffffff, v3
	v_mov_b32_e32 v5, v33
	v_cmp_gt_u64_e32 vcc, s[78:79], v[4:5]
	v_and_b32_sdwa v4, v3, s97 dst_sel:DWORD dst_unused:UNUSED_PAD src0_sel:BYTE_3 src1_sel:DWORD
                                        ; implicit-def: $vgpr5
	buffer_store_dword v5, off, s[0:3], s33 offset:84 ; 4-byte Folded Spill
	s_nop 0
	buffer_store_dword v6, off, s[0:3], s33 offset:88 ; 4-byte Folded Spill
	s_and_saveexec_b64 s[28:29], vcc
	s_xor_b64 s[36:37], exec, s[28:29]
	s_cbranch_execz .LBB6_19324
; %bb.19311:                            ;   in Loop: Header=BB6_18303 Depth=3
	v_cmp_ne_u32_e32 vcc, 0, v3
	v_mov_b32_e32 v5, 0
	buffer_store_dword v5, off, s[0:3], s33 offset:84 ; 4-byte Folded Spill
	s_nop 0
	buffer_store_dword v6, off, s[0:3], s33 offset:88 ; 4-byte Folded Spill
	s_and_saveexec_b64 s[38:39], vcc
	s_cbranch_execz .LBB6_19323
; %bb.19312:                            ;   in Loop: Header=BB6_18303 Depth=3
	v_bfe_u32 v5, v3, 23, 8
	v_cmp_gt_u32_e64 s[28:29], s47, v5
	v_sub_u32_e32 v3, 0x71, v5
	v_cmp_eq_u32_e32 vcc, 0, v5
	v_cndmask_b32_e64 v3, 0, v3, s[28:29]
	v_mov_b32_e32 v6, 0x70
	v_cndmask_b32_e32 v6, v3, v6, vcc
	v_add_u32_e32 v3, 21, v6
	v_or_b32_e32 v7, 0x800000, v1
	v_lshlrev_b64 v[16:17], v3, -1
	v_cndmask_b32_e32 v1, v7, v1, vcc
	v_add_u32_e32 v3, 20, v6
	v_bfi_b32 v16, v16, 0, v1
	v_lshlrev_b64 v[18:19], v3, 1
	v_lshrrev_b64 v[1:2], v6, v[1:2]
	v_bfi_b32 v17, v17, 0, 0
	v_cmp_eq_u64_e64 s[28:29], v[16:17], v[18:19]
	v_mov_b32_e32 v3, v2
	v_mov_b32_e32 v2, v1
	s_and_saveexec_b64 s[48:49], s[28:29]
; %bb.19313:                            ;   in Loop: Header=BB6_18303 Depth=3
	v_bfe_u32 v2, v1, 21, 1
	v_add_co_u32_e64 v2, s[28:29], v1, v2
	v_add_co_u32_e64 v2, s[28:29], -1, v2
; %bb.19314:                            ;   in Loop: Header=BB6_18303 Depth=3
	s_or_b64 exec, exec, s[48:49]
	v_add_u32_e32 v3, 0xffffff81, v5
	v_mov_b32_e32 v5, 0xffffff82
	v_cndmask_b32_e32 v3, v3, v5, vcc
	v_lshrrev_b32_e32 v5, 23, v1
	v_add3_u32 v6, v6, v3, v5
	v_add_u32_e32 v5, 14, v6
	v_and_b32_e32 v2, 0x1fffff, v2
	v_add_u32_e32 v1, v2, v1
	v_mov_b32_e32 v2, v33
	v_cmp_ne_u32_e32 vcc, 0, v5
                                        ; implicit-def: $vgpr3
	s_and_saveexec_b64 s[28:29], vcc
	s_xor_b64 s[28:29], exec, s[28:29]
; %bb.19315:                            ;   in Loop: Header=BB6_18303 Depth=3
	v_cmp_lt_u64_e32 vcc, s[88:89], v[1:2]
	v_add_u32_e32 v3, 15, v6
	v_cndmask_b32_e32 v3, v5, v3, vcc
	v_cndmask_b32_e64 v5, 0, 1, vcc
	v_lshrrev_b64 v[1:2], v5, v[1:2]
; %bb.19316:                            ;   in Loop: Header=BB6_18303 Depth=3
	s_andn2_saveexec_b64 s[28:29], s[28:29]
; %bb.19317:                            ;   in Loop: Header=BB6_18303 Depth=3
	v_bfe_u32 v3, v1, 23, 1
; %bb.19318:                            ;   in Loop: Header=BB6_18303 Depth=3
	s_or_b64 exec, exec, s[28:29]
	v_lshrrev_b64 v[1:2], 21, v[1:2]
	v_cmp_gt_i32_e32 vcc, 32, v3
	v_cndmask_b32_e32 v2, 0, v2, vcc
	v_cndmask_b32_e32 v1, 3, v1, vcc
	v_cmp_ne_u64_e32 vcc, 0, v[1:2]
	v_cmp_ne_u32_e64 s[28:29], 0, v3
	s_or_b64 s[28:29], s[28:29], vcc
                                        ; implicit-def: $vgpr2
	buffer_store_dword v2, off, s[0:3], s33 offset:84 ; 4-byte Folded Spill
	s_nop 0
	buffer_store_dword v3, off, s[0:3], s33 offset:88 ; 4-byte Folded Spill
	s_and_saveexec_b64 s[62:63], s[28:29]
	s_xor_b64 s[28:29], exec, s[62:63]
	s_cbranch_execz .LBB6_19320
; %bb.19319:                            ;   in Loop: Header=BB6_18303 Depth=3
	v_min_i32_e32 v2, 31, v3
	v_lshl_or_b32 v2, v2, 2, v4
	v_and_or_b32 v1, v1, 3, v2
	buffer_store_dword v1, off, s[0:3], s33 offset:84 ; 4-byte Folded Spill
	s_nop 0
	buffer_store_dword v2, off, s[0:3], s33 offset:88 ; 4-byte Folded Spill
                                        ; implicit-def: $vgpr4
.LBB6_19320:                            ;   in Loop: Header=BB6_18303 Depth=3
	s_andn2_saveexec_b64 s[28:29], s[28:29]
	s_cbranch_execz .LBB6_19322
; %bb.19321:                            ;   in Loop: Header=BB6_18303 Depth=3
	v_mov_b32_e32 v1, v4
	buffer_store_dword v1, off, s[0:3], s33 offset:84 ; 4-byte Folded Spill
	s_nop 0
	buffer_store_dword v2, off, s[0:3], s33 offset:88 ; 4-byte Folded Spill
.LBB6_19322:                            ;   in Loop: Header=BB6_18303 Depth=3
	s_or_b64 exec, exec, s[28:29]
.LBB6_19323:                            ;   in Loop: Header=BB6_18303 Depth=3
	s_or_b64 exec, exec, s[38:39]
                                        ; implicit-def: $vgpr4
.LBB6_19324:                            ;   in Loop: Header=BB6_18303 Depth=3
	s_andn2_saveexec_b64 s[28:29], s[36:37]
	s_cbranch_execz .LBB6_19326
; %bb.19325:                            ;   in Loop: Header=BB6_18303 Depth=3
	v_or_b32_e32 v1, 0x7b, v4
	buffer_store_dword v1, off, s[0:3], s33 offset:84 ; 4-byte Folded Spill
	s_nop 0
	buffer_store_dword v2, off, s[0:3], s33 offset:88 ; 4-byte Folded Spill
.LBB6_19326:                            ;   in Loop: Header=BB6_18303 Depth=3
	s_or_b64 exec, exec, s[28:29]
                                        ; implicit-def: $vgpr3
                                        ; implicit-def: $vgpr1_vgpr2
.LBB6_19327:                            ;   in Loop: Header=BB6_18303 Depth=3
	s_andn2_saveexec_b64 s[28:29], s[34:35]
	s_cbranch_execz .LBB6_19333
; %bb.19328:                            ;   in Loop: Header=BB6_18303 Depth=3
	v_cmp_ne_u64_e32 vcc, 0, v[1:2]
                                        ; implicit-def: $vgpr1
	buffer_store_dword v1, off, s[0:3], s33 offset:84 ; 4-byte Folded Spill
	s_nop 0
	buffer_store_dword v2, off, s[0:3], s33 offset:88 ; 4-byte Folded Spill
	s_and_saveexec_b64 s[62:63], vcc
	s_xor_b64 vcc, exec, s[62:63]
	s_cbranch_execz .LBB6_19330
; %bb.19329:                            ;   in Loop: Header=BB6_18303 Depth=3
	v_or_b32_sdwa v1, v3, s44 dst_sel:DWORD dst_unused:UNUSED_PAD src0_sel:BYTE_3 src1_sel:DWORD
	buffer_store_dword v1, off, s[0:3], s33 offset:84 ; 4-byte Folded Spill
	s_nop 0
	buffer_store_dword v2, off, s[0:3], s33 offset:88 ; 4-byte Folded Spill
                                        ; implicit-def: $vgpr3
.LBB6_19330:                            ;   in Loop: Header=BB6_18303 Depth=3
	s_andn2_saveexec_b64 s[34:35], vcc
	s_cbranch_execz .LBB6_19332
; %bb.19331:                            ;   in Loop: Header=BB6_18303 Depth=3
	v_cmp_lt_i32_e32 vcc, -1, v3
	v_mov_b32_e32 v1, 0x7c
	v_cndmask_b32_e32 v1, -4, v1, vcc
	buffer_store_dword v1, off, s[0:3], s33 offset:84 ; 4-byte Folded Spill
	s_nop 0
	buffer_store_dword v2, off, s[0:3], s33 offset:88 ; 4-byte Folded Spill
.LBB6_19332:                            ;   in Loop: Header=BB6_18303 Depth=3
	s_or_b64 exec, exec, s[34:35]
.LBB6_19333:                            ;   in Loop: Header=BB6_18303 Depth=3
	s_or_b64 exec, exec, s[28:29]
	flat_load_sbyte v16, v[14:15] glc slc
	flat_load_sbyte v50, v[14:15] offset:64 glc slc
	flat_load_sbyte v43, v[14:15] offset:128 glc slc
	;; [unrolled: 1-line block ×31, first 2 shown]
	v_and_b32_e32 v7, 0xff, v36
	v_cmp_ne_u16_e32 vcc, 0, v7
	v_mov_b32_e32 v2, 0
	v_mov_b32_e32 v5, 0
	s_waitcnt vmcnt(0) lgkmcnt(0)
	buffer_store_dword v17, off, s[0:3], s33 offset:288 ; 4-byte Folded Spill
	s_nop 0
	buffer_store_dword v18, off, s[0:3], s33 offset:292 ; 4-byte Folded Spill
	s_and_saveexec_b64 s[28:29], vcc
	s_cbranch_execz .LBB6_19341
; %bb.19334:                            ;   in Loop: Header=BB6_18303 Depth=3
	v_cmp_ne_u16_e32 vcc, s97, v7
	v_bfrev_b32_e32 v5, 1
	s_and_saveexec_b64 s[34:35], vcc
	s_cbranch_execz .LBB6_19340
; %bb.19335:                            ;   in Loop: Header=BB6_18303 Depth=3
	v_and_b32_e32 v5, 0x7c, v36
	v_and_b32_e32 v17, 3, v36
	v_cmp_ne_u32_e32 vcc, s86, v5
                                        ; implicit-def: $vgpr5
	s_and_saveexec_b64 s[62:63], vcc
	s_xor_b64 s[36:37], exec, s[62:63]
	s_cbranch_execz .LBB6_19337
; %bb.19336:                            ;   in Loop: Header=BB6_18303 Depth=3
	v_bfe_u32 v5, v7, 2, 5
	v_ffbh_u32_e32 v7, v17
	v_min_u32_e32 v7, 32, v7
	v_mov_b32_e32 v37, v33
	v_subrev_u32_e32 v19, 29, v7
	v_mov_b32_e32 v23, v48
	v_lshlrev_b64 v[48:49], v19, v[36:37]
	v_sub_u32_e32 v7, 30, v7
	v_and_b32_e32 v19, 3, v48
	v_cmp_eq_u32_e32 vcc, 0, v5
	v_cndmask_b32_e32 v5, v5, v7, vcc
	v_cndmask_b32_e32 v7, v17, v19, vcc
	v_lshlrev_b32_e32 v17, 24, v36
	v_and_b32_e32 v17, 0x80000000, v17
	v_lshl_add_u32 v5, v5, 23, v17
	v_lshl_or_b32 v5, v7, 21, v5
	v_mov_b32_e32 v48, v23
	v_add_u32_e32 v5, 0x38000000, v5
                                        ; implicit-def: $vgpr17
                                        ; implicit-def: $vgpr36
.LBB6_19337:                            ;   in Loop: Header=BB6_18303 Depth=3
	s_andn2_saveexec_b64 s[36:37], s[36:37]
; %bb.19338:                            ;   in Loop: Header=BB6_18303 Depth=3
	v_mov_b32_e32 v5, -1
	v_cmp_gt_i16_sdwa vcc, sext(v36), v5 src0_sel:BYTE_0 src1_sel:DWORD
	v_mov_b32_e32 v5, 0xff800000
	v_mov_b32_e32 v7, 0x7f800000
	v_cndmask_b32_e32 v5, v5, v7, vcc
	v_cmp_eq_u32_e32 vcc, 0, v17
	v_mov_b32_e32 v7, 0x7f800001
	v_cndmask_b32_e32 v5, v7, v5, vcc
; %bb.19339:                            ;   in Loop: Header=BB6_18303 Depth=3
	s_or_b64 exec, exec, s[36:37]
.LBB6_19340:                            ;   in Loop: Header=BB6_18303 Depth=3
	s_or_b64 exec, exec, s[34:35]
.LBB6_19341:                            ;   in Loop: Header=BB6_18303 Depth=3
	s_or_b64 exec, exec, s[28:29]
	v_cmp_ne_u16_e32 vcc, 0, v16
	s_and_saveexec_b64 s[28:29], vcc
	s_cbranch_execz .LBB6_19349
; %bb.19342:                            ;   in Loop: Header=BB6_18303 Depth=3
	v_cmp_ne_u16_e32 vcc, s46, v16
	v_bfrev_b32_e32 v2, 1
	s_and_saveexec_b64 s[34:35], vcc
	s_cbranch_execz .LBB6_19348
; %bb.19343:                            ;   in Loop: Header=BB6_18303 Depth=3
	v_and_b32_e32 v2, 0x7c, v16
	v_and_b32_e32 v7, 3, v16
	v_cmp_ne_u32_e32 vcc, s86, v2
                                        ; implicit-def: $vgpr2
	s_and_saveexec_b64 s[62:63], vcc
	s_xor_b64 s[36:37], exec, s[62:63]
	s_cbranch_execz .LBB6_19345
; %bb.19344:                            ;   in Loop: Header=BB6_18303 Depth=3
	v_ffbh_u32_e32 v19, v7
	v_min_u32_e32 v19, 32, v19
	v_and_b32_e32 v2, 0xff, v16
	v_mov_b32_e32 v17, v33
	v_subrev_u32_e32 v23, 29, v19
	v_bfe_u32 v2, v2, 2, 5
	v_lshlrev_b64 v[36:37], v23, v[16:17]
	v_sub_u32_e32 v17, 30, v19
	v_cmp_eq_u32_e32 vcc, 0, v2
	v_and_b32_e32 v19, 3, v36
	v_cndmask_b32_e32 v2, v2, v17, vcc
	v_and_b32_sdwa v16, sext(v16), s87 dst_sel:DWORD dst_unused:UNUSED_PAD src0_sel:WORD_0 src1_sel:DWORD
	v_cndmask_b32_e32 v7, v7, v19, vcc
	v_lshl_add_u32 v2, v2, 23, v16
	v_lshl_or_b32 v2, v7, 21, v2
	v_add_u32_e32 v2, 0x38000000, v2
                                        ; implicit-def: $vgpr7
                                        ; implicit-def: $vgpr16
.LBB6_19345:                            ;   in Loop: Header=BB6_18303 Depth=3
	s_andn2_saveexec_b64 s[36:37], s[36:37]
; %bb.19346:                            ;   in Loop: Header=BB6_18303 Depth=3
	v_cmp_lt_i16_e32 vcc, -1, v16
	v_mov_b32_e32 v2, 0xff800000
	v_mov_b32_e32 v16, 0x7f800000
	v_cndmask_b32_e32 v2, v2, v16, vcc
	v_cmp_eq_u32_e32 vcc, 0, v7
	v_mov_b32_e32 v7, 0x7f800001
	v_cndmask_b32_e32 v2, v7, v2, vcc
; %bb.19347:                            ;   in Loop: Header=BB6_18303 Depth=3
	s_or_b64 exec, exec, s[36:37]
.LBB6_19348:                            ;   in Loop: Header=BB6_18303 Depth=3
	s_or_b64 exec, exec, s[34:35]
.LBB6_19349:                            ;   in Loop: Header=BB6_18303 Depth=3
	s_or_b64 exec, exec, s[28:29]
	v_add_f32_e32 v5, v5, v2
	v_and_b32_e32 v36, 0x7f800000, v5
	v_mov_b32_e32 v37, v33
	v_cmp_ne_u64_e32 vcc, s[76:77], v[36:37]
	v_and_b32_e32 v16, 0x7fffff, v5
	v_mov_b32_e32 v17, v33
                                        ; implicit-def: $vgpr44
	s_and_saveexec_b64 s[28:29], vcc
	s_xor_b64 s[34:35], exec, s[28:29]
	s_cbranch_execz .LBB6_19367
; %bb.19350:                            ;   in Loop: Header=BB6_18303 Depth=3
	v_and_b32_e32 v36, 0x7fffffff, v5
	v_mov_b32_e32 v37, v33
	v_cmp_gt_u64_e32 vcc, s[78:79], v[36:37]
	v_and_b32_sdwa v2, v5, s97 dst_sel:DWORD dst_unused:UNUSED_PAD src0_sel:BYTE_3 src1_sel:DWORD
                                        ; implicit-def: $vgpr44
	s_and_saveexec_b64 s[28:29], vcc
	s_xor_b64 s[36:37], exec, s[28:29]
	s_cbranch_execz .LBB6_19364
; %bb.19351:                            ;   in Loop: Header=BB6_18303 Depth=3
	v_cmp_ne_u32_e32 vcc, 0, v5
	v_mov_b32_e32 v44, 0
	s_and_saveexec_b64 s[38:39], vcc
	s_cbranch_execz .LBB6_19363
; %bb.19352:                            ;   in Loop: Header=BB6_18303 Depth=3
	v_bfe_u32 v5, v5, 23, 8
	v_cmp_gt_u32_e64 s[28:29], s47, v5
	v_sub_u32_e32 v7, 0x71, v5
	v_cmp_eq_u32_e32 vcc, 0, v5
	v_cndmask_b32_e64 v7, 0, v7, s[28:29]
	v_mov_b32_e32 v23, 0x70
	v_or_b32_e32 v19, 0x800000, v16
	v_cndmask_b32_e32 v7, v7, v23, vcc
	v_cndmask_b32_e32 v16, v19, v16, vcc
	v_add_u32_e32 v19, 21, v7
	v_lshlrev_b64 v[36:37], v19, -1
	v_add_u32_e32 v19, 20, v7
	v_mov_b32_e32 v32, v48
	v_bfi_b32 v36, v36, 0, v16
	v_lshlrev_b64 v[48:49], v19, 1
	v_lshrrev_b64 v[16:17], v7, v[16:17]
	v_bfi_b32 v37, v37, 0, 0
	v_cmp_eq_u64_e64 s[28:29], v[36:37], v[48:49]
	v_mov_b32_e32 v37, v17
	v_mov_b32_e32 v36, v16
	s_and_saveexec_b64 s[48:49], s[28:29]
; %bb.19353:                            ;   in Loop: Header=BB6_18303 Depth=3
	v_bfe_u32 v17, v16, 21, 1
	v_add_co_u32_e64 v17, s[28:29], v16, v17
	v_add_co_u32_e64 v36, s[28:29], -1, v17
; %bb.19354:                            ;   in Loop: Header=BB6_18303 Depth=3
	s_or_b64 exec, exec, s[48:49]
	v_add_u32_e32 v5, 0xffffff81, v5
	v_mov_b32_e32 v17, 0xffffff82
	v_cndmask_b32_e32 v5, v5, v17, vcc
	v_lshrrev_b32_e32 v17, 23, v16
	v_add3_u32 v19, v7, v5, v17
	v_add_u32_e32 v7, 14, v19
	v_and_b32_e32 v5, 0x1fffff, v36
	v_add_u32_e32 v16, v5, v16
	v_mov_b32_e32 v17, v33
	v_cmp_ne_u32_e32 vcc, 0, v7
                                        ; implicit-def: $vgpr5
	s_and_saveexec_b64 s[28:29], vcc
	s_xor_b64 s[28:29], exec, s[28:29]
; %bb.19355:                            ;   in Loop: Header=BB6_18303 Depth=3
	v_cmp_lt_u64_e32 vcc, s[88:89], v[16:17]
	v_add_u32_e32 v5, 15, v19
	v_cndmask_b32_e32 v5, v7, v5, vcc
	v_cndmask_b32_e64 v7, 0, 1, vcc
	v_lshrrev_b64 v[16:17], v7, v[16:17]
; %bb.19356:                            ;   in Loop: Header=BB6_18303 Depth=3
	s_or_saveexec_b64 s[28:29], s[28:29]
	v_mov_b32_e32 v48, v32
	s_xor_b64 exec, exec, s[28:29]
; %bb.19357:                            ;   in Loop: Header=BB6_18303 Depth=3
	v_bfe_u32 v5, v16, 23, 1
; %bb.19358:                            ;   in Loop: Header=BB6_18303 Depth=3
	s_or_b64 exec, exec, s[28:29]
	v_lshrrev_b64 v[16:17], 21, v[16:17]
	v_cmp_gt_i32_e32 vcc, 32, v5
	v_cndmask_b32_e32 v17, 0, v17, vcc
	v_cndmask_b32_e32 v16, 3, v16, vcc
	v_cmp_ne_u64_e32 vcc, 0, v[16:17]
	v_cmp_ne_u32_e64 s[28:29], 0, v5
	s_or_b64 s[28:29], s[28:29], vcc
                                        ; implicit-def: $vgpr44
	s_and_saveexec_b64 s[62:63], s[28:29]
	s_xor_b64 s[28:29], exec, s[62:63]
; %bb.19359:                            ;   in Loop: Header=BB6_18303 Depth=3
	v_min_i32_e32 v5, 31, v5
	v_lshl_or_b32 v2, v5, 2, v2
	v_and_or_b32 v44, v16, 3, v2
                                        ; implicit-def: $vgpr2
; %bb.19360:                            ;   in Loop: Header=BB6_18303 Depth=3
	s_andn2_saveexec_b64 s[28:29], s[28:29]
; %bb.19361:                            ;   in Loop: Header=BB6_18303 Depth=3
	v_mov_b32_e32 v44, v2
; %bb.19362:                            ;   in Loop: Header=BB6_18303 Depth=3
	s_or_b64 exec, exec, s[28:29]
.LBB6_19363:                            ;   in Loop: Header=BB6_18303 Depth=3
	s_or_b64 exec, exec, s[38:39]
                                        ; implicit-def: $vgpr2
.LBB6_19364:                            ;   in Loop: Header=BB6_18303 Depth=3
	s_andn2_saveexec_b64 s[28:29], s[36:37]
; %bb.19365:                            ;   in Loop: Header=BB6_18303 Depth=3
	v_or_b32_e32 v44, 0x7b, v2
; %bb.19366:                            ;   in Loop: Header=BB6_18303 Depth=3
	s_or_b64 exec, exec, s[28:29]
                                        ; implicit-def: $vgpr5
                                        ; implicit-def: $vgpr16_vgpr17
.LBB6_19367:                            ;   in Loop: Header=BB6_18303 Depth=3
	s_andn2_saveexec_b64 s[28:29], s[34:35]
	s_cbranch_execz .LBB6_19373
; %bb.19368:                            ;   in Loop: Header=BB6_18303 Depth=3
	v_cmp_ne_u64_e32 vcc, 0, v[16:17]
                                        ; implicit-def: $vgpr44
	s_and_saveexec_b64 s[62:63], vcc
	s_xor_b64 vcc, exec, s[62:63]
; %bb.19369:                            ;   in Loop: Header=BB6_18303 Depth=3
	v_or_b32_sdwa v44, v5, s44 dst_sel:DWORD dst_unused:UNUSED_PAD src0_sel:BYTE_3 src1_sel:DWORD
                                        ; implicit-def: $vgpr5
; %bb.19370:                            ;   in Loop: Header=BB6_18303 Depth=3
	s_andn2_saveexec_b64 s[34:35], vcc
; %bb.19371:                            ;   in Loop: Header=BB6_18303 Depth=3
	v_cmp_lt_i32_e32 vcc, -1, v5
	v_mov_b32_e32 v2, 0x7c
	v_cndmask_b32_e32 v44, -4, v2, vcc
; %bb.19372:                            ;   in Loop: Header=BB6_18303 Depth=3
	s_or_b64 exec, exec, s[34:35]
.LBB6_19373:                            ;   in Loop: Header=BB6_18303 Depth=3
	s_or_b64 exec, exec, s[28:29]
	v_and_b32_e32 v16, 0xff, v53
	v_cmp_ne_u16_e32 vcc, 0, v16
	v_mov_b32_e32 v2, 0
	v_mov_b32_e32 v5, 0
	s_and_saveexec_b64 s[28:29], vcc
	s_cbranch_execz .LBB6_19381
; %bb.19374:                            ;   in Loop: Header=BB6_18303 Depth=3
	v_cmp_ne_u16_e32 vcc, s97, v16
	v_bfrev_b32_e32 v5, 1
	s_and_saveexec_b64 s[34:35], vcc
	s_cbranch_execz .LBB6_19380
; %bb.19375:                            ;   in Loop: Header=BB6_18303 Depth=3
	v_and_b32_e32 v5, 0x7c, v53
	v_and_b32_e32 v7, 3, v53
	v_cmp_ne_u32_e32 vcc, s86, v5
                                        ; implicit-def: $vgpr5
	s_and_saveexec_b64 s[62:63], vcc
	s_xor_b64 s[36:37], exec, s[62:63]
	s_cbranch_execz .LBB6_19377
; %bb.19376:                            ;   in Loop: Header=BB6_18303 Depth=3
	v_bfe_u32 v5, v16, 2, 5
	v_ffbh_u32_e32 v16, v7
	v_min_u32_e32 v19, 32, v16
	v_mov_b32_e32 v54, v33
	v_subrev_u32_e32 v16, 29, v19
	v_lshlrev_b64 v[16:17], v16, v[53:54]
	v_cmp_eq_u32_e32 vcc, 0, v5
	v_and_b32_e32 v16, 3, v16
	v_sub_u32_e32 v17, 30, v19
	v_cndmask_b32_e32 v7, v7, v16, vcc
	v_lshlrev_b32_e32 v16, 24, v53
	v_cndmask_b32_e32 v5, v5, v17, vcc
	v_and_b32_e32 v16, 0x80000000, v16
	v_lshl_add_u32 v5, v5, 23, v16
	v_lshl_or_b32 v5, v7, 21, v5
	v_add_u32_e32 v5, 0x38000000, v5
                                        ; implicit-def: $vgpr7
                                        ; implicit-def: $vgpr53
.LBB6_19377:                            ;   in Loop: Header=BB6_18303 Depth=3
	s_andn2_saveexec_b64 s[36:37], s[36:37]
; %bb.19378:                            ;   in Loop: Header=BB6_18303 Depth=3
	v_mov_b32_e32 v5, -1
	v_cmp_gt_i16_sdwa vcc, sext(v53), v5 src0_sel:BYTE_0 src1_sel:DWORD
	v_mov_b32_e32 v5, 0xff800000
	v_mov_b32_e32 v16, 0x7f800000
	v_cndmask_b32_e32 v5, v5, v16, vcc
	v_cmp_eq_u32_e32 vcc, 0, v7
	v_mov_b32_e32 v7, 0x7f800001
	v_cndmask_b32_e32 v5, v7, v5, vcc
; %bb.19379:                            ;   in Loop: Header=BB6_18303 Depth=3
	s_or_b64 exec, exec, s[36:37]
.LBB6_19380:                            ;   in Loop: Header=BB6_18303 Depth=3
	s_or_b64 exec, exec, s[34:35]
.LBB6_19381:                            ;   in Loop: Header=BB6_18303 Depth=3
	s_or_b64 exec, exec, s[28:29]
	v_cmp_ne_u16_e32 vcc, 0, v50
	s_and_saveexec_b64 s[28:29], vcc
	s_cbranch_execz .LBB6_19389
; %bb.19382:                            ;   in Loop: Header=BB6_18303 Depth=3
	v_cmp_ne_u16_e32 vcc, s46, v50
	v_bfrev_b32_e32 v2, 1
	s_and_saveexec_b64 s[34:35], vcc
	s_cbranch_execz .LBB6_19388
; %bb.19383:                            ;   in Loop: Header=BB6_18303 Depth=3
	v_and_b32_e32 v2, 0x7c, v50
	v_and_b32_e32 v7, 3, v50
	v_cmp_ne_u32_e32 vcc, s86, v2
                                        ; implicit-def: $vgpr2
	s_and_saveexec_b64 s[62:63], vcc
	s_xor_b64 s[36:37], exec, s[62:63]
	s_cbranch_execz .LBB6_19385
; %bb.19384:                            ;   in Loop: Header=BB6_18303 Depth=3
	v_ffbh_u32_e32 v16, v7
	v_min_u32_e32 v19, 32, v16
	v_mov_b32_e32 v51, v33
	v_subrev_u32_e32 v16, 29, v19
	v_and_b32_e32 v2, 0xff, v50
	v_lshlrev_b64 v[16:17], v16, v[50:51]
	v_bfe_u32 v2, v2, 2, 5
	v_sub_u32_e32 v17, 30, v19
	v_and_b32_e32 v16, 3, v16
	v_cmp_eq_u32_e32 vcc, 0, v2
	v_cndmask_b32_e32 v2, v2, v17, vcc
	v_cndmask_b32_e32 v7, v7, v16, vcc
	v_and_b32_sdwa v16, sext(v50), s87 dst_sel:DWORD dst_unused:UNUSED_PAD src0_sel:WORD_0 src1_sel:DWORD
	v_lshl_add_u32 v2, v2, 23, v16
	v_lshl_or_b32 v2, v7, 21, v2
	v_add_u32_e32 v2, 0x38000000, v2
                                        ; implicit-def: $vgpr7
                                        ; implicit-def: $vgpr50
.LBB6_19385:                            ;   in Loop: Header=BB6_18303 Depth=3
	s_andn2_saveexec_b64 s[36:37], s[36:37]
; %bb.19386:                            ;   in Loop: Header=BB6_18303 Depth=3
	v_cmp_lt_i16_e32 vcc, -1, v50
	v_mov_b32_e32 v2, 0xff800000
	v_mov_b32_e32 v16, 0x7f800000
	v_cndmask_b32_e32 v2, v2, v16, vcc
	v_cmp_eq_u32_e32 vcc, 0, v7
	v_mov_b32_e32 v7, 0x7f800001
	v_cndmask_b32_e32 v2, v7, v2, vcc
; %bb.19387:                            ;   in Loop: Header=BB6_18303 Depth=3
	s_or_b64 exec, exec, s[36:37]
.LBB6_19388:                            ;   in Loop: Header=BB6_18303 Depth=3
	s_or_b64 exec, exec, s[34:35]
.LBB6_19389:                            ;   in Loop: Header=BB6_18303 Depth=3
	s_or_b64 exec, exec, s[28:29]
	v_add_f32_e32 v5, v5, v2
	v_and_b32_e32 v36, 0x7f800000, v5
	v_mov_b32_e32 v37, v33
	v_cmp_ne_u64_e32 vcc, s[76:77], v[36:37]
	v_and_b32_e32 v16, 0x7fffff, v5
	v_mov_b32_e32 v17, v33
                                        ; implicit-def: $vgpr37
	s_and_saveexec_b64 s[28:29], vcc
	s_xor_b64 s[34:35], exec, s[28:29]
	s_cbranch_execz .LBB6_19407
; %bb.19390:                            ;   in Loop: Header=BB6_18303 Depth=3
	v_and_b32_e32 v36, 0x7fffffff, v5
	v_mov_b32_e32 v37, v33
	v_cmp_gt_u64_e32 vcc, s[78:79], v[36:37]
	v_and_b32_sdwa v2, v5, s97 dst_sel:DWORD dst_unused:UNUSED_PAD src0_sel:BYTE_3 src1_sel:DWORD
                                        ; implicit-def: $vgpr37
	s_and_saveexec_b64 s[28:29], vcc
	s_xor_b64 s[36:37], exec, s[28:29]
	s_cbranch_execz .LBB6_19404
; %bb.19391:                            ;   in Loop: Header=BB6_18303 Depth=3
	v_cmp_ne_u32_e32 vcc, 0, v5
	v_mov_b32_e32 v37, 0
	s_and_saveexec_b64 s[38:39], vcc
	s_cbranch_execz .LBB6_19403
; %bb.19392:                            ;   in Loop: Header=BB6_18303 Depth=3
	v_bfe_u32 v5, v5, 23, 8
	v_cmp_gt_u32_e64 s[28:29], s47, v5
	v_sub_u32_e32 v7, 0x71, v5
	v_cmp_eq_u32_e32 vcc, 0, v5
	v_cndmask_b32_e64 v7, 0, v7, s[28:29]
	v_mov_b32_e32 v23, 0x70
	v_or_b32_e32 v19, 0x800000, v16
	v_cndmask_b32_e32 v7, v7, v23, vcc
	v_cndmask_b32_e32 v16, v19, v16, vcc
	v_add_u32_e32 v19, 21, v7
	v_lshlrev_b64 v[36:37], v19, -1
	v_add_u32_e32 v19, 20, v7
	v_mov_b32_e32 v32, v48
	v_bfi_b32 v36, v36, 0, v16
	v_lshlrev_b64 v[48:49], v19, 1
	v_lshrrev_b64 v[16:17], v7, v[16:17]
	v_bfi_b32 v37, v37, 0, 0
	v_cmp_eq_u64_e64 s[28:29], v[36:37], v[48:49]
	v_mov_b32_e32 v37, v17
	v_mov_b32_e32 v36, v16
	s_and_saveexec_b64 s[48:49], s[28:29]
; %bb.19393:                            ;   in Loop: Header=BB6_18303 Depth=3
	v_bfe_u32 v17, v16, 21, 1
	v_add_co_u32_e64 v17, s[28:29], v16, v17
	v_add_co_u32_e64 v36, s[28:29], -1, v17
; %bb.19394:                            ;   in Loop: Header=BB6_18303 Depth=3
	s_or_b64 exec, exec, s[48:49]
	v_add_u32_e32 v5, 0xffffff81, v5
	v_mov_b32_e32 v17, 0xffffff82
	v_cndmask_b32_e32 v5, v5, v17, vcc
	v_lshrrev_b32_e32 v17, 23, v16
	v_add3_u32 v19, v7, v5, v17
	v_add_u32_e32 v7, 14, v19
	v_and_b32_e32 v5, 0x1fffff, v36
	v_add_u32_e32 v16, v5, v16
	v_mov_b32_e32 v17, v33
	v_cmp_ne_u32_e32 vcc, 0, v7
                                        ; implicit-def: $vgpr5
	s_and_saveexec_b64 s[28:29], vcc
	s_xor_b64 s[28:29], exec, s[28:29]
; %bb.19395:                            ;   in Loop: Header=BB6_18303 Depth=3
	v_cmp_lt_u64_e32 vcc, s[88:89], v[16:17]
	v_add_u32_e32 v5, 15, v19
	v_cndmask_b32_e32 v5, v7, v5, vcc
	v_cndmask_b32_e64 v7, 0, 1, vcc
	v_lshrrev_b64 v[16:17], v7, v[16:17]
; %bb.19396:                            ;   in Loop: Header=BB6_18303 Depth=3
	s_or_saveexec_b64 s[28:29], s[28:29]
	v_mov_b32_e32 v48, v32
	s_xor_b64 exec, exec, s[28:29]
; %bb.19397:                            ;   in Loop: Header=BB6_18303 Depth=3
	v_bfe_u32 v5, v16, 23, 1
; %bb.19398:                            ;   in Loop: Header=BB6_18303 Depth=3
	s_or_b64 exec, exec, s[28:29]
	v_lshrrev_b64 v[16:17], 21, v[16:17]
	v_cmp_gt_i32_e32 vcc, 32, v5
	v_cndmask_b32_e32 v17, 0, v17, vcc
	v_cndmask_b32_e32 v16, 3, v16, vcc
	v_cmp_ne_u64_e32 vcc, 0, v[16:17]
	v_cmp_ne_u32_e64 s[28:29], 0, v5
	s_or_b64 s[28:29], s[28:29], vcc
                                        ; implicit-def: $vgpr37
	s_and_saveexec_b64 s[62:63], s[28:29]
	s_xor_b64 s[28:29], exec, s[62:63]
; %bb.19399:                            ;   in Loop: Header=BB6_18303 Depth=3
	v_min_i32_e32 v5, 31, v5
	v_lshl_or_b32 v2, v5, 2, v2
	v_and_or_b32 v37, v16, 3, v2
                                        ; implicit-def: $vgpr2
; %bb.19400:                            ;   in Loop: Header=BB6_18303 Depth=3
	s_andn2_saveexec_b64 s[28:29], s[28:29]
; %bb.19401:                            ;   in Loop: Header=BB6_18303 Depth=3
	v_mov_b32_e32 v37, v2
; %bb.19402:                            ;   in Loop: Header=BB6_18303 Depth=3
	s_or_b64 exec, exec, s[28:29]
.LBB6_19403:                            ;   in Loop: Header=BB6_18303 Depth=3
	s_or_b64 exec, exec, s[38:39]
                                        ; implicit-def: $vgpr2
.LBB6_19404:                            ;   in Loop: Header=BB6_18303 Depth=3
	s_andn2_saveexec_b64 s[28:29], s[36:37]
; %bb.19405:                            ;   in Loop: Header=BB6_18303 Depth=3
	v_or_b32_e32 v37, 0x7b, v2
; %bb.19406:                            ;   in Loop: Header=BB6_18303 Depth=3
	s_or_b64 exec, exec, s[28:29]
                                        ; implicit-def: $vgpr5
                                        ; implicit-def: $vgpr16_vgpr17
.LBB6_19407:                            ;   in Loop: Header=BB6_18303 Depth=3
	s_andn2_saveexec_b64 s[28:29], s[34:35]
	s_cbranch_execz .LBB6_19413
; %bb.19408:                            ;   in Loop: Header=BB6_18303 Depth=3
	v_cmp_ne_u64_e32 vcc, 0, v[16:17]
                                        ; implicit-def: $vgpr37
	s_and_saveexec_b64 s[62:63], vcc
	s_xor_b64 vcc, exec, s[62:63]
; %bb.19409:                            ;   in Loop: Header=BB6_18303 Depth=3
	v_or_b32_sdwa v37, v5, s44 dst_sel:DWORD dst_unused:UNUSED_PAD src0_sel:BYTE_3 src1_sel:DWORD
                                        ; implicit-def: $vgpr5
; %bb.19410:                            ;   in Loop: Header=BB6_18303 Depth=3
	s_andn2_saveexec_b64 s[34:35], vcc
; %bb.19411:                            ;   in Loop: Header=BB6_18303 Depth=3
	v_cmp_lt_i32_e32 vcc, -1, v5
	v_mov_b32_e32 v2, 0x7c
	v_cndmask_b32_e32 v37, -4, v2, vcc
; %bb.19412:                            ;   in Loop: Header=BB6_18303 Depth=3
	s_or_b64 exec, exec, s[34:35]
.LBB6_19413:                            ;   in Loop: Header=BB6_18303 Depth=3
	s_or_b64 exec, exec, s[28:29]
	v_and_b32_e32 v16, 0xff, v31
	v_cmp_ne_u16_e32 vcc, 0, v16
	v_mov_b32_e32 v2, 0
	v_mov_b32_e32 v5, 0
	s_and_saveexec_b64 s[28:29], vcc
	s_cbranch_execz .LBB6_19421
; %bb.19414:                            ;   in Loop: Header=BB6_18303 Depth=3
	v_cmp_ne_u16_e32 vcc, s97, v16
	v_bfrev_b32_e32 v5, 1
	s_and_saveexec_b64 s[34:35], vcc
	s_cbranch_execz .LBB6_19420
; %bb.19415:                            ;   in Loop: Header=BB6_18303 Depth=3
	v_and_b32_e32 v5, 0x7c, v31
	v_and_b32_e32 v7, 3, v31
	v_cmp_ne_u32_e32 vcc, s86, v5
                                        ; implicit-def: $vgpr5
	s_and_saveexec_b64 s[62:63], vcc
	s_xor_b64 s[36:37], exec, s[62:63]
	s_cbranch_execz .LBB6_19417
; %bb.19416:                            ;   in Loop: Header=BB6_18303 Depth=3
	v_bfe_u32 v5, v16, 2, 5
	v_ffbh_u32_e32 v16, v7
	v_min_u32_e32 v19, 32, v16
	v_mov_b32_e32 v32, v33
	v_subrev_u32_e32 v16, 29, v19
	v_lshlrev_b64 v[16:17], v16, v[31:32]
	v_cmp_eq_u32_e32 vcc, 0, v5
	v_and_b32_e32 v16, 3, v16
	v_sub_u32_e32 v17, 30, v19
	v_cndmask_b32_e32 v7, v7, v16, vcc
	v_lshlrev_b32_e32 v16, 24, v31
	v_cndmask_b32_e32 v5, v5, v17, vcc
	v_and_b32_e32 v16, 0x80000000, v16
	v_lshl_add_u32 v5, v5, 23, v16
	v_lshl_or_b32 v5, v7, 21, v5
	v_add_u32_e32 v5, 0x38000000, v5
                                        ; implicit-def: $vgpr7
                                        ; implicit-def: $vgpr31
.LBB6_19417:                            ;   in Loop: Header=BB6_18303 Depth=3
	s_andn2_saveexec_b64 s[36:37], s[36:37]
; %bb.19418:                            ;   in Loop: Header=BB6_18303 Depth=3
	v_mov_b32_e32 v5, -1
	v_cmp_gt_i16_sdwa vcc, sext(v31), v5 src0_sel:BYTE_0 src1_sel:DWORD
	v_mov_b32_e32 v5, 0xff800000
	v_mov_b32_e32 v16, 0x7f800000
	v_cndmask_b32_e32 v5, v5, v16, vcc
	v_cmp_eq_u32_e32 vcc, 0, v7
	v_mov_b32_e32 v7, 0x7f800001
	v_cndmask_b32_e32 v5, v7, v5, vcc
; %bb.19419:                            ;   in Loop: Header=BB6_18303 Depth=3
	s_or_b64 exec, exec, s[36:37]
.LBB6_19420:                            ;   in Loop: Header=BB6_18303 Depth=3
	s_or_b64 exec, exec, s[34:35]
.LBB6_19421:                            ;   in Loop: Header=BB6_18303 Depth=3
	s_or_b64 exec, exec, s[28:29]
	v_cmp_ne_u16_e32 vcc, 0, v43
	s_and_saveexec_b64 s[28:29], vcc
	s_cbranch_execz .LBB6_19429
; %bb.19422:                            ;   in Loop: Header=BB6_18303 Depth=3
	v_cmp_ne_u16_e32 vcc, s46, v43
	v_bfrev_b32_e32 v2, 1
	s_and_saveexec_b64 s[34:35], vcc
	s_cbranch_execz .LBB6_19428
; %bb.19423:                            ;   in Loop: Header=BB6_18303 Depth=3
	v_and_b32_e32 v2, 0x7c, v43
	v_and_b32_e32 v7, 3, v43
	v_cmp_ne_u32_e32 vcc, s86, v2
                                        ; implicit-def: $vgpr2
	s_and_saveexec_b64 s[62:63], vcc
	s_xor_b64 s[36:37], exec, s[62:63]
	s_cbranch_execz .LBB6_19425
; %bb.19424:                            ;   in Loop: Header=BB6_18303 Depth=3
	v_ffbh_u32_e32 v16, v7
	v_min_u32_e32 v19, 32, v16
	v_mov_b32_e32 v23, v44
	v_mov_b32_e32 v44, v33
	v_subrev_u32_e32 v16, 29, v19
	v_and_b32_e32 v2, 0xff, v43
	v_lshlrev_b64 v[16:17], v16, v[43:44]
	v_bfe_u32 v2, v2, 2, 5
	v_sub_u32_e32 v17, 30, v19
	v_and_b32_e32 v16, 3, v16
	v_cmp_eq_u32_e32 vcc, 0, v2
	v_cndmask_b32_e32 v2, v2, v17, vcc
	v_cndmask_b32_e32 v7, v7, v16, vcc
	v_and_b32_sdwa v16, sext(v43), s87 dst_sel:DWORD dst_unused:UNUSED_PAD src0_sel:WORD_0 src1_sel:DWORD
	v_lshl_add_u32 v2, v2, 23, v16
	v_lshl_or_b32 v2, v7, 21, v2
	v_mov_b32_e32 v44, v23
	v_add_u32_e32 v2, 0x38000000, v2
                                        ; implicit-def: $vgpr7
                                        ; implicit-def: $vgpr43
.LBB6_19425:                            ;   in Loop: Header=BB6_18303 Depth=3
	s_andn2_saveexec_b64 s[36:37], s[36:37]
; %bb.19426:                            ;   in Loop: Header=BB6_18303 Depth=3
	v_cmp_lt_i16_e32 vcc, -1, v43
	v_mov_b32_e32 v2, 0xff800000
	v_mov_b32_e32 v16, 0x7f800000
	v_cndmask_b32_e32 v2, v2, v16, vcc
	v_cmp_eq_u32_e32 vcc, 0, v7
	v_mov_b32_e32 v7, 0x7f800001
	v_cndmask_b32_e32 v2, v7, v2, vcc
; %bb.19427:                            ;   in Loop: Header=BB6_18303 Depth=3
	s_or_b64 exec, exec, s[36:37]
.LBB6_19428:                            ;   in Loop: Header=BB6_18303 Depth=3
	s_or_b64 exec, exec, s[34:35]
.LBB6_19429:                            ;   in Loop: Header=BB6_18303 Depth=3
	s_or_b64 exec, exec, s[28:29]
	v_add_f32_e32 v5, v5, v2
	v_and_b32_e32 v31, 0x7f800000, v5
	v_mov_b32_e32 v32, v33
	v_cmp_ne_u64_e32 vcc, s[76:77], v[31:32]
	v_and_b32_e32 v16, 0x7fffff, v5
	v_mov_b32_e32 v17, v33
                                        ; implicit-def: $vgpr32
	s_and_saveexec_b64 s[28:29], vcc
	s_xor_b64 s[34:35], exec, s[28:29]
	s_cbranch_execz .LBB6_19447
; %bb.19430:                            ;   in Loop: Header=BB6_18303 Depth=3
	v_and_b32_e32 v31, 0x7fffffff, v5
	v_mov_b32_e32 v32, v33
	v_cmp_gt_u64_e32 vcc, s[78:79], v[31:32]
	v_and_b32_sdwa v2, v5, s97 dst_sel:DWORD dst_unused:UNUSED_PAD src0_sel:BYTE_3 src1_sel:DWORD
                                        ; implicit-def: $vgpr32
	s_and_saveexec_b64 s[28:29], vcc
	s_xor_b64 s[36:37], exec, s[28:29]
	s_cbranch_execz .LBB6_19444
; %bb.19431:                            ;   in Loop: Header=BB6_18303 Depth=3
	v_cmp_ne_u32_e32 vcc, 0, v5
	v_mov_b32_e32 v32, 0
	s_and_saveexec_b64 s[38:39], vcc
	s_cbranch_execz .LBB6_19443
; %bb.19432:                            ;   in Loop: Header=BB6_18303 Depth=3
	v_bfe_u32 v5, v5, 23, 8
	v_cmp_gt_u32_e64 s[28:29], s47, v5
	v_sub_u32_e32 v7, 0x71, v5
	v_cmp_eq_u32_e32 vcc, 0, v5
	v_cndmask_b32_e64 v7, 0, v7, s[28:29]
	v_mov_b32_e32 v23, 0x70
	v_or_b32_e32 v19, 0x800000, v16
	v_cndmask_b32_e32 v7, v7, v23, vcc
	v_cndmask_b32_e32 v16, v19, v16, vcc
	v_add_u32_e32 v19, 21, v7
	v_lshlrev_b64 v[31:32], v19, -1
	v_add_u32_e32 v19, 20, v7
	v_mov_b32_e32 v36, v48
	v_bfi_b32 v31, v31, 0, v16
	v_lshlrev_b64 v[48:49], v19, 1
	v_lshrrev_b64 v[16:17], v7, v[16:17]
	v_bfi_b32 v32, v32, 0, 0
	v_cmp_eq_u64_e64 s[28:29], v[31:32], v[48:49]
	v_mov_b32_e32 v32, v17
	v_mov_b32_e32 v31, v16
	s_and_saveexec_b64 s[48:49], s[28:29]
; %bb.19433:                            ;   in Loop: Header=BB6_18303 Depth=3
	v_bfe_u32 v17, v16, 21, 1
	v_add_co_u32_e64 v17, s[28:29], v16, v17
	v_add_co_u32_e64 v31, s[28:29], -1, v17
; %bb.19434:                            ;   in Loop: Header=BB6_18303 Depth=3
	s_or_b64 exec, exec, s[48:49]
	v_add_u32_e32 v5, 0xffffff81, v5
	v_mov_b32_e32 v17, 0xffffff82
	v_cndmask_b32_e32 v5, v5, v17, vcc
	v_lshrrev_b32_e32 v17, 23, v16
	v_add3_u32 v19, v7, v5, v17
	v_add_u32_e32 v7, 14, v19
	v_and_b32_e32 v5, 0x1fffff, v31
	v_add_u32_e32 v16, v5, v16
	v_mov_b32_e32 v17, v33
	v_cmp_ne_u32_e32 vcc, 0, v7
                                        ; implicit-def: $vgpr5
	s_and_saveexec_b64 s[28:29], vcc
	s_xor_b64 s[28:29], exec, s[28:29]
; %bb.19435:                            ;   in Loop: Header=BB6_18303 Depth=3
	v_cmp_lt_u64_e32 vcc, s[88:89], v[16:17]
	v_add_u32_e32 v5, 15, v19
	v_cndmask_b32_e32 v5, v7, v5, vcc
	v_cndmask_b32_e64 v7, 0, 1, vcc
	v_lshrrev_b64 v[16:17], v7, v[16:17]
; %bb.19436:                            ;   in Loop: Header=BB6_18303 Depth=3
	s_or_saveexec_b64 s[28:29], s[28:29]
	v_mov_b32_e32 v48, v36
	s_xor_b64 exec, exec, s[28:29]
; %bb.19437:                            ;   in Loop: Header=BB6_18303 Depth=3
	v_bfe_u32 v5, v16, 23, 1
; %bb.19438:                            ;   in Loop: Header=BB6_18303 Depth=3
	s_or_b64 exec, exec, s[28:29]
	v_lshrrev_b64 v[16:17], 21, v[16:17]
	v_cmp_gt_i32_e32 vcc, 32, v5
	v_cndmask_b32_e32 v17, 0, v17, vcc
	v_cndmask_b32_e32 v16, 3, v16, vcc
	v_cmp_ne_u64_e32 vcc, 0, v[16:17]
	v_cmp_ne_u32_e64 s[28:29], 0, v5
	s_or_b64 s[28:29], s[28:29], vcc
                                        ; implicit-def: $vgpr32
	s_and_saveexec_b64 s[62:63], s[28:29]
	s_xor_b64 s[28:29], exec, s[62:63]
; %bb.19439:                            ;   in Loop: Header=BB6_18303 Depth=3
	v_min_i32_e32 v5, 31, v5
	v_lshl_or_b32 v2, v5, 2, v2
	v_and_or_b32 v32, v16, 3, v2
                                        ; implicit-def: $vgpr2
; %bb.19440:                            ;   in Loop: Header=BB6_18303 Depth=3
	s_andn2_saveexec_b64 s[28:29], s[28:29]
; %bb.19441:                            ;   in Loop: Header=BB6_18303 Depth=3
	v_mov_b32_e32 v32, v2
; %bb.19442:                            ;   in Loop: Header=BB6_18303 Depth=3
	s_or_b64 exec, exec, s[28:29]
.LBB6_19443:                            ;   in Loop: Header=BB6_18303 Depth=3
	s_or_b64 exec, exec, s[38:39]
                                        ; implicit-def: $vgpr2
.LBB6_19444:                            ;   in Loop: Header=BB6_18303 Depth=3
	s_andn2_saveexec_b64 s[28:29], s[36:37]
; %bb.19445:                            ;   in Loop: Header=BB6_18303 Depth=3
	v_or_b32_e32 v32, 0x7b, v2
; %bb.19446:                            ;   in Loop: Header=BB6_18303 Depth=3
	s_or_b64 exec, exec, s[28:29]
                                        ; implicit-def: $vgpr5
                                        ; implicit-def: $vgpr16_vgpr17
.LBB6_19447:                            ;   in Loop: Header=BB6_18303 Depth=3
	s_andn2_saveexec_b64 s[28:29], s[34:35]
	s_cbranch_execz .LBB6_19453
; %bb.19448:                            ;   in Loop: Header=BB6_18303 Depth=3
	v_cmp_ne_u64_e32 vcc, 0, v[16:17]
                                        ; implicit-def: $vgpr32
	s_and_saveexec_b64 s[62:63], vcc
	s_xor_b64 vcc, exec, s[62:63]
; %bb.19449:                            ;   in Loop: Header=BB6_18303 Depth=3
	v_or_b32_sdwa v32, v5, s44 dst_sel:DWORD dst_unused:UNUSED_PAD src0_sel:BYTE_3 src1_sel:DWORD
                                        ; implicit-def: $vgpr5
; %bb.19450:                            ;   in Loop: Header=BB6_18303 Depth=3
	s_andn2_saveexec_b64 s[34:35], vcc
; %bb.19451:                            ;   in Loop: Header=BB6_18303 Depth=3
	v_cmp_lt_i32_e32 vcc, -1, v5
	v_mov_b32_e32 v2, 0x7c
	v_cndmask_b32_e32 v32, -4, v2, vcc
; %bb.19452:                            ;   in Loop: Header=BB6_18303 Depth=3
	s_or_b64 exec, exec, s[34:35]
.LBB6_19453:                            ;   in Loop: Header=BB6_18303 Depth=3
	s_or_b64 exec, exec, s[28:29]
	buffer_load_dword v16, off, s[0:3], s33 offset:268 ; 4-byte Folded Reload
	buffer_load_dword v17, off, s[0:3], s33 offset:272 ; 4-byte Folded Reload
	v_mov_b32_e32 v2, 0
	v_mov_b32_e32 v5, 0
	s_waitcnt vmcnt(1)
	v_and_b32_e32 v16, 0xff, v16
	v_cmp_ne_u16_e32 vcc, 0, v16
	s_and_saveexec_b64 s[28:29], vcc
	s_cbranch_execz .LBB6_19461
; %bb.19454:                            ;   in Loop: Header=BB6_18303 Depth=3
	v_cmp_ne_u16_e32 vcc, s97, v16
	v_bfrev_b32_e32 v5, 1
	s_and_saveexec_b64 s[34:35], vcc
	s_cbranch_execz .LBB6_19460
; %bb.19455:                            ;   in Loop: Header=BB6_18303 Depth=3
	buffer_load_dword v49, off, s[0:3], s33 offset:268 ; 4-byte Folded Reload
	buffer_load_dword v50, off, s[0:3], s33 offset:272 ; 4-byte Folded Reload
	s_waitcnt vmcnt(1)
	v_mov_b32_e32 v5, v49
	v_and_b32_e32 v7, 3, v5
	v_and_b32_e32 v5, 0x7c, v5
	v_cmp_ne_u32_e32 vcc, s86, v5
                                        ; implicit-def: $vgpr5
	s_and_saveexec_b64 s[62:63], vcc
	s_xor_b64 s[36:37], exec, s[62:63]
	s_cbranch_execz .LBB6_19457
; %bb.19456:                            ;   in Loop: Header=BB6_18303 Depth=3
	buffer_load_dword v49, off, s[0:3], s33 offset:268 ; 4-byte Folded Reload
	buffer_load_dword v50, off, s[0:3], s33 offset:272 ; 4-byte Folded Reload
	v_bfe_u32 v5, v16, 2, 5
	v_ffbh_u32_e32 v16, v7
	v_min_u32_e32 v19, 32, v16
	s_waitcnt vmcnt(0)
	v_mov_b32_e32 v50, v33
	v_subrev_u32_e32 v16, 29, v19
	v_cmp_eq_u32_e32 vcc, 0, v5
	v_lshlrev_b64 v[16:17], v16, v[49:50]
	v_sub_u32_e32 v17, 30, v19
	v_and_b32_e32 v16, 3, v16
	v_cndmask_b32_e32 v7, v7, v16, vcc
	v_lshlrev_b32_e32 v16, 24, v49
	v_cndmask_b32_e32 v5, v5, v17, vcc
	v_and_b32_e32 v16, 0x80000000, v16
	v_lshl_add_u32 v5, v5, 23, v16
	v_lshl_or_b32 v5, v7, 21, v5
	v_add_u32_e32 v5, 0x38000000, v5
                                        ; implicit-def: $vgpr16
                                        ; implicit-def: $vgpr7
	buffer_store_dword v16, off, s[0:3], s33 offset:268 ; 4-byte Folded Spill
	s_nop 0
	buffer_store_dword v17, off, s[0:3], s33 offset:272 ; 4-byte Folded Spill
.LBB6_19457:                            ;   in Loop: Header=BB6_18303 Depth=3
	s_andn2_saveexec_b64 s[36:37], s[36:37]
	s_cbranch_execz .LBB6_19459
; %bb.19458:                            ;   in Loop: Header=BB6_18303 Depth=3
	buffer_load_dword v16, off, s[0:3], s33 offset:268 ; 4-byte Folded Reload
	buffer_load_dword v17, off, s[0:3], s33 offset:272 ; 4-byte Folded Reload
	v_mov_b32_e32 v5, -1
	s_waitcnt vmcnt(1)
	v_cmp_gt_i16_sdwa vcc, sext(v16), v5 src0_sel:BYTE_0 src1_sel:DWORD
	v_mov_b32_e32 v5, 0xff800000
	v_mov_b32_e32 v16, 0x7f800000
	v_cndmask_b32_e32 v5, v5, v16, vcc
	v_cmp_eq_u32_e32 vcc, 0, v7
	v_mov_b32_e32 v7, 0x7f800001
	v_cndmask_b32_e32 v5, v7, v5, vcc
.LBB6_19459:                            ;   in Loop: Header=BB6_18303 Depth=3
	s_or_b64 exec, exec, s[36:37]
.LBB6_19460:                            ;   in Loop: Header=BB6_18303 Depth=3
	s_or_b64 exec, exec, s[34:35]
.LBB6_19461:                            ;   in Loop: Header=BB6_18303 Depth=3
	s_or_b64 exec, exec, s[28:29]
	v_cmp_ne_u16_e32 vcc, 0, v18
	s_and_saveexec_b64 s[28:29], vcc
	s_cbranch_execz .LBB6_19469
; %bb.19462:                            ;   in Loop: Header=BB6_18303 Depth=3
	v_cmp_ne_u16_e32 vcc, s46, v18
	v_bfrev_b32_e32 v2, 1
	s_and_saveexec_b64 s[34:35], vcc
	s_cbranch_execz .LBB6_19468
; %bb.19463:                            ;   in Loop: Header=BB6_18303 Depth=3
	v_and_b32_e32 v2, 0x7c, v18
	v_and_b32_e32 v7, 3, v18
	v_cmp_ne_u32_e32 vcc, s86, v2
                                        ; implicit-def: $vgpr2
	s_and_saveexec_b64 s[62:63], vcc
	s_xor_b64 s[36:37], exec, s[62:63]
	s_cbranch_execz .LBB6_19465
; %bb.19464:                            ;   in Loop: Header=BB6_18303 Depth=3
	v_ffbh_u32_e32 v16, v7
	v_min_u32_e32 v23, 32, v16
	v_mov_b32_e32 v19, v33
	v_subrev_u32_e32 v16, 29, v23
	v_and_b32_e32 v2, 0xff, v18
	s_waitcnt vmcnt(0)
	v_lshlrev_b64 v[16:17], v16, v[18:19]
	v_bfe_u32 v2, v2, 2, 5
	v_sub_u32_e32 v17, 30, v23
	v_and_b32_e32 v16, 3, v16
	v_cmp_eq_u32_e32 vcc, 0, v2
	v_cndmask_b32_e32 v2, v2, v17, vcc
	v_cndmask_b32_e32 v7, v7, v16, vcc
	v_and_b32_sdwa v16, sext(v18), s87 dst_sel:DWORD dst_unused:UNUSED_PAD src0_sel:WORD_0 src1_sel:DWORD
	v_lshl_add_u32 v2, v2, 23, v16
	v_lshl_or_b32 v2, v7, 21, v2
	v_add_u32_e32 v2, 0x38000000, v2
                                        ; implicit-def: $vgpr7
                                        ; implicit-def: $vgpr18
.LBB6_19465:                            ;   in Loop: Header=BB6_18303 Depth=3
	s_andn2_saveexec_b64 s[36:37], s[36:37]
; %bb.19466:                            ;   in Loop: Header=BB6_18303 Depth=3
	v_cmp_lt_i16_e32 vcc, -1, v18
	v_mov_b32_e32 v2, 0xff800000
	v_mov_b32_e32 v16, 0x7f800000
	v_cndmask_b32_e32 v2, v2, v16, vcc
	v_cmp_eq_u32_e32 vcc, 0, v7
	v_mov_b32_e32 v7, 0x7f800001
	v_cndmask_b32_e32 v2, v7, v2, vcc
; %bb.19467:                            ;   in Loop: Header=BB6_18303 Depth=3
	s_or_b64 exec, exec, s[36:37]
.LBB6_19468:                            ;   in Loop: Header=BB6_18303 Depth=3
	s_or_b64 exec, exec, s[34:35]
.LBB6_19469:                            ;   in Loop: Header=BB6_18303 Depth=3
	s_or_b64 exec, exec, s[28:29]
	v_add_f32_e32 v5, v5, v2
	s_waitcnt vmcnt(0)
	v_and_b32_e32 v17, 0x7f800000, v5
	v_mov_b32_e32 v18, v33
	v_cmp_ne_u64_e32 vcc, s[76:77], v[17:18]
	v_and_b32_e32 v16, 0x7fffff, v5
	v_mov_b32_e32 v17, v33
                                        ; implicit-def: $vgpr19
	s_and_saveexec_b64 s[28:29], vcc
	s_xor_b64 s[34:35], exec, s[28:29]
	s_cbranch_execz .LBB6_19487
; %bb.19470:                            ;   in Loop: Header=BB6_18303 Depth=3
	v_and_b32_e32 v18, 0x7fffffff, v5
	v_mov_b32_e32 v19, v33
	v_cmp_gt_u64_e32 vcc, s[78:79], v[18:19]
	v_and_b32_sdwa v2, v5, s97 dst_sel:DWORD dst_unused:UNUSED_PAD src0_sel:BYTE_3 src1_sel:DWORD
                                        ; implicit-def: $vgpr19
	s_and_saveexec_b64 s[28:29], vcc
	s_xor_b64 s[36:37], exec, s[28:29]
	s_cbranch_execz .LBB6_19484
; %bb.19471:                            ;   in Loop: Header=BB6_18303 Depth=3
	v_cmp_ne_u32_e32 vcc, 0, v5
	v_mov_b32_e32 v19, 0
	s_and_saveexec_b64 s[38:39], vcc
	s_cbranch_execz .LBB6_19483
; %bb.19472:                            ;   in Loop: Header=BB6_18303 Depth=3
	v_bfe_u32 v5, v5, 23, 8
	v_cmp_gt_u32_e64 s[28:29], s47, v5
	v_sub_u32_e32 v7, 0x71, v5
	v_cmp_eq_u32_e32 vcc, 0, v5
	v_cndmask_b32_e64 v7, 0, v7, s[28:29]
	v_mov_b32_e32 v19, 0x70
	v_or_b32_e32 v18, 0x800000, v16
	v_cndmask_b32_e32 v7, v7, v19, vcc
	v_cndmask_b32_e32 v16, v18, v16, vcc
	v_add_u32_e32 v18, 21, v7
	v_lshlrev_b64 v[18:19], v18, -1
	v_add_u32_e32 v23, 20, v7
	v_mov_b32_e32 v31, v48
	v_bfi_b32 v18, v18, 0, v16
	v_lshlrev_b64 v[48:49], v23, 1
	v_lshrrev_b64 v[16:17], v7, v[16:17]
	v_bfi_b32 v19, v19, 0, 0
	v_cmp_eq_u64_e64 s[28:29], v[18:19], v[48:49]
	v_mov_b32_e32 v18, v17
	v_mov_b32_e32 v17, v16
	s_and_saveexec_b64 s[48:49], s[28:29]
; %bb.19473:                            ;   in Loop: Header=BB6_18303 Depth=3
	v_bfe_u32 v17, v16, 21, 1
	v_add_co_u32_e64 v17, s[28:29], v16, v17
	v_add_co_u32_e64 v17, s[28:29], -1, v17
; %bb.19474:                            ;   in Loop: Header=BB6_18303 Depth=3
	s_or_b64 exec, exec, s[48:49]
	v_add_u32_e32 v5, 0xffffff81, v5
	v_mov_b32_e32 v18, 0xffffff82
	v_cndmask_b32_e32 v5, v5, v18, vcc
	v_lshrrev_b32_e32 v18, 23, v16
	v_add3_u32 v18, v7, v5, v18
	v_add_u32_e32 v7, 14, v18
	v_and_b32_e32 v5, 0x1fffff, v17
	v_add_u32_e32 v16, v5, v16
	v_mov_b32_e32 v17, v33
	v_cmp_ne_u32_e32 vcc, 0, v7
                                        ; implicit-def: $vgpr5
	s_and_saveexec_b64 s[28:29], vcc
	s_xor_b64 s[28:29], exec, s[28:29]
; %bb.19475:                            ;   in Loop: Header=BB6_18303 Depth=3
	v_cmp_lt_u64_e32 vcc, s[88:89], v[16:17]
	v_add_u32_e32 v5, 15, v18
	v_cndmask_b32_e32 v5, v7, v5, vcc
	v_cndmask_b32_e64 v7, 0, 1, vcc
	v_lshrrev_b64 v[16:17], v7, v[16:17]
; %bb.19476:                            ;   in Loop: Header=BB6_18303 Depth=3
	s_or_saveexec_b64 s[28:29], s[28:29]
	v_mov_b32_e32 v48, v31
	s_xor_b64 exec, exec, s[28:29]
; %bb.19477:                            ;   in Loop: Header=BB6_18303 Depth=3
	v_bfe_u32 v5, v16, 23, 1
; %bb.19478:                            ;   in Loop: Header=BB6_18303 Depth=3
	s_or_b64 exec, exec, s[28:29]
	v_lshrrev_b64 v[16:17], 21, v[16:17]
	v_cmp_gt_i32_e32 vcc, 32, v5
	v_cndmask_b32_e32 v17, 0, v17, vcc
	v_cndmask_b32_e32 v16, 3, v16, vcc
	v_cmp_ne_u64_e32 vcc, 0, v[16:17]
	v_cmp_ne_u32_e64 s[28:29], 0, v5
	s_or_b64 s[28:29], s[28:29], vcc
                                        ; implicit-def: $vgpr19
	s_and_saveexec_b64 s[62:63], s[28:29]
	s_xor_b64 s[28:29], exec, s[62:63]
; %bb.19479:                            ;   in Loop: Header=BB6_18303 Depth=3
	v_min_i32_e32 v5, 31, v5
	v_lshl_or_b32 v2, v5, 2, v2
	v_and_or_b32 v19, v16, 3, v2
                                        ; implicit-def: $vgpr2
; %bb.19480:                            ;   in Loop: Header=BB6_18303 Depth=3
	s_andn2_saveexec_b64 s[28:29], s[28:29]
; %bb.19481:                            ;   in Loop: Header=BB6_18303 Depth=3
	v_mov_b32_e32 v19, v2
; %bb.19482:                            ;   in Loop: Header=BB6_18303 Depth=3
	s_or_b64 exec, exec, s[28:29]
.LBB6_19483:                            ;   in Loop: Header=BB6_18303 Depth=3
	s_or_b64 exec, exec, s[38:39]
                                        ; implicit-def: $vgpr2
.LBB6_19484:                            ;   in Loop: Header=BB6_18303 Depth=3
	s_andn2_saveexec_b64 s[28:29], s[36:37]
; %bb.19485:                            ;   in Loop: Header=BB6_18303 Depth=3
	v_or_b32_e32 v19, 0x7b, v2
; %bb.19486:                            ;   in Loop: Header=BB6_18303 Depth=3
	s_or_b64 exec, exec, s[28:29]
                                        ; implicit-def: $vgpr5
                                        ; implicit-def: $vgpr16_vgpr17
.LBB6_19487:                            ;   in Loop: Header=BB6_18303 Depth=3
	s_andn2_saveexec_b64 s[28:29], s[34:35]
	s_cbranch_execz .LBB6_19493
; %bb.19488:                            ;   in Loop: Header=BB6_18303 Depth=3
	v_cmp_ne_u64_e32 vcc, 0, v[16:17]
                                        ; implicit-def: $vgpr19
	s_and_saveexec_b64 s[62:63], vcc
	s_xor_b64 vcc, exec, s[62:63]
; %bb.19489:                            ;   in Loop: Header=BB6_18303 Depth=3
	v_or_b32_sdwa v19, v5, s44 dst_sel:DWORD dst_unused:UNUSED_PAD src0_sel:BYTE_3 src1_sel:DWORD
                                        ; implicit-def: $vgpr5
; %bb.19490:                            ;   in Loop: Header=BB6_18303 Depth=3
	s_andn2_saveexec_b64 s[34:35], vcc
; %bb.19491:                            ;   in Loop: Header=BB6_18303 Depth=3
	v_cmp_lt_i32_e32 vcc, -1, v5
	v_mov_b32_e32 v2, 0x7c
	v_cndmask_b32_e32 v19, -4, v2, vcc
; %bb.19492:                            ;   in Loop: Header=BB6_18303 Depth=3
	s_or_b64 exec, exec, s[34:35]
.LBB6_19493:                            ;   in Loop: Header=BB6_18303 Depth=3
	s_or_b64 exec, exec, s[28:29]
	v_and_b32_e32 v16, 0xff, v48
	v_cmp_ne_u16_e32 vcc, 0, v16
	v_mov_b32_e32 v2, 0
	v_mov_b32_e32 v5, 0
	s_and_saveexec_b64 s[28:29], vcc
	s_cbranch_execz .LBB6_19501
; %bb.19494:                            ;   in Loop: Header=BB6_18303 Depth=3
	v_cmp_ne_u16_e32 vcc, s97, v16
	v_bfrev_b32_e32 v5, 1
	s_and_saveexec_b64 s[34:35], vcc
	s_cbranch_execz .LBB6_19500
; %bb.19495:                            ;   in Loop: Header=BB6_18303 Depth=3
	v_and_b32_e32 v5, 0x7c, v48
	v_and_b32_e32 v7, 3, v48
	v_cmp_ne_u32_e32 vcc, s86, v5
                                        ; implicit-def: $vgpr5
	s_and_saveexec_b64 s[62:63], vcc
	s_xor_b64 s[36:37], exec, s[62:63]
	s_cbranch_execz .LBB6_19497
; %bb.19496:                            ;   in Loop: Header=BB6_18303 Depth=3
	v_bfe_u32 v5, v16, 2, 5
	v_ffbh_u32_e32 v16, v7
	v_min_u32_e32 v18, 32, v16
	v_mov_b32_e32 v49, v33
	v_subrev_u32_e32 v16, 29, v18
	v_lshlrev_b64 v[16:17], v16, v[48:49]
	v_cmp_eq_u32_e32 vcc, 0, v5
	v_and_b32_e32 v16, 3, v16
	v_sub_u32_e32 v17, 30, v18
	v_cndmask_b32_e32 v7, v7, v16, vcc
	v_lshlrev_b32_e32 v16, 24, v48
	v_cndmask_b32_e32 v5, v5, v17, vcc
	v_and_b32_e32 v16, 0x80000000, v16
	v_lshl_add_u32 v5, v5, 23, v16
	v_lshl_or_b32 v5, v7, 21, v5
	v_add_u32_e32 v5, 0x38000000, v5
                                        ; implicit-def: $vgpr7
                                        ; implicit-def: $vgpr48
.LBB6_19497:                            ;   in Loop: Header=BB6_18303 Depth=3
	s_andn2_saveexec_b64 s[36:37], s[36:37]
; %bb.19498:                            ;   in Loop: Header=BB6_18303 Depth=3
	v_mov_b32_e32 v5, -1
	v_cmp_gt_i16_sdwa vcc, sext(v48), v5 src0_sel:BYTE_0 src1_sel:DWORD
	v_mov_b32_e32 v5, 0xff800000
	v_mov_b32_e32 v16, 0x7f800000
	v_cndmask_b32_e32 v5, v5, v16, vcc
	v_cmp_eq_u32_e32 vcc, 0, v7
	v_mov_b32_e32 v7, 0x7f800001
	v_cndmask_b32_e32 v5, v7, v5, vcc
; %bb.19499:                            ;   in Loop: Header=BB6_18303 Depth=3
	s_or_b64 exec, exec, s[36:37]
.LBB6_19500:                            ;   in Loop: Header=BB6_18303 Depth=3
	s_or_b64 exec, exec, s[34:35]
.LBB6_19501:                            ;   in Loop: Header=BB6_18303 Depth=3
	s_or_b64 exec, exec, s[28:29]
	v_cmp_ne_u16_e32 vcc, 0, v42
	s_and_saveexec_b64 s[28:29], vcc
	s_cbranch_execz .LBB6_19509
; %bb.19502:                            ;   in Loop: Header=BB6_18303 Depth=3
	v_cmp_ne_u16_e32 vcc, s46, v42
	v_bfrev_b32_e32 v2, 1
	s_and_saveexec_b64 s[34:35], vcc
	s_cbranch_execz .LBB6_19508
; %bb.19503:                            ;   in Loop: Header=BB6_18303 Depth=3
	v_and_b32_e32 v2, 0x7c, v42
	v_and_b32_e32 v7, 3, v42
	v_cmp_ne_u32_e32 vcc, s86, v2
                                        ; implicit-def: $vgpr2
	s_and_saveexec_b64 s[62:63], vcc
	s_xor_b64 s[36:37], exec, s[62:63]
	s_cbranch_execz .LBB6_19505
; %bb.19504:                            ;   in Loop: Header=BB6_18303 Depth=3
	v_ffbh_u32_e32 v16, v7
	v_min_u32_e32 v18, 32, v16
	v_mov_b32_e32 v43, v33
	v_subrev_u32_e32 v16, 29, v18
	v_and_b32_e32 v2, 0xff, v42
	v_lshlrev_b64 v[16:17], v16, v[42:43]
	v_bfe_u32 v2, v2, 2, 5
	v_sub_u32_e32 v17, 30, v18
	v_and_b32_e32 v16, 3, v16
	v_cmp_eq_u32_e32 vcc, 0, v2
	v_cndmask_b32_e32 v2, v2, v17, vcc
	v_cndmask_b32_e32 v7, v7, v16, vcc
	v_and_b32_sdwa v16, sext(v42), s87 dst_sel:DWORD dst_unused:UNUSED_PAD src0_sel:WORD_0 src1_sel:DWORD
	v_lshl_add_u32 v2, v2, 23, v16
	v_lshl_or_b32 v2, v7, 21, v2
	v_add_u32_e32 v2, 0x38000000, v2
                                        ; implicit-def: $vgpr7
                                        ; implicit-def: $vgpr42
.LBB6_19505:                            ;   in Loop: Header=BB6_18303 Depth=3
	s_andn2_saveexec_b64 s[36:37], s[36:37]
; %bb.19506:                            ;   in Loop: Header=BB6_18303 Depth=3
	v_cmp_lt_i16_e32 vcc, -1, v42
	v_mov_b32_e32 v2, 0xff800000
	v_mov_b32_e32 v16, 0x7f800000
	v_cndmask_b32_e32 v2, v2, v16, vcc
	v_cmp_eq_u32_e32 vcc, 0, v7
	v_mov_b32_e32 v7, 0x7f800001
	v_cndmask_b32_e32 v2, v7, v2, vcc
; %bb.19507:                            ;   in Loop: Header=BB6_18303 Depth=3
	s_or_b64 exec, exec, s[36:37]
.LBB6_19508:                            ;   in Loop: Header=BB6_18303 Depth=3
	s_or_b64 exec, exec, s[34:35]
.LBB6_19509:                            ;   in Loop: Header=BB6_18303 Depth=3
	s_or_b64 exec, exec, s[28:29]
	v_add_f32_e32 v5, v5, v2
	v_and_b32_e32 v17, 0x7f800000, v5
	v_mov_b32_e32 v18, v33
	v_cmp_ne_u64_e32 vcc, s[76:77], v[17:18]
	v_and_b32_e32 v16, 0x7fffff, v5
	v_mov_b32_e32 v17, v33
                                        ; implicit-def: $vgpr49
	s_and_saveexec_b64 s[28:29], vcc
	s_xor_b64 s[34:35], exec, s[28:29]
	s_cbranch_execz .LBB6_19527
; %bb.19510:                            ;   in Loop: Header=BB6_18303 Depth=3
	v_and_b32_e32 v48, 0x7fffffff, v5
	v_mov_b32_e32 v49, v33
	v_cmp_gt_u64_e32 vcc, s[78:79], v[48:49]
	v_and_b32_sdwa v2, v5, s97 dst_sel:DWORD dst_unused:UNUSED_PAD src0_sel:BYTE_3 src1_sel:DWORD
                                        ; implicit-def: $vgpr49
	s_and_saveexec_b64 s[28:29], vcc
	s_xor_b64 s[36:37], exec, s[28:29]
	s_cbranch_execz .LBB6_19524
; %bb.19511:                            ;   in Loop: Header=BB6_18303 Depth=3
	v_cmp_ne_u32_e32 vcc, 0, v5
	v_mov_b32_e32 v49, 0
	s_and_saveexec_b64 s[38:39], vcc
	s_cbranch_execz .LBB6_19523
; %bb.19512:                            ;   in Loop: Header=BB6_18303 Depth=3
	v_bfe_u32 v5, v5, 23, 8
	v_cmp_gt_u32_e64 s[28:29], s47, v5
	v_sub_u32_e32 v7, 0x71, v5
	v_cmp_eq_u32_e32 vcc, 0, v5
	v_cndmask_b32_e64 v7, 0, v7, s[28:29]
	v_mov_b32_e32 v23, 0x70
	v_or_b32_e32 v18, 0x800000, v16
	v_cndmask_b32_e32 v7, v7, v23, vcc
	v_cndmask_b32_e32 v16, v18, v16, vcc
	v_add_u32_e32 v18, 21, v7
	v_lshlrev_b64 v[48:49], v18, -1
	v_add_u32_e32 v18, 20, v7
	v_bfi_b32 v48, v48, 0, v16
	v_lshlrev_b64 v[50:51], v18, 1
	v_lshrrev_b64 v[16:17], v7, v[16:17]
	v_bfi_b32 v49, v49, 0, 0
	v_cmp_eq_u64_e64 s[28:29], v[48:49], v[50:51]
	v_mov_b32_e32 v18, v17
	v_mov_b32_e32 v17, v16
	s_and_saveexec_b64 s[48:49], s[28:29]
; %bb.19513:                            ;   in Loop: Header=BB6_18303 Depth=3
	v_bfe_u32 v17, v16, 21, 1
	v_add_co_u32_e64 v17, s[28:29], v16, v17
	v_add_co_u32_e64 v17, s[28:29], -1, v17
; %bb.19514:                            ;   in Loop: Header=BB6_18303 Depth=3
	s_or_b64 exec, exec, s[48:49]
	v_add_u32_e32 v5, 0xffffff81, v5
	v_mov_b32_e32 v18, 0xffffff82
	v_cndmask_b32_e32 v5, v5, v18, vcc
	v_lshrrev_b32_e32 v18, 23, v16
	v_add3_u32 v18, v7, v5, v18
	v_add_u32_e32 v7, 14, v18
	v_and_b32_e32 v5, 0x1fffff, v17
	v_add_u32_e32 v16, v5, v16
	v_mov_b32_e32 v17, v33
	v_cmp_ne_u32_e32 vcc, 0, v7
                                        ; implicit-def: $vgpr5
	s_and_saveexec_b64 s[28:29], vcc
	s_xor_b64 s[28:29], exec, s[28:29]
; %bb.19515:                            ;   in Loop: Header=BB6_18303 Depth=3
	v_cmp_lt_u64_e32 vcc, s[88:89], v[16:17]
	v_add_u32_e32 v5, 15, v18
	v_cndmask_b32_e32 v5, v7, v5, vcc
	v_cndmask_b32_e64 v7, 0, 1, vcc
	v_lshrrev_b64 v[16:17], v7, v[16:17]
; %bb.19516:                            ;   in Loop: Header=BB6_18303 Depth=3
	s_andn2_saveexec_b64 s[28:29], s[28:29]
; %bb.19517:                            ;   in Loop: Header=BB6_18303 Depth=3
	v_bfe_u32 v5, v16, 23, 1
; %bb.19518:                            ;   in Loop: Header=BB6_18303 Depth=3
	s_or_b64 exec, exec, s[28:29]
	v_lshrrev_b64 v[16:17], 21, v[16:17]
	v_cmp_gt_i32_e32 vcc, 32, v5
	v_cndmask_b32_e32 v17, 0, v17, vcc
	v_cndmask_b32_e32 v16, 3, v16, vcc
	v_cmp_ne_u64_e32 vcc, 0, v[16:17]
	v_cmp_ne_u32_e64 s[28:29], 0, v5
	s_or_b64 s[28:29], s[28:29], vcc
                                        ; implicit-def: $vgpr49
	s_and_saveexec_b64 s[62:63], s[28:29]
	s_xor_b64 s[28:29], exec, s[62:63]
; %bb.19519:                            ;   in Loop: Header=BB6_18303 Depth=3
	v_min_i32_e32 v5, 31, v5
	v_lshl_or_b32 v2, v5, 2, v2
	v_and_or_b32 v49, v16, 3, v2
                                        ; implicit-def: $vgpr2
; %bb.19520:                            ;   in Loop: Header=BB6_18303 Depth=3
	s_andn2_saveexec_b64 s[28:29], s[28:29]
; %bb.19521:                            ;   in Loop: Header=BB6_18303 Depth=3
	v_mov_b32_e32 v49, v2
; %bb.19522:                            ;   in Loop: Header=BB6_18303 Depth=3
	s_or_b64 exec, exec, s[28:29]
.LBB6_19523:                            ;   in Loop: Header=BB6_18303 Depth=3
	s_or_b64 exec, exec, s[38:39]
                                        ; implicit-def: $vgpr2
.LBB6_19524:                            ;   in Loop: Header=BB6_18303 Depth=3
	s_andn2_saveexec_b64 s[28:29], s[36:37]
; %bb.19525:                            ;   in Loop: Header=BB6_18303 Depth=3
	v_or_b32_e32 v49, 0x7b, v2
; %bb.19526:                            ;   in Loop: Header=BB6_18303 Depth=3
	s_or_b64 exec, exec, s[28:29]
                                        ; implicit-def: $vgpr5
                                        ; implicit-def: $vgpr16_vgpr17
.LBB6_19527:                            ;   in Loop: Header=BB6_18303 Depth=3
	s_andn2_saveexec_b64 s[28:29], s[34:35]
	s_cbranch_execz .LBB6_19533
; %bb.19528:                            ;   in Loop: Header=BB6_18303 Depth=3
	v_cmp_ne_u64_e32 vcc, 0, v[16:17]
                                        ; implicit-def: $vgpr49
	s_and_saveexec_b64 s[62:63], vcc
	s_xor_b64 vcc, exec, s[62:63]
; %bb.19529:                            ;   in Loop: Header=BB6_18303 Depth=3
	v_or_b32_sdwa v49, v5, s44 dst_sel:DWORD dst_unused:UNUSED_PAD src0_sel:BYTE_3 src1_sel:DWORD
                                        ; implicit-def: $vgpr5
; %bb.19530:                            ;   in Loop: Header=BB6_18303 Depth=3
	s_andn2_saveexec_b64 s[34:35], vcc
; %bb.19531:                            ;   in Loop: Header=BB6_18303 Depth=3
	v_cmp_lt_i32_e32 vcc, -1, v5
	v_mov_b32_e32 v2, 0x7c
	v_cndmask_b32_e32 v49, -4, v2, vcc
; %bb.19532:                            ;   in Loop: Header=BB6_18303 Depth=3
	s_or_b64 exec, exec, s[34:35]
.LBB6_19533:                            ;   in Loop: Header=BB6_18303 Depth=3
	s_or_b64 exec, exec, s[28:29]
	buffer_load_dword v16, off, s[0:3], s33 offset:260 ; 4-byte Folded Reload
	buffer_load_dword v17, off, s[0:3], s33 offset:264 ; 4-byte Folded Reload
	v_mov_b32_e32 v2, 0
	v_mov_b32_e32 v5, 0
	s_waitcnt vmcnt(1)
	v_and_b32_e32 v16, 0xff, v16
	v_cmp_ne_u16_e32 vcc, 0, v16
	s_and_saveexec_b64 s[28:29], vcc
	s_cbranch_execz .LBB6_19541
; %bb.19534:                            ;   in Loop: Header=BB6_18303 Depth=3
	v_cmp_ne_u16_e32 vcc, s97, v16
	v_bfrev_b32_e32 v5, 1
	s_and_saveexec_b64 s[34:35], vcc
	s_cbranch_execz .LBB6_19540
; %bb.19535:                            ;   in Loop: Header=BB6_18303 Depth=3
	buffer_load_dword v17, off, s[0:3], s33 offset:260 ; 4-byte Folded Reload
	buffer_load_dword v18, off, s[0:3], s33 offset:264 ; 4-byte Folded Reload
	s_waitcnt vmcnt(1)
	v_mov_b32_e32 v5, v17
	v_and_b32_e32 v7, 3, v5
	v_and_b32_e32 v5, 0x7c, v5
	v_cmp_ne_u32_e32 vcc, s86, v5
                                        ; implicit-def: $vgpr5
	s_and_saveexec_b64 s[62:63], vcc
	s_xor_b64 s[36:37], exec, s[62:63]
	s_cbranch_execz .LBB6_19537
; %bb.19536:                            ;   in Loop: Header=BB6_18303 Depth=3
	buffer_load_dword v50, off, s[0:3], s33 offset:260 ; 4-byte Folded Reload
	buffer_load_dword v51, off, s[0:3], s33 offset:264 ; 4-byte Folded Reload
	v_bfe_u32 v5, v16, 2, 5
	v_ffbh_u32_e32 v16, v7
	s_waitcnt vmcnt(2)
	v_min_u32_e32 v18, 32, v16
	s_waitcnt vmcnt(0)
	v_mov_b32_e32 v51, v33
	v_subrev_u32_e32 v16, 29, v18
	v_cmp_eq_u32_e32 vcc, 0, v5
	v_lshlrev_b64 v[16:17], v16, v[50:51]
	v_sub_u32_e32 v17, 30, v18
	v_and_b32_e32 v16, 3, v16
	v_cndmask_b32_e32 v7, v7, v16, vcc
	v_lshlrev_b32_e32 v16, 24, v50
	v_cndmask_b32_e32 v5, v5, v17, vcc
	v_and_b32_e32 v16, 0x80000000, v16
	v_lshl_add_u32 v5, v5, 23, v16
	v_lshl_or_b32 v5, v7, 21, v5
	v_add_u32_e32 v5, 0x38000000, v5
                                        ; implicit-def: $vgpr16
                                        ; implicit-def: $vgpr7
	buffer_store_dword v16, off, s[0:3], s33 offset:260 ; 4-byte Folded Spill
	s_nop 0
	buffer_store_dword v17, off, s[0:3], s33 offset:264 ; 4-byte Folded Spill
.LBB6_19537:                            ;   in Loop: Header=BB6_18303 Depth=3
	s_andn2_saveexec_b64 s[36:37], s[36:37]
	s_cbranch_execz .LBB6_19539
; %bb.19538:                            ;   in Loop: Header=BB6_18303 Depth=3
	buffer_load_dword v16, off, s[0:3], s33 offset:260 ; 4-byte Folded Reload
	buffer_load_dword v17, off, s[0:3], s33 offset:264 ; 4-byte Folded Reload
	v_mov_b32_e32 v5, -1
	s_waitcnt vmcnt(1)
	v_cmp_gt_i16_sdwa vcc, sext(v16), v5 src0_sel:BYTE_0 src1_sel:DWORD
	v_mov_b32_e32 v5, 0xff800000
	v_mov_b32_e32 v16, 0x7f800000
	v_cndmask_b32_e32 v5, v5, v16, vcc
	v_cmp_eq_u32_e32 vcc, 0, v7
	v_mov_b32_e32 v7, 0x7f800001
	v_cndmask_b32_e32 v5, v7, v5, vcc
.LBB6_19539:                            ;   in Loop: Header=BB6_18303 Depth=3
	s_or_b64 exec, exec, s[36:37]
.LBB6_19540:                            ;   in Loop: Header=BB6_18303 Depth=3
	s_or_b64 exec, exec, s[34:35]
.LBB6_19541:                            ;   in Loop: Header=BB6_18303 Depth=3
	s_or_b64 exec, exec, s[28:29]
	v_cmp_ne_u16_e32 vcc, 0, v35
	s_and_saveexec_b64 s[28:29], vcc
	s_cbranch_execz .LBB6_19549
; %bb.19542:                            ;   in Loop: Header=BB6_18303 Depth=3
	v_cmp_ne_u16_e32 vcc, s46, v35
	v_bfrev_b32_e32 v2, 1
	s_and_saveexec_b64 s[34:35], vcc
	s_cbranch_execz .LBB6_19548
; %bb.19543:                            ;   in Loop: Header=BB6_18303 Depth=3
	v_and_b32_e32 v2, 0x7c, v35
	v_and_b32_e32 v7, 3, v35
	v_cmp_ne_u32_e32 vcc, s86, v2
                                        ; implicit-def: $vgpr2
	s_and_saveexec_b64 s[62:63], vcc
	s_xor_b64 s[36:37], exec, s[62:63]
	s_cbranch_execz .LBB6_19545
; %bb.19544:                            ;   in Loop: Header=BB6_18303 Depth=3
	v_ffbh_u32_e32 v16, v7
	s_waitcnt vmcnt(0)
	v_min_u32_e32 v18, 32, v16
	v_mov_b32_e32 v36, v33
	v_subrev_u32_e32 v16, 29, v18
	v_and_b32_e32 v2, 0xff, v35
	v_lshlrev_b64 v[16:17], v16, v[35:36]
	v_bfe_u32 v2, v2, 2, 5
	v_sub_u32_e32 v17, 30, v18
	v_and_b32_e32 v16, 3, v16
	v_cmp_eq_u32_e32 vcc, 0, v2
	v_cndmask_b32_e32 v2, v2, v17, vcc
	v_cndmask_b32_e32 v7, v7, v16, vcc
	v_and_b32_sdwa v16, sext(v35), s87 dst_sel:DWORD dst_unused:UNUSED_PAD src0_sel:WORD_0 src1_sel:DWORD
	v_lshl_add_u32 v2, v2, 23, v16
	v_lshl_or_b32 v2, v7, 21, v2
	v_add_u32_e32 v2, 0x38000000, v2
                                        ; implicit-def: $vgpr7
                                        ; implicit-def: $vgpr35
.LBB6_19545:                            ;   in Loop: Header=BB6_18303 Depth=3
	s_andn2_saveexec_b64 s[36:37], s[36:37]
; %bb.19546:                            ;   in Loop: Header=BB6_18303 Depth=3
	v_cmp_lt_i16_e32 vcc, -1, v35
	v_mov_b32_e32 v2, 0xff800000
	v_mov_b32_e32 v16, 0x7f800000
	v_cndmask_b32_e32 v2, v2, v16, vcc
	v_cmp_eq_u32_e32 vcc, 0, v7
	v_mov_b32_e32 v7, 0x7f800001
	v_cndmask_b32_e32 v2, v7, v2, vcc
; %bb.19547:                            ;   in Loop: Header=BB6_18303 Depth=3
	s_or_b64 exec, exec, s[36:37]
.LBB6_19548:                            ;   in Loop: Header=BB6_18303 Depth=3
	s_or_b64 exec, exec, s[34:35]
.LBB6_19549:                            ;   in Loop: Header=BB6_18303 Depth=3
	s_or_b64 exec, exec, s[28:29]
	v_add_f32_e32 v5, v5, v2
	s_waitcnt vmcnt(0)
	v_and_b32_e32 v17, 0x7f800000, v5
	v_mov_b32_e32 v18, v33
	v_cmp_ne_u64_e32 vcc, s[76:77], v[17:18]
	v_and_b32_e32 v16, 0x7fffff, v5
	v_mov_b32_e32 v17, v33
                                        ; implicit-def: $vgpr35
	s_and_saveexec_b64 s[28:29], vcc
	s_xor_b64 s[34:35], exec, s[28:29]
	s_cbranch_execz .LBB6_19567
; %bb.19550:                            ;   in Loop: Header=BB6_18303 Depth=3
	v_and_b32_e32 v35, 0x7fffffff, v5
	v_mov_b32_e32 v36, v33
	v_cmp_gt_u64_e32 vcc, s[78:79], v[35:36]
	v_and_b32_sdwa v2, v5, s97 dst_sel:DWORD dst_unused:UNUSED_PAD src0_sel:BYTE_3 src1_sel:DWORD
                                        ; implicit-def: $vgpr35
	s_and_saveexec_b64 s[28:29], vcc
	s_xor_b64 s[36:37], exec, s[28:29]
	s_cbranch_execz .LBB6_19564
; %bb.19551:                            ;   in Loop: Header=BB6_18303 Depth=3
	v_cmp_ne_u32_e32 vcc, 0, v5
	v_mov_b32_e32 v35, 0
	s_and_saveexec_b64 s[38:39], vcc
	s_cbranch_execz .LBB6_19563
; %bb.19552:                            ;   in Loop: Header=BB6_18303 Depth=3
	v_bfe_u32 v5, v5, 23, 8
	v_cmp_gt_u32_e64 s[28:29], s47, v5
	v_sub_u32_e32 v7, 0x71, v5
	v_cmp_eq_u32_e32 vcc, 0, v5
	v_cndmask_b32_e64 v7, 0, v7, s[28:29]
	v_mov_b32_e32 v23, 0x70
	v_or_b32_e32 v18, 0x800000, v16
	v_cndmask_b32_e32 v7, v7, v23, vcc
	v_cndmask_b32_e32 v16, v18, v16, vcc
	v_add_u32_e32 v18, 21, v7
	v_lshlrev_b64 v[35:36], v18, -1
	v_add_u32_e32 v18, 20, v7
	v_bfi_b32 v35, v35, 0, v16
	v_lshlrev_b64 v[50:51], v18, 1
	v_lshrrev_b64 v[16:17], v7, v[16:17]
	v_bfi_b32 v36, v36, 0, 0
	v_cmp_eq_u64_e64 s[28:29], v[35:36], v[50:51]
	v_mov_b32_e32 v18, v17
	v_mov_b32_e32 v17, v16
	s_and_saveexec_b64 s[48:49], s[28:29]
; %bb.19553:                            ;   in Loop: Header=BB6_18303 Depth=3
	v_bfe_u32 v17, v16, 21, 1
	v_add_co_u32_e64 v17, s[28:29], v16, v17
	v_add_co_u32_e64 v17, s[28:29], -1, v17
; %bb.19554:                            ;   in Loop: Header=BB6_18303 Depth=3
	s_or_b64 exec, exec, s[48:49]
	v_add_u32_e32 v5, 0xffffff81, v5
	v_mov_b32_e32 v18, 0xffffff82
	v_cndmask_b32_e32 v5, v5, v18, vcc
	v_lshrrev_b32_e32 v18, 23, v16
	v_add3_u32 v18, v7, v5, v18
	v_add_u32_e32 v7, 14, v18
	v_and_b32_e32 v5, 0x1fffff, v17
	v_add_u32_e32 v16, v5, v16
	v_mov_b32_e32 v17, v33
	v_cmp_ne_u32_e32 vcc, 0, v7
                                        ; implicit-def: $vgpr5
	s_and_saveexec_b64 s[28:29], vcc
	s_xor_b64 s[28:29], exec, s[28:29]
; %bb.19555:                            ;   in Loop: Header=BB6_18303 Depth=3
	v_cmp_lt_u64_e32 vcc, s[88:89], v[16:17]
	v_add_u32_e32 v5, 15, v18
	v_cndmask_b32_e32 v5, v7, v5, vcc
	v_cndmask_b32_e64 v7, 0, 1, vcc
	v_lshrrev_b64 v[16:17], v7, v[16:17]
; %bb.19556:                            ;   in Loop: Header=BB6_18303 Depth=3
	s_andn2_saveexec_b64 s[28:29], s[28:29]
; %bb.19557:                            ;   in Loop: Header=BB6_18303 Depth=3
	v_bfe_u32 v5, v16, 23, 1
; %bb.19558:                            ;   in Loop: Header=BB6_18303 Depth=3
	s_or_b64 exec, exec, s[28:29]
	v_lshrrev_b64 v[16:17], 21, v[16:17]
	v_cmp_gt_i32_e32 vcc, 32, v5
	v_cndmask_b32_e32 v17, 0, v17, vcc
	v_cndmask_b32_e32 v16, 3, v16, vcc
	v_cmp_ne_u64_e32 vcc, 0, v[16:17]
	v_cmp_ne_u32_e64 s[28:29], 0, v5
	s_or_b64 s[28:29], s[28:29], vcc
                                        ; implicit-def: $vgpr35
	s_and_saveexec_b64 s[62:63], s[28:29]
	s_xor_b64 s[28:29], exec, s[62:63]
; %bb.19559:                            ;   in Loop: Header=BB6_18303 Depth=3
	v_min_i32_e32 v5, 31, v5
	v_lshl_or_b32 v2, v5, 2, v2
	v_and_or_b32 v35, v16, 3, v2
                                        ; implicit-def: $vgpr2
; %bb.19560:                            ;   in Loop: Header=BB6_18303 Depth=3
	s_andn2_saveexec_b64 s[28:29], s[28:29]
; %bb.19561:                            ;   in Loop: Header=BB6_18303 Depth=3
	v_mov_b32_e32 v35, v2
; %bb.19562:                            ;   in Loop: Header=BB6_18303 Depth=3
	s_or_b64 exec, exec, s[28:29]
.LBB6_19563:                            ;   in Loop: Header=BB6_18303 Depth=3
	s_or_b64 exec, exec, s[38:39]
                                        ; implicit-def: $vgpr2
.LBB6_19564:                            ;   in Loop: Header=BB6_18303 Depth=3
	s_andn2_saveexec_b64 s[28:29], s[36:37]
; %bb.19565:                            ;   in Loop: Header=BB6_18303 Depth=3
	v_or_b32_e32 v35, 0x7b, v2
; %bb.19566:                            ;   in Loop: Header=BB6_18303 Depth=3
	s_or_b64 exec, exec, s[28:29]
                                        ; implicit-def: $vgpr5
                                        ; implicit-def: $vgpr16_vgpr17
.LBB6_19567:                            ;   in Loop: Header=BB6_18303 Depth=3
	s_andn2_saveexec_b64 s[28:29], s[34:35]
	s_cbranch_execz .LBB6_19573
; %bb.19568:                            ;   in Loop: Header=BB6_18303 Depth=3
	v_cmp_ne_u64_e32 vcc, 0, v[16:17]
                                        ; implicit-def: $vgpr35
	s_and_saveexec_b64 s[62:63], vcc
	s_xor_b64 vcc, exec, s[62:63]
; %bb.19569:                            ;   in Loop: Header=BB6_18303 Depth=3
	v_or_b32_sdwa v35, v5, s44 dst_sel:DWORD dst_unused:UNUSED_PAD src0_sel:BYTE_3 src1_sel:DWORD
                                        ; implicit-def: $vgpr5
; %bb.19570:                            ;   in Loop: Header=BB6_18303 Depth=3
	s_andn2_saveexec_b64 s[34:35], vcc
; %bb.19571:                            ;   in Loop: Header=BB6_18303 Depth=3
	v_cmp_lt_i32_e32 vcc, -1, v5
	v_mov_b32_e32 v2, 0x7c
	v_cndmask_b32_e32 v35, -4, v2, vcc
; %bb.19572:                            ;   in Loop: Header=BB6_18303 Depth=3
	s_or_b64 exec, exec, s[34:35]
.LBB6_19573:                            ;   in Loop: Header=BB6_18303 Depth=3
	s_or_b64 exec, exec, s[28:29]
	v_and_b32_e32 v16, 0xff, v39
	v_cmp_ne_u16_e32 vcc, 0, v16
	v_mov_b32_e32 v2, 0
	v_mov_b32_e32 v5, 0
	s_and_saveexec_b64 s[28:29], vcc
	s_cbranch_execz .LBB6_19581
; %bb.19574:                            ;   in Loop: Header=BB6_18303 Depth=3
	v_cmp_ne_u16_e32 vcc, s97, v16
	v_bfrev_b32_e32 v5, 1
	s_and_saveexec_b64 s[34:35], vcc
	s_cbranch_execz .LBB6_19580
; %bb.19575:                            ;   in Loop: Header=BB6_18303 Depth=3
	v_mov_b32_e32 v5, v39
	v_and_b32_e32 v7, 3, v5
	v_and_b32_e32 v5, 0x7c, v5
	v_cmp_ne_u32_e32 vcc, s86, v5
                                        ; implicit-def: $vgpr5
	s_and_saveexec_b64 s[62:63], vcc
	s_xor_b64 s[36:37], exec, s[62:63]
	s_cbranch_execz .LBB6_19577
; %bb.19576:                            ;   in Loop: Header=BB6_18303 Depth=3
	v_bfe_u32 v5, v16, 2, 5
	v_ffbh_u32_e32 v16, v7
	v_min_u32_e32 v18, 32, v16
	v_mov_b32_e32 v50, v39
	v_mov_b32_e32 v51, v33
	v_subrev_u32_e32 v16, 29, v18
	v_lshlrev_b64 v[16:17], v16, v[50:51]
	v_cmp_eq_u32_e32 vcc, 0, v5
	v_and_b32_e32 v16, 3, v16
	v_sub_u32_e32 v17, 30, v18
	v_cndmask_b32_e32 v7, v7, v16, vcc
	v_lshlrev_b32_e32 v16, 24, v50
	v_cndmask_b32_e32 v5, v5, v17, vcc
	v_and_b32_e32 v16, 0x80000000, v16
	v_lshl_add_u32 v5, v5, 23, v16
	v_lshl_or_b32 v5, v7, 21, v5
	v_add_u32_e32 v5, 0x38000000, v5
                                        ; implicit-def: $vgpr7
                                        ; implicit-def: $vgpr39
.LBB6_19577:                            ;   in Loop: Header=BB6_18303 Depth=3
	s_andn2_saveexec_b64 s[36:37], s[36:37]
; %bb.19578:                            ;   in Loop: Header=BB6_18303 Depth=3
	v_mov_b32_e32 v5, -1
	v_cmp_gt_i16_sdwa vcc, sext(v39), v5 src0_sel:BYTE_0 src1_sel:DWORD
	v_mov_b32_e32 v5, 0xff800000
	v_mov_b32_e32 v16, 0x7f800000
	v_cndmask_b32_e32 v5, v5, v16, vcc
	v_cmp_eq_u32_e32 vcc, 0, v7
	v_mov_b32_e32 v7, 0x7f800001
	v_cndmask_b32_e32 v5, v7, v5, vcc
; %bb.19579:                            ;   in Loop: Header=BB6_18303 Depth=3
	s_or_b64 exec, exec, s[36:37]
.LBB6_19580:                            ;   in Loop: Header=BB6_18303 Depth=3
	s_or_b64 exec, exec, s[34:35]
.LBB6_19581:                            ;   in Loop: Header=BB6_18303 Depth=3
	s_or_b64 exec, exec, s[28:29]
	v_cmp_ne_u16_e32 vcc, 0, v38
	s_and_saveexec_b64 s[28:29], vcc
	s_cbranch_execz .LBB6_19589
; %bb.19582:                            ;   in Loop: Header=BB6_18303 Depth=3
	v_cmp_ne_u16_e32 vcc, s46, v38
	v_bfrev_b32_e32 v2, 1
	s_and_saveexec_b64 s[34:35], vcc
	s_cbranch_execz .LBB6_19588
; %bb.19583:                            ;   in Loop: Header=BB6_18303 Depth=3
	v_and_b32_e32 v2, 0x7c, v38
	v_and_b32_e32 v7, 3, v38
	v_cmp_ne_u32_e32 vcc, s86, v2
                                        ; implicit-def: $vgpr2
	s_and_saveexec_b64 s[62:63], vcc
	s_xor_b64 s[36:37], exec, s[62:63]
	s_cbranch_execz .LBB6_19585
; %bb.19584:                            ;   in Loop: Header=BB6_18303 Depth=3
	v_ffbh_u32_e32 v16, v7
	v_min_u32_e32 v18, 32, v16
	v_mov_b32_e32 v39, v33
	v_subrev_u32_e32 v16, 29, v18
	v_and_b32_e32 v2, 0xff, v38
	v_lshlrev_b64 v[16:17], v16, v[38:39]
	v_bfe_u32 v2, v2, 2, 5
	v_sub_u32_e32 v17, 30, v18
	v_and_b32_e32 v16, 3, v16
	v_cmp_eq_u32_e32 vcc, 0, v2
	v_cndmask_b32_e32 v2, v2, v17, vcc
	v_cndmask_b32_e32 v7, v7, v16, vcc
	v_and_b32_sdwa v16, sext(v38), s87 dst_sel:DWORD dst_unused:UNUSED_PAD src0_sel:WORD_0 src1_sel:DWORD
	v_lshl_add_u32 v2, v2, 23, v16
	v_lshl_or_b32 v2, v7, 21, v2
	v_add_u32_e32 v2, 0x38000000, v2
                                        ; implicit-def: $vgpr7
                                        ; implicit-def: $vgpr38
.LBB6_19585:                            ;   in Loop: Header=BB6_18303 Depth=3
	s_andn2_saveexec_b64 s[36:37], s[36:37]
; %bb.19586:                            ;   in Loop: Header=BB6_18303 Depth=3
	v_cmp_lt_i16_e32 vcc, -1, v38
	v_mov_b32_e32 v2, 0xff800000
	v_mov_b32_e32 v16, 0x7f800000
	v_cndmask_b32_e32 v2, v2, v16, vcc
	v_cmp_eq_u32_e32 vcc, 0, v7
	v_mov_b32_e32 v7, 0x7f800001
	v_cndmask_b32_e32 v2, v7, v2, vcc
; %bb.19587:                            ;   in Loop: Header=BB6_18303 Depth=3
	s_or_b64 exec, exec, s[36:37]
.LBB6_19588:                            ;   in Loop: Header=BB6_18303 Depth=3
	s_or_b64 exec, exec, s[34:35]
.LBB6_19589:                            ;   in Loop: Header=BB6_18303 Depth=3
	s_or_b64 exec, exec, s[28:29]
	v_add_f32_e32 v5, v5, v2
	v_and_b32_e32 v17, 0x7f800000, v5
	v_mov_b32_e32 v18, v33
	v_cmp_ne_u64_e32 vcc, s[76:77], v[17:18]
	v_and_b32_e32 v16, 0x7fffff, v5
	v_mov_b32_e32 v17, v33
                                        ; implicit-def: $vgpr36
	s_and_saveexec_b64 s[28:29], vcc
	s_xor_b64 s[34:35], exec, s[28:29]
	s_cbranch_execz .LBB6_19607
; %bb.19590:                            ;   in Loop: Header=BB6_18303 Depth=3
	v_and_b32_e32 v38, 0x7fffffff, v5
	v_mov_b32_e32 v39, v33
	v_cmp_gt_u64_e32 vcc, s[78:79], v[38:39]
	v_and_b32_sdwa v2, v5, s97 dst_sel:DWORD dst_unused:UNUSED_PAD src0_sel:BYTE_3 src1_sel:DWORD
                                        ; implicit-def: $vgpr36
	s_and_saveexec_b64 s[28:29], vcc
	s_xor_b64 s[36:37], exec, s[28:29]
	s_cbranch_execz .LBB6_19604
; %bb.19591:                            ;   in Loop: Header=BB6_18303 Depth=3
	v_cmp_ne_u32_e32 vcc, 0, v5
	v_mov_b32_e32 v36, 0
	s_and_saveexec_b64 s[38:39], vcc
	s_cbranch_execz .LBB6_19603
; %bb.19592:                            ;   in Loop: Header=BB6_18303 Depth=3
	v_bfe_u32 v5, v5, 23, 8
	v_cmp_gt_u32_e64 s[28:29], s47, v5
	v_sub_u32_e32 v7, 0x71, v5
	v_cmp_eq_u32_e32 vcc, 0, v5
	v_cndmask_b32_e64 v7, 0, v7, s[28:29]
	v_mov_b32_e32 v23, 0x70
	v_or_b32_e32 v18, 0x800000, v16
	v_cndmask_b32_e32 v7, v7, v23, vcc
	v_cndmask_b32_e32 v16, v18, v16, vcc
	v_add_u32_e32 v18, 21, v7
	v_lshlrev_b64 v[38:39], v18, -1
	v_add_u32_e32 v18, 20, v7
	v_bfi_b32 v38, v38, 0, v16
	v_lshlrev_b64 v[50:51], v18, 1
	v_lshrrev_b64 v[16:17], v7, v[16:17]
	v_bfi_b32 v39, v39, 0, 0
	v_cmp_eq_u64_e64 s[28:29], v[38:39], v[50:51]
	v_mov_b32_e32 v18, v17
	v_mov_b32_e32 v17, v16
	s_and_saveexec_b64 s[48:49], s[28:29]
; %bb.19593:                            ;   in Loop: Header=BB6_18303 Depth=3
	v_bfe_u32 v17, v16, 21, 1
	v_add_co_u32_e64 v17, s[28:29], v16, v17
	v_add_co_u32_e64 v17, s[28:29], -1, v17
; %bb.19594:                            ;   in Loop: Header=BB6_18303 Depth=3
	s_or_b64 exec, exec, s[48:49]
	v_add_u32_e32 v5, 0xffffff81, v5
	v_mov_b32_e32 v18, 0xffffff82
	v_cndmask_b32_e32 v5, v5, v18, vcc
	v_lshrrev_b32_e32 v18, 23, v16
	v_add3_u32 v18, v7, v5, v18
	v_add_u32_e32 v7, 14, v18
	v_and_b32_e32 v5, 0x1fffff, v17
	v_add_u32_e32 v16, v5, v16
	v_mov_b32_e32 v17, v33
	v_cmp_ne_u32_e32 vcc, 0, v7
                                        ; implicit-def: $vgpr5
	s_and_saveexec_b64 s[28:29], vcc
	s_xor_b64 s[28:29], exec, s[28:29]
; %bb.19595:                            ;   in Loop: Header=BB6_18303 Depth=3
	v_cmp_lt_u64_e32 vcc, s[88:89], v[16:17]
	v_add_u32_e32 v5, 15, v18
	v_cndmask_b32_e32 v5, v7, v5, vcc
	v_cndmask_b32_e64 v7, 0, 1, vcc
	v_lshrrev_b64 v[16:17], v7, v[16:17]
; %bb.19596:                            ;   in Loop: Header=BB6_18303 Depth=3
	s_andn2_saveexec_b64 s[28:29], s[28:29]
; %bb.19597:                            ;   in Loop: Header=BB6_18303 Depth=3
	v_bfe_u32 v5, v16, 23, 1
; %bb.19598:                            ;   in Loop: Header=BB6_18303 Depth=3
	s_or_b64 exec, exec, s[28:29]
	v_lshrrev_b64 v[16:17], 21, v[16:17]
	v_cmp_gt_i32_e32 vcc, 32, v5
	v_cndmask_b32_e32 v17, 0, v17, vcc
	v_cndmask_b32_e32 v16, 3, v16, vcc
	v_cmp_ne_u64_e32 vcc, 0, v[16:17]
	v_cmp_ne_u32_e64 s[28:29], 0, v5
	s_or_b64 s[28:29], s[28:29], vcc
                                        ; implicit-def: $vgpr36
	s_and_saveexec_b64 s[62:63], s[28:29]
	s_xor_b64 s[28:29], exec, s[62:63]
; %bb.19599:                            ;   in Loop: Header=BB6_18303 Depth=3
	v_min_i32_e32 v5, 31, v5
	v_lshl_or_b32 v2, v5, 2, v2
	v_and_or_b32 v36, v16, 3, v2
                                        ; implicit-def: $vgpr2
; %bb.19600:                            ;   in Loop: Header=BB6_18303 Depth=3
	s_andn2_saveexec_b64 s[28:29], s[28:29]
; %bb.19601:                            ;   in Loop: Header=BB6_18303 Depth=3
	v_mov_b32_e32 v36, v2
; %bb.19602:                            ;   in Loop: Header=BB6_18303 Depth=3
	s_or_b64 exec, exec, s[28:29]
.LBB6_19603:                            ;   in Loop: Header=BB6_18303 Depth=3
	s_or_b64 exec, exec, s[38:39]
                                        ; implicit-def: $vgpr2
.LBB6_19604:                            ;   in Loop: Header=BB6_18303 Depth=3
	s_andn2_saveexec_b64 s[28:29], s[36:37]
; %bb.19605:                            ;   in Loop: Header=BB6_18303 Depth=3
	v_or_b32_e32 v36, 0x7b, v2
; %bb.19606:                            ;   in Loop: Header=BB6_18303 Depth=3
	s_or_b64 exec, exec, s[28:29]
                                        ; implicit-def: $vgpr5
                                        ; implicit-def: $vgpr16_vgpr17
.LBB6_19607:                            ;   in Loop: Header=BB6_18303 Depth=3
	s_andn2_saveexec_b64 s[28:29], s[34:35]
	s_cbranch_execz .LBB6_19613
; %bb.19608:                            ;   in Loop: Header=BB6_18303 Depth=3
	v_cmp_ne_u64_e32 vcc, 0, v[16:17]
                                        ; implicit-def: $vgpr36
	s_and_saveexec_b64 s[62:63], vcc
	s_xor_b64 vcc, exec, s[62:63]
; %bb.19609:                            ;   in Loop: Header=BB6_18303 Depth=3
	v_or_b32_sdwa v36, v5, s44 dst_sel:DWORD dst_unused:UNUSED_PAD src0_sel:BYTE_3 src1_sel:DWORD
                                        ; implicit-def: $vgpr5
; %bb.19610:                            ;   in Loop: Header=BB6_18303 Depth=3
	s_andn2_saveexec_b64 s[34:35], vcc
; %bb.19611:                            ;   in Loop: Header=BB6_18303 Depth=3
	v_cmp_lt_i32_e32 vcc, -1, v5
	v_mov_b32_e32 v2, 0x7c
	v_cndmask_b32_e32 v36, -4, v2, vcc
; %bb.19612:                            ;   in Loop: Header=BB6_18303 Depth=3
	s_or_b64 exec, exec, s[34:35]
.LBB6_19613:                            ;   in Loop: Header=BB6_18303 Depth=3
	s_or_b64 exec, exec, s[28:29]
	buffer_load_dword v16, off, s[0:3], s33 offset:252 ; 4-byte Folded Reload
	buffer_load_dword v17, off, s[0:3], s33 offset:256 ; 4-byte Folded Reload
	v_mov_b32_e32 v2, 0
	v_mov_b32_e32 v5, 0
	s_waitcnt vmcnt(1)
	v_and_b32_e32 v16, 0xff, v16
	v_cmp_ne_u16_e32 vcc, 0, v16
	s_and_saveexec_b64 s[28:29], vcc
	s_cbranch_execz .LBB6_19621
; %bb.19614:                            ;   in Loop: Header=BB6_18303 Depth=3
	v_cmp_ne_u16_e32 vcc, s97, v16
	v_bfrev_b32_e32 v5, 1
	s_and_saveexec_b64 s[34:35], vcc
	s_cbranch_execz .LBB6_19620
; %bb.19615:                            ;   in Loop: Header=BB6_18303 Depth=3
	buffer_load_dword v17, off, s[0:3], s33 offset:252 ; 4-byte Folded Reload
	buffer_load_dword v18, off, s[0:3], s33 offset:256 ; 4-byte Folded Reload
	s_waitcnt vmcnt(1)
	v_mov_b32_e32 v5, v17
	v_and_b32_e32 v7, 3, v5
	v_and_b32_e32 v5, 0x7c, v5
	v_cmp_ne_u32_e32 vcc, s86, v5
                                        ; implicit-def: $vgpr5
	s_and_saveexec_b64 s[62:63], vcc
	s_xor_b64 s[36:37], exec, s[62:63]
	s_cbranch_execz .LBB6_19617
; %bb.19616:                            ;   in Loop: Header=BB6_18303 Depth=3
	buffer_load_dword v38, off, s[0:3], s33 offset:252 ; 4-byte Folded Reload
	buffer_load_dword v39, off, s[0:3], s33 offset:256 ; 4-byte Folded Reload
	v_bfe_u32 v5, v16, 2, 5
	v_ffbh_u32_e32 v16, v7
	s_waitcnt vmcnt(2)
	v_min_u32_e32 v18, 32, v16
	s_waitcnt vmcnt(0)
	v_mov_b32_e32 v39, v33
	v_subrev_u32_e32 v16, 29, v18
	v_cmp_eq_u32_e32 vcc, 0, v5
	v_lshlrev_b64 v[16:17], v16, v[38:39]
	v_sub_u32_e32 v17, 30, v18
	v_and_b32_e32 v16, 3, v16
	v_cndmask_b32_e32 v7, v7, v16, vcc
	v_lshlrev_b32_e32 v16, 24, v38
	v_cndmask_b32_e32 v5, v5, v17, vcc
	v_and_b32_e32 v16, 0x80000000, v16
	v_lshl_add_u32 v5, v5, 23, v16
	v_lshl_or_b32 v5, v7, 21, v5
	v_add_u32_e32 v5, 0x38000000, v5
                                        ; implicit-def: $vgpr16
                                        ; implicit-def: $vgpr7
	buffer_store_dword v16, off, s[0:3], s33 offset:252 ; 4-byte Folded Spill
	s_nop 0
	buffer_store_dword v17, off, s[0:3], s33 offset:256 ; 4-byte Folded Spill
.LBB6_19617:                            ;   in Loop: Header=BB6_18303 Depth=3
	s_andn2_saveexec_b64 s[36:37], s[36:37]
	s_cbranch_execz .LBB6_19619
; %bb.19618:                            ;   in Loop: Header=BB6_18303 Depth=3
	buffer_load_dword v16, off, s[0:3], s33 offset:252 ; 4-byte Folded Reload
	buffer_load_dword v17, off, s[0:3], s33 offset:256 ; 4-byte Folded Reload
	v_mov_b32_e32 v5, -1
	s_waitcnt vmcnt(1)
	v_cmp_gt_i16_sdwa vcc, sext(v16), v5 src0_sel:BYTE_0 src1_sel:DWORD
	v_mov_b32_e32 v5, 0xff800000
	v_mov_b32_e32 v16, 0x7f800000
	v_cndmask_b32_e32 v5, v5, v16, vcc
	v_cmp_eq_u32_e32 vcc, 0, v7
	v_mov_b32_e32 v7, 0x7f800001
	v_cndmask_b32_e32 v5, v7, v5, vcc
.LBB6_19619:                            ;   in Loop: Header=BB6_18303 Depth=3
	s_or_b64 exec, exec, s[36:37]
.LBB6_19620:                            ;   in Loop: Header=BB6_18303 Depth=3
	s_or_b64 exec, exec, s[34:35]
.LBB6_19621:                            ;   in Loop: Header=BB6_18303 Depth=3
	s_or_b64 exec, exec, s[28:29]
	v_cmp_ne_u16_e32 vcc, 0, v52
	s_and_saveexec_b64 s[28:29], vcc
	s_cbranch_execz .LBB6_19629
; %bb.19622:                            ;   in Loop: Header=BB6_18303 Depth=3
	v_cmp_ne_u16_e32 vcc, s46, v52
	v_bfrev_b32_e32 v2, 1
	s_and_saveexec_b64 s[34:35], vcc
	s_cbranch_execz .LBB6_19628
; %bb.19623:                            ;   in Loop: Header=BB6_18303 Depth=3
	v_and_b32_e32 v2, 0x7c, v52
	v_and_b32_e32 v7, 3, v52
	v_cmp_ne_u32_e32 vcc, s86, v2
                                        ; implicit-def: $vgpr2
	s_and_saveexec_b64 s[62:63], vcc
	s_xor_b64 s[36:37], exec, s[62:63]
	s_cbranch_execz .LBB6_19625
; %bb.19624:                            ;   in Loop: Header=BB6_18303 Depth=3
	v_ffbh_u32_e32 v16, v7
	s_waitcnt vmcnt(0)
	v_min_u32_e32 v18, 32, v16
	v_mov_b32_e32 v53, v33
	v_subrev_u32_e32 v16, 29, v18
	v_and_b32_e32 v2, 0xff, v52
	v_lshlrev_b64 v[16:17], v16, v[52:53]
	v_bfe_u32 v2, v2, 2, 5
	v_sub_u32_e32 v17, 30, v18
	v_and_b32_e32 v16, 3, v16
	v_cmp_eq_u32_e32 vcc, 0, v2
	v_cndmask_b32_e32 v2, v2, v17, vcc
	v_cndmask_b32_e32 v7, v7, v16, vcc
	v_and_b32_sdwa v16, sext(v52), s87 dst_sel:DWORD dst_unused:UNUSED_PAD src0_sel:WORD_0 src1_sel:DWORD
	v_lshl_add_u32 v2, v2, 23, v16
	v_lshl_or_b32 v2, v7, 21, v2
	v_add_u32_e32 v2, 0x38000000, v2
                                        ; implicit-def: $vgpr7
                                        ; implicit-def: $vgpr52
.LBB6_19625:                            ;   in Loop: Header=BB6_18303 Depth=3
	s_andn2_saveexec_b64 s[36:37], s[36:37]
; %bb.19626:                            ;   in Loop: Header=BB6_18303 Depth=3
	v_cmp_lt_i16_e32 vcc, -1, v52
	v_mov_b32_e32 v2, 0xff800000
	v_mov_b32_e32 v16, 0x7f800000
	v_cndmask_b32_e32 v2, v2, v16, vcc
	v_cmp_eq_u32_e32 vcc, 0, v7
	v_mov_b32_e32 v7, 0x7f800001
	v_cndmask_b32_e32 v2, v7, v2, vcc
; %bb.19627:                            ;   in Loop: Header=BB6_18303 Depth=3
	s_or_b64 exec, exec, s[36:37]
.LBB6_19628:                            ;   in Loop: Header=BB6_18303 Depth=3
	s_or_b64 exec, exec, s[34:35]
.LBB6_19629:                            ;   in Loop: Header=BB6_18303 Depth=3
	s_or_b64 exec, exec, s[28:29]
	v_add_f32_e32 v5, v5, v2
	s_waitcnt vmcnt(0)
	v_and_b32_e32 v17, 0x7f800000, v5
	v_mov_b32_e32 v18, v33
	v_cmp_ne_u64_e32 vcc, s[76:77], v[17:18]
	v_and_b32_e32 v16, 0x7fffff, v5
	v_mov_b32_e32 v17, v33
                                        ; implicit-def: $vgpr18
	s_and_saveexec_b64 s[28:29], vcc
	s_xor_b64 s[34:35], exec, s[28:29]
	s_cbranch_execz .LBB6_19647
; %bb.19630:                            ;   in Loop: Header=BB6_18303 Depth=3
	v_and_b32_e32 v38, 0x7fffffff, v5
	v_mov_b32_e32 v39, v33
	v_cmp_gt_u64_e32 vcc, s[78:79], v[38:39]
	v_and_b32_sdwa v2, v5, s97 dst_sel:DWORD dst_unused:UNUSED_PAD src0_sel:BYTE_3 src1_sel:DWORD
                                        ; implicit-def: $vgpr18
	s_and_saveexec_b64 s[28:29], vcc
	s_xor_b64 s[36:37], exec, s[28:29]
	s_cbranch_execz .LBB6_19644
; %bb.19631:                            ;   in Loop: Header=BB6_18303 Depth=3
	v_cmp_ne_u32_e32 vcc, 0, v5
	v_mov_b32_e32 v18, 0
	s_and_saveexec_b64 s[38:39], vcc
	s_cbranch_execz .LBB6_19643
; %bb.19632:                            ;   in Loop: Header=BB6_18303 Depth=3
	v_bfe_u32 v5, v5, 23, 8
	v_cmp_gt_u32_e64 s[28:29], s47, v5
	v_sub_u32_e32 v7, 0x71, v5
	v_cmp_eq_u32_e32 vcc, 0, v5
	v_cndmask_b32_e64 v7, 0, v7, s[28:29]
	v_mov_b32_e32 v23, 0x70
	v_or_b32_e32 v18, 0x800000, v16
	v_cndmask_b32_e32 v7, v7, v23, vcc
	v_cndmask_b32_e32 v16, v18, v16, vcc
	v_add_u32_e32 v18, 21, v7
	v_lshlrev_b64 v[38:39], v18, -1
	v_add_u32_e32 v18, 20, v7
	v_bfi_b32 v38, v38, 0, v16
	v_lshlrev_b64 v[50:51], v18, 1
	v_lshrrev_b64 v[16:17], v7, v[16:17]
	v_bfi_b32 v39, v39, 0, 0
	v_cmp_eq_u64_e64 s[28:29], v[38:39], v[50:51]
	v_mov_b32_e32 v18, v17
	v_mov_b32_e32 v17, v16
	s_and_saveexec_b64 s[48:49], s[28:29]
; %bb.19633:                            ;   in Loop: Header=BB6_18303 Depth=3
	v_bfe_u32 v17, v16, 21, 1
	v_add_co_u32_e64 v17, s[28:29], v16, v17
	v_add_co_u32_e64 v17, s[28:29], -1, v17
; %bb.19634:                            ;   in Loop: Header=BB6_18303 Depth=3
	s_or_b64 exec, exec, s[48:49]
	v_add_u32_e32 v5, 0xffffff81, v5
	v_mov_b32_e32 v18, 0xffffff82
	v_cndmask_b32_e32 v5, v5, v18, vcc
	v_lshrrev_b32_e32 v18, 23, v16
	v_add3_u32 v18, v7, v5, v18
	v_add_u32_e32 v7, 14, v18
	v_and_b32_e32 v5, 0x1fffff, v17
	v_add_u32_e32 v16, v5, v16
	v_mov_b32_e32 v17, v33
	v_cmp_ne_u32_e32 vcc, 0, v7
                                        ; implicit-def: $vgpr5
	s_and_saveexec_b64 s[28:29], vcc
	s_xor_b64 s[28:29], exec, s[28:29]
; %bb.19635:                            ;   in Loop: Header=BB6_18303 Depth=3
	v_cmp_lt_u64_e32 vcc, s[88:89], v[16:17]
	v_add_u32_e32 v5, 15, v18
	v_cndmask_b32_e32 v5, v7, v5, vcc
	v_cndmask_b32_e64 v7, 0, 1, vcc
	v_lshrrev_b64 v[16:17], v7, v[16:17]
; %bb.19636:                            ;   in Loop: Header=BB6_18303 Depth=3
	s_andn2_saveexec_b64 s[28:29], s[28:29]
; %bb.19637:                            ;   in Loop: Header=BB6_18303 Depth=3
	v_bfe_u32 v5, v16, 23, 1
; %bb.19638:                            ;   in Loop: Header=BB6_18303 Depth=3
	s_or_b64 exec, exec, s[28:29]
	v_lshrrev_b64 v[16:17], 21, v[16:17]
	v_cmp_gt_i32_e32 vcc, 32, v5
	v_cndmask_b32_e32 v17, 0, v17, vcc
	v_cndmask_b32_e32 v16, 3, v16, vcc
	v_cmp_ne_u64_e32 vcc, 0, v[16:17]
	v_cmp_ne_u32_e64 s[28:29], 0, v5
	s_or_b64 s[28:29], s[28:29], vcc
                                        ; implicit-def: $vgpr18
	s_and_saveexec_b64 s[62:63], s[28:29]
	s_xor_b64 s[28:29], exec, s[62:63]
; %bb.19639:                            ;   in Loop: Header=BB6_18303 Depth=3
	v_min_i32_e32 v5, 31, v5
	v_lshl_or_b32 v2, v5, 2, v2
	v_and_or_b32 v18, v16, 3, v2
                                        ; implicit-def: $vgpr2
; %bb.19640:                            ;   in Loop: Header=BB6_18303 Depth=3
	s_andn2_saveexec_b64 s[28:29], s[28:29]
; %bb.19641:                            ;   in Loop: Header=BB6_18303 Depth=3
	v_mov_b32_e32 v18, v2
; %bb.19642:                            ;   in Loop: Header=BB6_18303 Depth=3
	s_or_b64 exec, exec, s[28:29]
.LBB6_19643:                            ;   in Loop: Header=BB6_18303 Depth=3
	s_or_b64 exec, exec, s[38:39]
                                        ; implicit-def: $vgpr2
.LBB6_19644:                            ;   in Loop: Header=BB6_18303 Depth=3
	s_andn2_saveexec_b64 s[28:29], s[36:37]
; %bb.19645:                            ;   in Loop: Header=BB6_18303 Depth=3
	v_or_b32_e32 v18, 0x7b, v2
; %bb.19646:                            ;   in Loop: Header=BB6_18303 Depth=3
	s_or_b64 exec, exec, s[28:29]
                                        ; implicit-def: $vgpr5
                                        ; implicit-def: $vgpr16_vgpr17
.LBB6_19647:                            ;   in Loop: Header=BB6_18303 Depth=3
	s_andn2_saveexec_b64 s[28:29], s[34:35]
	s_cbranch_execz .LBB6_19653
; %bb.19648:                            ;   in Loop: Header=BB6_18303 Depth=3
	v_cmp_ne_u64_e32 vcc, 0, v[16:17]
                                        ; implicit-def: $vgpr18
	s_and_saveexec_b64 s[62:63], vcc
	s_xor_b64 vcc, exec, s[62:63]
; %bb.19649:                            ;   in Loop: Header=BB6_18303 Depth=3
	v_or_b32_sdwa v18, v5, s44 dst_sel:DWORD dst_unused:UNUSED_PAD src0_sel:BYTE_3 src1_sel:DWORD
                                        ; implicit-def: $vgpr5
; %bb.19650:                            ;   in Loop: Header=BB6_18303 Depth=3
	s_andn2_saveexec_b64 s[34:35], vcc
; %bb.19651:                            ;   in Loop: Header=BB6_18303 Depth=3
	v_cmp_lt_i32_e32 vcc, -1, v5
	v_mov_b32_e32 v2, 0x7c
	v_cndmask_b32_e32 v18, -4, v2, vcc
; %bb.19652:                            ;   in Loop: Header=BB6_18303 Depth=3
	s_or_b64 exec, exec, s[34:35]
.LBB6_19653:                            ;   in Loop: Header=BB6_18303 Depth=3
	s_or_b64 exec, exec, s[28:29]
	v_and_b32_e32 v16, 0xff, v57
	v_cmp_ne_u16_e32 vcc, 0, v16
	v_mov_b32_e32 v2, 0
	v_mov_b32_e32 v5, 0
	s_and_saveexec_b64 s[28:29], vcc
	s_cbranch_execz .LBB6_19661
; %bb.19654:                            ;   in Loop: Header=BB6_18303 Depth=3
	v_cmp_ne_u16_e32 vcc, s97, v16
	v_bfrev_b32_e32 v5, 1
	s_and_saveexec_b64 s[34:35], vcc
	s_cbranch_execz .LBB6_19660
; %bb.19655:                            ;   in Loop: Header=BB6_18303 Depth=3
	v_mov_b32_e32 v5, v57
	v_and_b32_e32 v7, 3, v5
	v_and_b32_e32 v5, 0x7c, v5
	v_cmp_ne_u32_e32 vcc, s86, v5
                                        ; implicit-def: $vgpr5
	s_and_saveexec_b64 s[62:63], vcc
	s_xor_b64 s[36:37], exec, s[62:63]
	s_cbranch_execz .LBB6_19657
; %bb.19656:                            ;   in Loop: Header=BB6_18303 Depth=3
	v_bfe_u32 v5, v16, 2, 5
	v_ffbh_u32_e32 v16, v7
	v_min_u32_e32 v23, 32, v16
	v_mov_b32_e32 v38, v57
	v_mov_b32_e32 v39, v33
	v_subrev_u32_e32 v16, 29, v23
	v_lshlrev_b64 v[16:17], v16, v[38:39]
	v_cmp_eq_u32_e32 vcc, 0, v5
	v_and_b32_e32 v16, 3, v16
	v_sub_u32_e32 v17, 30, v23
	v_cndmask_b32_e32 v7, v7, v16, vcc
	v_lshlrev_b32_e32 v16, 24, v38
	v_cndmask_b32_e32 v5, v5, v17, vcc
	v_and_b32_e32 v16, 0x80000000, v16
	v_lshl_add_u32 v5, v5, 23, v16
	v_lshl_or_b32 v5, v7, 21, v5
	v_add_u32_e32 v5, 0x38000000, v5
                                        ; implicit-def: $vgpr7
                                        ; implicit-def: $vgpr57
.LBB6_19657:                            ;   in Loop: Header=BB6_18303 Depth=3
	s_andn2_saveexec_b64 s[36:37], s[36:37]
; %bb.19658:                            ;   in Loop: Header=BB6_18303 Depth=3
	v_mov_b32_e32 v5, -1
	v_cmp_gt_i16_sdwa vcc, sext(v57), v5 src0_sel:BYTE_0 src1_sel:DWORD
	v_mov_b32_e32 v5, 0xff800000
	v_mov_b32_e32 v16, 0x7f800000
	v_cndmask_b32_e32 v5, v5, v16, vcc
	v_cmp_eq_u32_e32 vcc, 0, v7
	v_mov_b32_e32 v7, 0x7f800001
	v_cndmask_b32_e32 v5, v7, v5, vcc
; %bb.19659:                            ;   in Loop: Header=BB6_18303 Depth=3
	s_or_b64 exec, exec, s[36:37]
.LBB6_19660:                            ;   in Loop: Header=BB6_18303 Depth=3
	s_or_b64 exec, exec, s[34:35]
.LBB6_19661:                            ;   in Loop: Header=BB6_18303 Depth=3
	s_or_b64 exec, exec, s[28:29]
	v_cmp_ne_u16_e32 vcc, 0, v1
	s_and_saveexec_b64 s[28:29], vcc
	s_cbranch_execz .LBB6_19669
; %bb.19662:                            ;   in Loop: Header=BB6_18303 Depth=3
	v_cmp_ne_u16_e32 vcc, s46, v1
	v_bfrev_b32_e32 v2, 1
	s_and_saveexec_b64 s[34:35], vcc
	s_cbranch_execz .LBB6_19668
; %bb.19663:                            ;   in Loop: Header=BB6_18303 Depth=3
	v_and_b32_e32 v2, 0x7c, v1
	v_and_b32_e32 v7, 3, v1
	v_cmp_ne_u32_e32 vcc, s86, v2
                                        ; implicit-def: $vgpr2
	s_and_saveexec_b64 s[62:63], vcc
	s_xor_b64 s[36:37], exec, s[62:63]
	s_cbranch_execz .LBB6_19665
; %bb.19664:                            ;   in Loop: Header=BB6_18303 Depth=3
	v_and_b32_e32 v16, 0xff, v1
	v_bfe_u32 v23, v16, 2, 5
	v_ffbh_u32_e32 v16, v7
	v_min_u32_e32 v31, 32, v16
	v_mov_b32_e32 v2, v33
	v_subrev_u32_e32 v16, 29, v31
	v_lshlrev_b64 v[16:17], v16, v[1:2]
	v_sub_u32_e32 v2, 30, v31
	v_cmp_eq_u32_e32 vcc, 0, v23
	v_and_b32_e32 v16, 3, v16
	v_cndmask_b32_e32 v2, v23, v2, vcc
	v_and_b32_sdwa v1, sext(v1), s87 dst_sel:DWORD dst_unused:UNUSED_PAD src0_sel:WORD_0 src1_sel:DWORD
	v_cndmask_b32_e32 v7, v7, v16, vcc
	v_lshl_add_u32 v1, v2, 23, v1
	v_lshl_or_b32 v1, v7, 21, v1
	v_add_u32_e32 v2, 0x38000000, v1
                                        ; implicit-def: $vgpr7
                                        ; implicit-def: $vgpr1
.LBB6_19665:                            ;   in Loop: Header=BB6_18303 Depth=3
	s_andn2_saveexec_b64 s[36:37], s[36:37]
; %bb.19666:                            ;   in Loop: Header=BB6_18303 Depth=3
	v_cmp_lt_i16_e32 vcc, -1, v1
	v_mov_b32_e32 v1, 0xff800000
	v_mov_b32_e32 v2, 0x7f800000
	v_cndmask_b32_e32 v1, v1, v2, vcc
	v_cmp_eq_u32_e32 vcc, 0, v7
	v_mov_b32_e32 v2, 0x7f800001
	v_cndmask_b32_e32 v2, v2, v1, vcc
; %bb.19667:                            ;   in Loop: Header=BB6_18303 Depth=3
	s_or_b64 exec, exec, s[36:37]
.LBB6_19668:                            ;   in Loop: Header=BB6_18303 Depth=3
	s_or_b64 exec, exec, s[34:35]
.LBB6_19669:                            ;   in Loop: Header=BB6_18303 Depth=3
	s_or_b64 exec, exec, s[28:29]
	v_add_f32_e32 v7, v5, v2
	v_and_b32_e32 v16, 0x7f800000, v7
	v_mov_b32_e32 v17, v33
	v_cmp_ne_u64_e32 vcc, s[76:77], v[16:17]
	v_and_b32_e32 v1, 0x7fffff, v7
	v_mov_b32_e32 v2, v33
                                        ; implicit-def: $vgpr16
	s_and_saveexec_b64 s[28:29], vcc
	s_xor_b64 s[34:35], exec, s[28:29]
	s_cbranch_execz .LBB6_19687
; %bb.19670:                            ;   in Loop: Header=BB6_18303 Depth=3
	v_and_b32_e32 v16, 0x7fffffff, v7
	v_mov_b32_e32 v17, v33
	v_cmp_gt_u64_e32 vcc, s[78:79], v[16:17]
	v_and_b32_sdwa v5, v7, s97 dst_sel:DWORD dst_unused:UNUSED_PAD src0_sel:BYTE_3 src1_sel:DWORD
                                        ; implicit-def: $vgpr16
	s_and_saveexec_b64 s[28:29], vcc
	s_xor_b64 s[36:37], exec, s[28:29]
	s_cbranch_execz .LBB6_19684
; %bb.19671:                            ;   in Loop: Header=BB6_18303 Depth=3
	v_cmp_ne_u32_e32 vcc, 0, v7
	v_mov_b32_e32 v16, 0
	s_and_saveexec_b64 s[38:39], vcc
	s_cbranch_execz .LBB6_19683
; %bb.19672:                            ;   in Loop: Header=BB6_18303 Depth=3
	v_bfe_u32 v7, v7, 23, 8
	v_cmp_gt_u32_e64 s[28:29], s47, v7
	v_sub_u32_e32 v16, 0x71, v7
	v_cmp_eq_u32_e32 vcc, 0, v7
	v_cndmask_b32_e64 v16, 0, v16, s[28:29]
	v_mov_b32_e32 v23, 0x70
	v_cndmask_b32_e32 v23, v16, v23, vcc
	v_or_b32_e32 v17, 0x800000, v1
	v_add_u32_e32 v16, 21, v23
	v_cndmask_b32_e32 v1, v17, v1, vcc
	v_lshlrev_b64 v[16:17], v16, -1
	v_add_u32_e32 v31, 20, v23
	v_bfi_b32 v16, v16, 0, v1
	v_lshlrev_b64 v[38:39], v31, 1
	v_lshrrev_b64 v[1:2], v23, v[1:2]
	v_bfi_b32 v17, v17, 0, 0
	v_cmp_eq_u64_e64 s[28:29], v[16:17], v[38:39]
	v_mov_b32_e32 v17, v2
	v_mov_b32_e32 v16, v1
	s_and_saveexec_b64 s[48:49], s[28:29]
; %bb.19673:                            ;   in Loop: Header=BB6_18303 Depth=3
	v_bfe_u32 v2, v1, 21, 1
	v_add_co_u32_e64 v2, s[28:29], v1, v2
	v_add_co_u32_e64 v16, s[28:29], -1, v2
; %bb.19674:                            ;   in Loop: Header=BB6_18303 Depth=3
	s_or_b64 exec, exec, s[48:49]
	v_add_u32_e32 v2, 0xffffff81, v7
	v_mov_b32_e32 v7, 0xffffff82
	v_cndmask_b32_e32 v2, v2, v7, vcc
	v_lshrrev_b32_e32 v7, 23, v1
	v_add3_u32 v23, v23, v2, v7
	v_add_u32_e32 v17, 14, v23
	v_and_b32_e32 v2, 0x1fffff, v16
	v_add_u32_e32 v1, v2, v1
	v_mov_b32_e32 v2, v33
	v_cmp_ne_u32_e32 vcc, 0, v17
                                        ; implicit-def: $vgpr7
	s_and_saveexec_b64 s[28:29], vcc
	s_xor_b64 s[28:29], exec, s[28:29]
; %bb.19675:                            ;   in Loop: Header=BB6_18303 Depth=3
	v_cmp_lt_u64_e32 vcc, s[88:89], v[1:2]
	v_add_u32_e32 v7, 15, v23
	v_cndmask_b32_e64 v16, 0, 1, vcc
	v_lshrrev_b64 v[1:2], v16, v[1:2]
	v_cndmask_b32_e32 v7, v17, v7, vcc
; %bb.19676:                            ;   in Loop: Header=BB6_18303 Depth=3
	s_andn2_saveexec_b64 s[28:29], s[28:29]
; %bb.19677:                            ;   in Loop: Header=BB6_18303 Depth=3
	v_bfe_u32 v7, v1, 23, 1
; %bb.19678:                            ;   in Loop: Header=BB6_18303 Depth=3
	s_or_b64 exec, exec, s[28:29]
	v_lshrrev_b64 v[1:2], 21, v[1:2]
	v_cmp_gt_i32_e32 vcc, 32, v7
	v_cndmask_b32_e32 v2, 0, v2, vcc
	v_cndmask_b32_e32 v1, 3, v1, vcc
	v_cmp_ne_u64_e32 vcc, 0, v[1:2]
	v_cmp_ne_u32_e64 s[28:29], 0, v7
	s_or_b64 s[28:29], s[28:29], vcc
                                        ; implicit-def: $vgpr16
	s_and_saveexec_b64 s[62:63], s[28:29]
	s_xor_b64 s[28:29], exec, s[62:63]
; %bb.19679:                            ;   in Loop: Header=BB6_18303 Depth=3
	v_min_i32_e32 v2, 31, v7
	v_lshl_or_b32 v2, v2, 2, v5
	v_and_or_b32 v16, v1, 3, v2
                                        ; implicit-def: $vgpr5
; %bb.19680:                            ;   in Loop: Header=BB6_18303 Depth=3
	s_andn2_saveexec_b64 s[28:29], s[28:29]
; %bb.19681:                            ;   in Loop: Header=BB6_18303 Depth=3
	v_mov_b32_e32 v16, v5
; %bb.19682:                            ;   in Loop: Header=BB6_18303 Depth=3
	s_or_b64 exec, exec, s[28:29]
.LBB6_19683:                            ;   in Loop: Header=BB6_18303 Depth=3
	s_or_b64 exec, exec, s[38:39]
                                        ; implicit-def: $vgpr5
.LBB6_19684:                            ;   in Loop: Header=BB6_18303 Depth=3
	s_andn2_saveexec_b64 s[28:29], s[36:37]
; %bb.19685:                            ;   in Loop: Header=BB6_18303 Depth=3
	v_or_b32_e32 v16, 0x7b, v5
; %bb.19686:                            ;   in Loop: Header=BB6_18303 Depth=3
	s_or_b64 exec, exec, s[28:29]
                                        ; implicit-def: $vgpr7
                                        ; implicit-def: $vgpr1_vgpr2
.LBB6_19687:                            ;   in Loop: Header=BB6_18303 Depth=3
	s_andn2_saveexec_b64 s[28:29], s[34:35]
	s_cbranch_execz .LBB6_19693
; %bb.19688:                            ;   in Loop: Header=BB6_18303 Depth=3
	v_cmp_ne_u64_e32 vcc, 0, v[1:2]
                                        ; implicit-def: $vgpr16
	s_and_saveexec_b64 s[62:63], vcc
	s_xor_b64 vcc, exec, s[62:63]
; %bb.19689:                            ;   in Loop: Header=BB6_18303 Depth=3
	v_or_b32_sdwa v16, v7, s44 dst_sel:DWORD dst_unused:UNUSED_PAD src0_sel:BYTE_3 src1_sel:DWORD
                                        ; implicit-def: $vgpr7
; %bb.19690:                            ;   in Loop: Header=BB6_18303 Depth=3
	s_andn2_saveexec_b64 s[34:35], vcc
; %bb.19691:                            ;   in Loop: Header=BB6_18303 Depth=3
	v_cmp_lt_i32_e32 vcc, -1, v7
	v_mov_b32_e32 v1, 0x7c
	v_cndmask_b32_e32 v16, -4, v1, vcc
; %bb.19692:                            ;   in Loop: Header=BB6_18303 Depth=3
	s_or_b64 exec, exec, s[34:35]
.LBB6_19693:                            ;   in Loop: Header=BB6_18303 Depth=3
	s_or_b64 exec, exec, s[28:29]
	v_and_b32_e32 v7, 0xff, v0
	v_cmp_ne_u16_e32 vcc, 0, v7
	v_mov_b32_e32 v2, 0
	v_mov_b32_e32 v1, 0
	s_and_saveexec_b64 s[28:29], vcc
	s_cbranch_execz .LBB6_19701
; %bb.19694:                            ;   in Loop: Header=BB6_18303 Depth=3
	v_cmp_ne_u16_e32 vcc, s97, v7
	v_bfrev_b32_e32 v1, 1
	s_and_saveexec_b64 s[34:35], vcc
	s_cbranch_execz .LBB6_19700
; %bb.19695:                            ;   in Loop: Header=BB6_18303 Depth=3
	v_and_b32_e32 v1, 0x7c, v0
	v_and_b32_e32 v5, 3, v0
	v_cmp_ne_u32_e32 vcc, s86, v1
                                        ; implicit-def: $vgpr1
	s_and_saveexec_b64 s[62:63], vcc
	s_xor_b64 s[36:37], exec, s[62:63]
	s_cbranch_execz .LBB6_19697
; %bb.19696:                            ;   in Loop: Header=BB6_18303 Depth=3
	v_ffbh_u32_e32 v17, v5
	v_min_u32_e32 v17, 32, v17
	v_mov_b32_e32 v1, v33
	v_subrev_u32_e32 v23, 29, v17
	v_bfe_u32 v7, v7, 2, 5
	v_lshlrev_b64 v[38:39], v23, v[0:1]
	v_sub_u32_e32 v1, 30, v17
	v_cmp_eq_u32_e32 vcc, 0, v7
	v_lshlrev_b32_e32 v0, 24, v0
	v_and_b32_e32 v17, 3, v38
	v_cndmask_b32_e32 v1, v7, v1, vcc
	v_and_b32_e32 v0, 0x80000000, v0
	v_cndmask_b32_e32 v5, v5, v17, vcc
	v_lshl_add_u32 v0, v1, 23, v0
	v_lshl_or_b32 v0, v5, 21, v0
	v_add_u32_e32 v1, 0x38000000, v0
                                        ; implicit-def: $vgpr5
                                        ; implicit-def: $vgpr0
.LBB6_19697:                            ;   in Loop: Header=BB6_18303 Depth=3
	s_andn2_saveexec_b64 s[36:37], s[36:37]
; %bb.19698:                            ;   in Loop: Header=BB6_18303 Depth=3
	v_mov_b32_e32 v1, -1
	v_cmp_gt_i16_sdwa vcc, sext(v0), v1 src0_sel:BYTE_0 src1_sel:DWORD
	v_mov_b32_e32 v0, 0xff800000
	v_mov_b32_e32 v1, 0x7f800000
	v_cndmask_b32_e32 v0, v0, v1, vcc
	v_cmp_eq_u32_e32 vcc, 0, v5
	v_mov_b32_e32 v1, 0x7f800001
	v_cndmask_b32_e32 v1, v1, v0, vcc
; %bb.19699:                            ;   in Loop: Header=BB6_18303 Depth=3
	s_or_b64 exec, exec, s[36:37]
.LBB6_19700:                            ;   in Loop: Header=BB6_18303 Depth=3
	s_or_b64 exec, exec, s[34:35]
.LBB6_19701:                            ;   in Loop: Header=BB6_18303 Depth=3
	s_or_b64 exec, exec, s[28:29]
	v_cmp_ne_u16_e32 vcc, 0, v56
	s_and_saveexec_b64 s[28:29], vcc
	s_cbranch_execz .LBB6_19709
; %bb.19702:                            ;   in Loop: Header=BB6_18303 Depth=3
	v_cmp_ne_u16_e32 vcc, s46, v56
	v_bfrev_b32_e32 v2, 1
	s_and_saveexec_b64 s[34:35], vcc
	s_cbranch_execz .LBB6_19708
; %bb.19703:                            ;   in Loop: Header=BB6_18303 Depth=3
	v_and_b32_e32 v2, 0x7c, v56
	v_and_b32_e32 v0, 3, v56
	v_cmp_ne_u32_e32 vcc, s86, v2
                                        ; implicit-def: $vgpr2
	s_and_saveexec_b64 s[62:63], vcc
	s_xor_b64 s[36:37], exec, s[62:63]
	s_cbranch_execz .LBB6_19705
; %bb.19704:                            ;   in Loop: Header=BB6_18303 Depth=3
	v_ffbh_u32_e32 v5, v0
	v_min_u32_e32 v5, 32, v5
	v_and_b32_e32 v2, 0xff, v56
	v_mov_b32_e32 v57, v33
	v_subrev_u32_e32 v7, 29, v5
	v_bfe_u32 v2, v2, 2, 5
	v_lshlrev_b64 v[38:39], v7, v[56:57]
	v_sub_u32_e32 v5, 30, v5
	v_cmp_eq_u32_e32 vcc, 0, v2
	v_and_b32_e32 v7, 3, v38
	v_cndmask_b32_e32 v2, v2, v5, vcc
	v_and_b32_sdwa v5, sext(v56), s87 dst_sel:DWORD dst_unused:UNUSED_PAD src0_sel:WORD_0 src1_sel:DWORD
	v_cndmask_b32_e32 v0, v0, v7, vcc
	v_lshl_add_u32 v2, v2, 23, v5
	v_lshl_or_b32 v0, v0, 21, v2
	v_add_u32_e32 v2, 0x38000000, v0
                                        ; implicit-def: $vgpr0
                                        ; implicit-def: $vgpr56
.LBB6_19705:                            ;   in Loop: Header=BB6_18303 Depth=3
	s_andn2_saveexec_b64 s[36:37], s[36:37]
; %bb.19706:                            ;   in Loop: Header=BB6_18303 Depth=3
	v_cmp_lt_i16_e32 vcc, -1, v56
	v_mov_b32_e32 v2, 0xff800000
	v_mov_b32_e32 v5, 0x7f800000
	v_cndmask_b32_e32 v2, v2, v5, vcc
	v_cmp_eq_u32_e32 vcc, 0, v0
	v_mov_b32_e32 v0, 0x7f800001
	v_cndmask_b32_e32 v2, v0, v2, vcc
; %bb.19707:                            ;   in Loop: Header=BB6_18303 Depth=3
	s_or_b64 exec, exec, s[36:37]
.LBB6_19708:                            ;   in Loop: Header=BB6_18303 Depth=3
	s_or_b64 exec, exec, s[34:35]
.LBB6_19709:                            ;   in Loop: Header=BB6_18303 Depth=3
	s_or_b64 exec, exec, s[28:29]
	v_add_f32_e32 v2, v1, v2
	v_and_b32_e32 v38, 0x7f800000, v2
	v_mov_b32_e32 v39, v33
	v_cmp_ne_u64_e32 vcc, s[76:77], v[38:39]
	v_and_b32_e32 v0, 0x7fffff, v2
	v_mov_b32_e32 v1, v33
                                        ; implicit-def: $vgpr17
	s_and_saveexec_b64 s[28:29], vcc
	s_xor_b64 s[34:35], exec, s[28:29]
	s_cbranch_execz .LBB6_19727
; %bb.19710:                            ;   in Loop: Header=BB6_18303 Depth=3
	v_and_b32_e32 v38, 0x7fffffff, v2
	v_mov_b32_e32 v39, v33
	v_cmp_gt_u64_e32 vcc, s[78:79], v[38:39]
	v_and_b32_sdwa v5, v2, s97 dst_sel:DWORD dst_unused:UNUSED_PAD src0_sel:BYTE_3 src1_sel:DWORD
                                        ; implicit-def: $vgpr17
	s_and_saveexec_b64 s[28:29], vcc
	s_xor_b64 s[36:37], exec, s[28:29]
	s_cbranch_execz .LBB6_19724
; %bb.19711:                            ;   in Loop: Header=BB6_18303 Depth=3
	v_cmp_ne_u32_e32 vcc, 0, v2
	v_mov_b32_e32 v17, 0
	s_and_saveexec_b64 s[38:39], vcc
	s_cbranch_execz .LBB6_19723
; %bb.19712:                            ;   in Loop: Header=BB6_18303 Depth=3
	v_bfe_u32 v7, v2, 23, 8
	v_cmp_gt_u32_e64 s[28:29], s47, v7
	v_sub_u32_e32 v2, 0x71, v7
	v_cmp_eq_u32_e32 vcc, 0, v7
	v_cndmask_b32_e64 v2, 0, v2, s[28:29]
	v_mov_b32_e32 v17, 0x70
	v_cndmask_b32_e32 v17, v2, v17, vcc
	v_add_u32_e32 v2, 21, v17
	v_or_b32_e32 v23, 0x800000, v0
	v_lshlrev_b64 v[38:39], v2, -1
	v_cndmask_b32_e32 v0, v23, v0, vcc
	v_add_u32_e32 v2, 20, v17
	v_bfi_b32 v38, v38, 0, v0
	v_lshlrev_b64 v[50:51], v2, 1
	v_lshrrev_b64 v[0:1], v17, v[0:1]
	v_bfi_b32 v39, v39, 0, 0
	v_cmp_eq_u64_e64 s[28:29], v[38:39], v[50:51]
	v_mov_b32_e32 v2, v1
	v_mov_b32_e32 v1, v0
	s_and_saveexec_b64 s[48:49], s[28:29]
; %bb.19713:                            ;   in Loop: Header=BB6_18303 Depth=3
	v_bfe_u32 v1, v0, 21, 1
	v_add_co_u32_e64 v1, s[28:29], v0, v1
	v_add_co_u32_e64 v1, s[28:29], -1, v1
; %bb.19714:                            ;   in Loop: Header=BB6_18303 Depth=3
	s_or_b64 exec, exec, s[48:49]
	v_add_u32_e32 v2, 0xffffff81, v7
	v_mov_b32_e32 v7, 0xffffff82
	v_cndmask_b32_e32 v2, v2, v7, vcc
	v_lshrrev_b32_e32 v7, 23, v0
	v_add3_u32 v17, v17, v2, v7
	v_add_u32_e32 v7, 14, v17
	v_and_b32_e32 v1, 0x1fffff, v1
	v_add_u32_e32 v0, v1, v0
	v_mov_b32_e32 v1, v33
	v_cmp_ne_u32_e32 vcc, 0, v7
                                        ; implicit-def: $vgpr2
	s_and_saveexec_b64 s[28:29], vcc
	s_xor_b64 s[28:29], exec, s[28:29]
; %bb.19715:                            ;   in Loop: Header=BB6_18303 Depth=3
	v_cmp_lt_u64_e32 vcc, s[88:89], v[0:1]
	v_add_u32_e32 v2, 15, v17
	v_cndmask_b32_e32 v2, v7, v2, vcc
	v_cndmask_b32_e64 v7, 0, 1, vcc
	v_lshrrev_b64 v[0:1], v7, v[0:1]
; %bb.19716:                            ;   in Loop: Header=BB6_18303 Depth=3
	s_andn2_saveexec_b64 s[28:29], s[28:29]
; %bb.19717:                            ;   in Loop: Header=BB6_18303 Depth=3
	v_bfe_u32 v2, v0, 23, 1
; %bb.19718:                            ;   in Loop: Header=BB6_18303 Depth=3
	s_or_b64 exec, exec, s[28:29]
	v_lshrrev_b64 v[0:1], 21, v[0:1]
	v_cmp_gt_i32_e32 vcc, 32, v2
	v_cndmask_b32_e32 v1, 0, v1, vcc
	v_cndmask_b32_e32 v0, 3, v0, vcc
	v_cmp_ne_u64_e32 vcc, 0, v[0:1]
	v_cmp_ne_u32_e64 s[28:29], 0, v2
	s_or_b64 s[28:29], s[28:29], vcc
                                        ; implicit-def: $vgpr17
	s_and_saveexec_b64 s[62:63], s[28:29]
	s_xor_b64 s[28:29], exec, s[62:63]
; %bb.19719:                            ;   in Loop: Header=BB6_18303 Depth=3
	v_min_i32_e32 v1, 31, v2
	v_lshl_or_b32 v1, v1, 2, v5
	v_and_or_b32 v17, v0, 3, v1
                                        ; implicit-def: $vgpr5
; %bb.19720:                            ;   in Loop: Header=BB6_18303 Depth=3
	s_andn2_saveexec_b64 s[28:29], s[28:29]
; %bb.19721:                            ;   in Loop: Header=BB6_18303 Depth=3
	v_mov_b32_e32 v17, v5
; %bb.19722:                            ;   in Loop: Header=BB6_18303 Depth=3
	s_or_b64 exec, exec, s[28:29]
.LBB6_19723:                            ;   in Loop: Header=BB6_18303 Depth=3
	s_or_b64 exec, exec, s[38:39]
                                        ; implicit-def: $vgpr5
.LBB6_19724:                            ;   in Loop: Header=BB6_18303 Depth=3
	s_andn2_saveexec_b64 s[28:29], s[36:37]
; %bb.19725:                            ;   in Loop: Header=BB6_18303 Depth=3
	v_or_b32_e32 v17, 0x7b, v5
; %bb.19726:                            ;   in Loop: Header=BB6_18303 Depth=3
	s_or_b64 exec, exec, s[28:29]
                                        ; implicit-def: $vgpr2
                                        ; implicit-def: $vgpr0_vgpr1
.LBB6_19727:                            ;   in Loop: Header=BB6_18303 Depth=3
	s_andn2_saveexec_b64 s[28:29], s[34:35]
	s_cbranch_execz .LBB6_19733
; %bb.19728:                            ;   in Loop: Header=BB6_18303 Depth=3
	v_cmp_ne_u64_e32 vcc, 0, v[0:1]
                                        ; implicit-def: $vgpr17
	s_and_saveexec_b64 s[62:63], vcc
	s_xor_b64 vcc, exec, s[62:63]
; %bb.19729:                            ;   in Loop: Header=BB6_18303 Depth=3
	v_or_b32_sdwa v17, v2, s44 dst_sel:DWORD dst_unused:UNUSED_PAD src0_sel:BYTE_3 src1_sel:DWORD
                                        ; implicit-def: $vgpr2
; %bb.19730:                            ;   in Loop: Header=BB6_18303 Depth=3
	s_andn2_saveexec_b64 s[34:35], vcc
; %bb.19731:                            ;   in Loop: Header=BB6_18303 Depth=3
	v_cmp_lt_i32_e32 vcc, -1, v2
	v_mov_b32_e32 v0, 0x7c
	v_cndmask_b32_e32 v17, -4, v0, vcc
; %bb.19732:                            ;   in Loop: Header=BB6_18303 Depth=3
	s_or_b64 exec, exec, s[34:35]
.LBB6_19733:                            ;   in Loop: Header=BB6_18303 Depth=3
	s_or_b64 exec, exec, s[28:29]
	buffer_load_dword v0, off, s[0:3], s33 offset:244 ; 4-byte Folded Reload
	buffer_load_dword v1, off, s[0:3], s33 offset:248 ; 4-byte Folded Reload
	s_waitcnt vmcnt(0)
	v_mov_b32_e32 v1, 0
	v_and_b32_e32 v5, 0xff, v0
	v_cmp_ne_u16_e32 vcc, 0, v5
	v_mov_b32_e32 v0, 0
	s_and_saveexec_b64 s[28:29], vcc
	s_cbranch_execz .LBB6_19741
; %bb.19734:                            ;   in Loop: Header=BB6_18303 Depth=3
	v_cmp_ne_u16_e32 vcc, s97, v5
	v_bfrev_b32_e32 v1, 1
	s_and_saveexec_b64 s[34:35], vcc
	s_cbranch_execz .LBB6_19740
; %bb.19735:                            ;   in Loop: Header=BB6_18303 Depth=3
	buffer_load_dword v1, off, s[0:3], s33 offset:244 ; 4-byte Folded Reload
	buffer_load_dword v2, off, s[0:3], s33 offset:248 ; 4-byte Folded Reload
	s_waitcnt vmcnt(0)
	v_and_b32_e32 v2, 3, v1
	v_and_b32_e32 v1, 0x7c, v1
	v_cmp_ne_u32_e32 vcc, s86, v1
                                        ; implicit-def: $vgpr1
	s_and_saveexec_b64 s[62:63], vcc
	s_xor_b64 s[36:37], exec, s[62:63]
	s_cbranch_execz .LBB6_19737
; %bb.19736:                            ;   in Loop: Header=BB6_18303 Depth=3
	buffer_load_dword v50, off, s[0:3], s33 offset:244 ; 4-byte Folded Reload
	buffer_load_dword v51, off, s[0:3], s33 offset:248 ; 4-byte Folded Reload
	v_bfe_u32 v1, v5, 2, 5
	v_ffbh_u32_e32 v5, v2
	v_min_u32_e32 v5, 32, v5
	s_waitcnt vmcnt(0)
	v_mov_b32_e32 v51, v33
	v_subrev_u32_e32 v7, 29, v5
	v_sub_u32_e32 v5, 30, v5
	v_cmp_eq_u32_e32 vcc, 0, v1
	v_cndmask_b32_e32 v1, v1, v5, vcc
	v_lshlrev_b32_e32 v5, 24, v50
	v_lshlrev_b64 v[38:39], v7, v[50:51]
	v_and_b32_e32 v5, 0x80000000, v5
	v_and_b32_e32 v7, 3, v38
	v_cndmask_b32_e32 v2, v2, v7, vcc
	v_lshl_add_u32 v1, v1, 23, v5
	v_lshl_or_b32 v1, v2, 21, v1
	v_add_u32_e32 v1, 0x38000000, v1
                                        ; implicit-def: $vgpr5
                                        ; implicit-def: $vgpr2
	buffer_store_dword v5, off, s[0:3], s33 offset:244 ; 4-byte Folded Spill
	s_nop 0
	buffer_store_dword v6, off, s[0:3], s33 offset:248 ; 4-byte Folded Spill
.LBB6_19737:                            ;   in Loop: Header=BB6_18303 Depth=3
	s_andn2_saveexec_b64 s[36:37], s[36:37]
	s_cbranch_execz .LBB6_19739
; %bb.19738:                            ;   in Loop: Header=BB6_18303 Depth=3
	buffer_load_dword v38, off, s[0:3], s33 offset:244 ; 4-byte Folded Reload
	buffer_load_dword v39, off, s[0:3], s33 offset:248 ; 4-byte Folded Reload
	v_mov_b32_e32 v1, -1
	v_mov_b32_e32 v5, 0x7f800000
	s_waitcnt vmcnt(1)
	v_cmp_gt_i16_sdwa vcc, sext(v38), v1 src0_sel:BYTE_0 src1_sel:DWORD
	v_mov_b32_e32 v1, 0xff800000
	v_cndmask_b32_e32 v1, v1, v5, vcc
	v_cmp_eq_u32_e32 vcc, 0, v2
	v_mov_b32_e32 v2, 0x7f800001
	v_cndmask_b32_e32 v1, v2, v1, vcc
.LBB6_19739:                            ;   in Loop: Header=BB6_18303 Depth=3
	s_or_b64 exec, exec, s[36:37]
.LBB6_19740:                            ;   in Loop: Header=BB6_18303 Depth=3
	s_or_b64 exec, exec, s[34:35]
.LBB6_19741:                            ;   in Loop: Header=BB6_18303 Depth=3
	s_or_b64 exec, exec, s[28:29]
	v_cmp_ne_u16_e32 vcc, 0, v55
	s_and_saveexec_b64 s[28:29], vcc
	s_cbranch_execz .LBB6_19749
; %bb.19742:                            ;   in Loop: Header=BB6_18303 Depth=3
	v_cmp_ne_u16_e32 vcc, s46, v55
	v_bfrev_b32_e32 v0, 1
	s_and_saveexec_b64 s[34:35], vcc
	s_cbranch_execz .LBB6_19748
; %bb.19743:                            ;   in Loop: Header=BB6_18303 Depth=3
	v_and_b32_e32 v0, 0x7c, v55
	v_and_b32_e32 v2, 3, v55
	v_cmp_ne_u32_e32 vcc, s86, v0
                                        ; implicit-def: $vgpr0
	s_and_saveexec_b64 s[62:63], vcc
	s_xor_b64 s[36:37], exec, s[62:63]
	s_cbranch_execz .LBB6_19745
; %bb.19744:                            ;   in Loop: Header=BB6_18303 Depth=3
	v_ffbh_u32_e32 v5, v2
	v_min_u32_e32 v5, 32, v5
	v_and_b32_e32 v0, 0xff, v55
	v_mov_b32_e32 v56, v33
	v_subrev_u32_e32 v7, 29, v5
	v_bfe_u32 v0, v0, 2, 5
	s_waitcnt vmcnt(0)
	v_lshlrev_b64 v[38:39], v7, v[55:56]
	v_sub_u32_e32 v5, 30, v5
	v_cmp_eq_u32_e32 vcc, 0, v0
	v_and_b32_e32 v7, 3, v38
	v_cndmask_b32_e32 v0, v0, v5, vcc
	v_and_b32_sdwa v5, sext(v55), s87 dst_sel:DWORD dst_unused:UNUSED_PAD src0_sel:WORD_0 src1_sel:DWORD
	v_cndmask_b32_e32 v2, v2, v7, vcc
	v_lshl_add_u32 v0, v0, 23, v5
	v_lshl_or_b32 v0, v2, 21, v0
	v_add_u32_e32 v0, 0x38000000, v0
                                        ; implicit-def: $vgpr2
                                        ; implicit-def: $vgpr55
.LBB6_19745:                            ;   in Loop: Header=BB6_18303 Depth=3
	s_andn2_saveexec_b64 s[36:37], s[36:37]
; %bb.19746:                            ;   in Loop: Header=BB6_18303 Depth=3
	v_cmp_lt_i16_e32 vcc, -1, v55
	v_mov_b32_e32 v0, 0xff800000
	v_mov_b32_e32 v5, 0x7f800000
	v_cndmask_b32_e32 v0, v0, v5, vcc
	v_cmp_eq_u32_e32 vcc, 0, v2
	v_mov_b32_e32 v2, 0x7f800001
	v_cndmask_b32_e32 v0, v2, v0, vcc
; %bb.19747:                            ;   in Loop: Header=BB6_18303 Depth=3
	s_or_b64 exec, exec, s[36:37]
.LBB6_19748:                            ;   in Loop: Header=BB6_18303 Depth=3
	s_or_b64 exec, exec, s[34:35]
.LBB6_19749:                            ;   in Loop: Header=BB6_18303 Depth=3
	s_or_b64 exec, exec, s[28:29]
	v_add_f32_e32 v2, v1, v0
	v_and_b32_e32 v38, 0x7f800000, v2
	s_waitcnt vmcnt(0)
	v_mov_b32_e32 v39, v33
	v_cmp_ne_u64_e32 vcc, s[76:77], v[38:39]
	v_and_b32_e32 v0, 0x7fffff, v2
	v_mov_b32_e32 v1, v33
                                        ; implicit-def: $vgpr38
	s_and_saveexec_b64 s[28:29], vcc
	s_xor_b64 s[34:35], exec, s[28:29]
	s_cbranch_execz .LBB6_19767
; %bb.19750:                            ;   in Loop: Header=BB6_18303 Depth=3
	v_and_b32_e32 v38, 0x7fffffff, v2
	v_mov_b32_e32 v39, v33
	v_cmp_gt_u64_e32 vcc, s[78:79], v[38:39]
	v_and_b32_sdwa v5, v2, s97 dst_sel:DWORD dst_unused:UNUSED_PAD src0_sel:BYTE_3 src1_sel:DWORD
                                        ; implicit-def: $vgpr38
	s_and_saveexec_b64 s[28:29], vcc
	s_xor_b64 s[36:37], exec, s[28:29]
	s_cbranch_execz .LBB6_19764
; %bb.19751:                            ;   in Loop: Header=BB6_18303 Depth=3
	v_cmp_ne_u32_e32 vcc, 0, v2
	v_mov_b32_e32 v38, 0
	s_and_saveexec_b64 s[38:39], vcc
	s_cbranch_execz .LBB6_19763
; %bb.19752:                            ;   in Loop: Header=BB6_18303 Depth=3
	v_bfe_u32 v7, v2, 23, 8
	v_cmp_gt_u32_e64 s[28:29], s47, v7
	v_sub_u32_e32 v2, 0x71, v7
	v_cmp_eq_u32_e32 vcc, 0, v7
	v_cndmask_b32_e64 v2, 0, v2, s[28:29]
	v_mov_b32_e32 v23, 0x70
	v_cndmask_b32_e32 v23, v2, v23, vcc
	v_add_u32_e32 v2, 21, v23
	v_or_b32_e32 v31, 0x800000, v0
	v_lshlrev_b64 v[38:39], v2, -1
	v_cndmask_b32_e32 v0, v31, v0, vcc
	v_add_u32_e32 v2, 20, v23
	v_bfi_b32 v38, v38, 0, v0
	v_lshlrev_b64 v[50:51], v2, 1
	v_lshrrev_b64 v[0:1], v23, v[0:1]
	v_bfi_b32 v39, v39, 0, 0
	v_cmp_eq_u64_e64 s[28:29], v[38:39], v[50:51]
	v_mov_b32_e32 v2, v1
	v_mov_b32_e32 v1, v0
	s_and_saveexec_b64 s[48:49], s[28:29]
; %bb.19753:                            ;   in Loop: Header=BB6_18303 Depth=3
	v_bfe_u32 v1, v0, 21, 1
	v_add_co_u32_e64 v1, s[28:29], v0, v1
	v_add_co_u32_e64 v1, s[28:29], -1, v1
; %bb.19754:                            ;   in Loop: Header=BB6_18303 Depth=3
	s_or_b64 exec, exec, s[48:49]
	v_add_u32_e32 v2, 0xffffff81, v7
	v_mov_b32_e32 v7, 0xffffff82
	v_cndmask_b32_e32 v2, v2, v7, vcc
	v_lshrrev_b32_e32 v7, 23, v0
	v_add3_u32 v23, v23, v2, v7
	v_add_u32_e32 v7, 14, v23
	v_and_b32_e32 v1, 0x1fffff, v1
	v_add_u32_e32 v0, v1, v0
	v_mov_b32_e32 v1, v33
	v_cmp_ne_u32_e32 vcc, 0, v7
                                        ; implicit-def: $vgpr2
	s_and_saveexec_b64 s[28:29], vcc
	s_xor_b64 s[28:29], exec, s[28:29]
; %bb.19755:                            ;   in Loop: Header=BB6_18303 Depth=3
	v_cmp_lt_u64_e32 vcc, s[88:89], v[0:1]
	v_add_u32_e32 v2, 15, v23
	v_cndmask_b32_e32 v2, v7, v2, vcc
	v_cndmask_b32_e64 v7, 0, 1, vcc
	v_lshrrev_b64 v[0:1], v7, v[0:1]
; %bb.19756:                            ;   in Loop: Header=BB6_18303 Depth=3
	s_andn2_saveexec_b64 s[28:29], s[28:29]
; %bb.19757:                            ;   in Loop: Header=BB6_18303 Depth=3
	v_bfe_u32 v2, v0, 23, 1
; %bb.19758:                            ;   in Loop: Header=BB6_18303 Depth=3
	s_or_b64 exec, exec, s[28:29]
	v_lshrrev_b64 v[0:1], 21, v[0:1]
	v_cmp_gt_i32_e32 vcc, 32, v2
	v_cndmask_b32_e32 v1, 0, v1, vcc
	v_cndmask_b32_e32 v0, 3, v0, vcc
	v_cmp_ne_u64_e32 vcc, 0, v[0:1]
	v_cmp_ne_u32_e64 s[28:29], 0, v2
	s_or_b64 s[28:29], s[28:29], vcc
                                        ; implicit-def: $vgpr38
	s_and_saveexec_b64 s[62:63], s[28:29]
	s_xor_b64 s[28:29], exec, s[62:63]
; %bb.19759:                            ;   in Loop: Header=BB6_18303 Depth=3
	v_min_i32_e32 v1, 31, v2
	v_lshl_or_b32 v1, v1, 2, v5
	v_and_or_b32 v38, v0, 3, v1
                                        ; implicit-def: $vgpr5
; %bb.19760:                            ;   in Loop: Header=BB6_18303 Depth=3
	s_andn2_saveexec_b64 s[28:29], s[28:29]
; %bb.19761:                            ;   in Loop: Header=BB6_18303 Depth=3
	v_mov_b32_e32 v38, v5
; %bb.19762:                            ;   in Loop: Header=BB6_18303 Depth=3
	s_or_b64 exec, exec, s[28:29]
.LBB6_19763:                            ;   in Loop: Header=BB6_18303 Depth=3
	s_or_b64 exec, exec, s[38:39]
                                        ; implicit-def: $vgpr5
.LBB6_19764:                            ;   in Loop: Header=BB6_18303 Depth=3
	s_andn2_saveexec_b64 s[28:29], s[36:37]
; %bb.19765:                            ;   in Loop: Header=BB6_18303 Depth=3
	v_or_b32_e32 v38, 0x7b, v5
; %bb.19766:                            ;   in Loop: Header=BB6_18303 Depth=3
	s_or_b64 exec, exec, s[28:29]
                                        ; implicit-def: $vgpr2
                                        ; implicit-def: $vgpr0_vgpr1
.LBB6_19767:                            ;   in Loop: Header=BB6_18303 Depth=3
	s_andn2_saveexec_b64 s[28:29], s[34:35]
	s_cbranch_execz .LBB6_19773
; %bb.19768:                            ;   in Loop: Header=BB6_18303 Depth=3
	v_cmp_ne_u64_e32 vcc, 0, v[0:1]
                                        ; implicit-def: $vgpr38
	s_and_saveexec_b64 s[62:63], vcc
	s_xor_b64 vcc, exec, s[62:63]
; %bb.19769:                            ;   in Loop: Header=BB6_18303 Depth=3
	v_or_b32_sdwa v38, v2, s44 dst_sel:DWORD dst_unused:UNUSED_PAD src0_sel:BYTE_3 src1_sel:DWORD
                                        ; implicit-def: $vgpr2
; %bb.19770:                            ;   in Loop: Header=BB6_18303 Depth=3
	s_andn2_saveexec_b64 s[34:35], vcc
; %bb.19771:                            ;   in Loop: Header=BB6_18303 Depth=3
	v_cmp_lt_i32_e32 vcc, -1, v2
	v_mov_b32_e32 v0, 0x7c
	v_cndmask_b32_e32 v38, -4, v0, vcc
; %bb.19772:                            ;   in Loop: Header=BB6_18303 Depth=3
	s_or_b64 exec, exec, s[34:35]
.LBB6_19773:                            ;   in Loop: Header=BB6_18303 Depth=3
	s_or_b64 exec, exec, s[28:29]
	buffer_load_dword v0, off, s[0:3], s33 offset:236 ; 4-byte Folded Reload
	buffer_load_dword v1, off, s[0:3], s33 offset:240 ; 4-byte Folded Reload
	s_waitcnt vmcnt(0)
	v_mov_b32_e32 v1, 0
	v_and_b32_e32 v5, 0xff, v0
	v_cmp_ne_u16_e32 vcc, 0, v5
	v_mov_b32_e32 v0, 0
	s_and_saveexec_b64 s[28:29], vcc
	s_cbranch_execz .LBB6_19781
; %bb.19774:                            ;   in Loop: Header=BB6_18303 Depth=3
	v_cmp_ne_u16_e32 vcc, s97, v5
	v_bfrev_b32_e32 v1, 1
	s_and_saveexec_b64 s[34:35], vcc
	s_cbranch_execz .LBB6_19780
; %bb.19775:                            ;   in Loop: Header=BB6_18303 Depth=3
	buffer_load_dword v1, off, s[0:3], s33 offset:236 ; 4-byte Folded Reload
	buffer_load_dword v2, off, s[0:3], s33 offset:240 ; 4-byte Folded Reload
	s_waitcnt vmcnt(0)
	v_and_b32_e32 v2, 3, v1
	v_and_b32_e32 v1, 0x7c, v1
	v_cmp_ne_u32_e32 vcc, s86, v1
                                        ; implicit-def: $vgpr1
	s_and_saveexec_b64 s[62:63], vcc
	s_xor_b64 s[36:37], exec, s[62:63]
	s_cbranch_execz .LBB6_19777
; %bb.19776:                            ;   in Loop: Header=BB6_18303 Depth=3
	buffer_load_dword v52, off, s[0:3], s33 offset:236 ; 4-byte Folded Reload
	buffer_load_dword v53, off, s[0:3], s33 offset:240 ; 4-byte Folded Reload
	v_bfe_u32 v1, v5, 2, 5
	v_ffbh_u32_e32 v5, v2
	v_min_u32_e32 v5, 32, v5
	s_waitcnt vmcnt(0)
	v_mov_b32_e32 v53, v33
	v_subrev_u32_e32 v7, 29, v5
	v_sub_u32_e32 v5, 30, v5
	v_cmp_eq_u32_e32 vcc, 0, v1
	v_cndmask_b32_e32 v1, v1, v5, vcc
	v_lshlrev_b32_e32 v5, 24, v52
	v_lshlrev_b64 v[50:51], v7, v[52:53]
	v_and_b32_e32 v5, 0x80000000, v5
	v_and_b32_e32 v7, 3, v50
	v_cndmask_b32_e32 v2, v2, v7, vcc
	v_lshl_add_u32 v1, v1, 23, v5
	v_lshl_or_b32 v1, v2, 21, v1
	v_add_u32_e32 v1, 0x38000000, v1
                                        ; implicit-def: $vgpr5
                                        ; implicit-def: $vgpr2
	buffer_store_dword v5, off, s[0:3], s33 offset:236 ; 4-byte Folded Spill
	s_nop 0
	buffer_store_dword v6, off, s[0:3], s33 offset:240 ; 4-byte Folded Spill
.LBB6_19777:                            ;   in Loop: Header=BB6_18303 Depth=3
	s_andn2_saveexec_b64 s[36:37], s[36:37]
	s_cbranch_execz .LBB6_19779
; %bb.19778:                            ;   in Loop: Header=BB6_18303 Depth=3
	buffer_load_dword v50, off, s[0:3], s33 offset:236 ; 4-byte Folded Reload
	buffer_load_dword v51, off, s[0:3], s33 offset:240 ; 4-byte Folded Reload
	v_mov_b32_e32 v1, -1
	v_mov_b32_e32 v5, 0x7f800000
	s_waitcnt vmcnt(1)
	v_cmp_gt_i16_sdwa vcc, sext(v50), v1 src0_sel:BYTE_0 src1_sel:DWORD
	v_mov_b32_e32 v1, 0xff800000
	v_cndmask_b32_e32 v1, v1, v5, vcc
	v_cmp_eq_u32_e32 vcc, 0, v2
	v_mov_b32_e32 v2, 0x7f800001
	v_cndmask_b32_e32 v1, v2, v1, vcc
.LBB6_19779:                            ;   in Loop: Header=BB6_18303 Depth=3
	s_or_b64 exec, exec, s[36:37]
.LBB6_19780:                            ;   in Loop: Header=BB6_18303 Depth=3
	s_or_b64 exec, exec, s[34:35]
.LBB6_19781:                            ;   in Loop: Header=BB6_18303 Depth=3
	s_or_b64 exec, exec, s[28:29]
	v_cmp_ne_u16_e32 vcc, 0, v30
	s_and_saveexec_b64 s[28:29], vcc
	s_cbranch_execz .LBB6_19789
; %bb.19782:                            ;   in Loop: Header=BB6_18303 Depth=3
	v_cmp_ne_u16_e32 vcc, s46, v30
	v_bfrev_b32_e32 v0, 1
	s_and_saveexec_b64 s[34:35], vcc
	s_cbranch_execz .LBB6_19788
; %bb.19783:                            ;   in Loop: Header=BB6_18303 Depth=3
	v_and_b32_e32 v0, 0x7c, v30
	v_and_b32_e32 v2, 3, v30
	v_cmp_ne_u32_e32 vcc, s86, v0
                                        ; implicit-def: $vgpr0
	s_and_saveexec_b64 s[62:63], vcc
	s_xor_b64 s[36:37], exec, s[62:63]
	s_cbranch_execz .LBB6_19785
; %bb.19784:                            ;   in Loop: Header=BB6_18303 Depth=3
	v_ffbh_u32_e32 v5, v2
	v_min_u32_e32 v5, 32, v5
	v_and_b32_e32 v0, 0xff, v30
	v_mov_b32_e32 v31, v33
	v_subrev_u32_e32 v7, 29, v5
	v_bfe_u32 v0, v0, 2, 5
	s_waitcnt vmcnt(0)
	v_lshlrev_b64 v[50:51], v7, v[30:31]
	v_sub_u32_e32 v5, 30, v5
	v_cmp_eq_u32_e32 vcc, 0, v0
	v_and_b32_e32 v7, 3, v50
	v_cndmask_b32_e32 v0, v0, v5, vcc
	v_and_b32_sdwa v5, sext(v30), s87 dst_sel:DWORD dst_unused:UNUSED_PAD src0_sel:WORD_0 src1_sel:DWORD
	v_cndmask_b32_e32 v2, v2, v7, vcc
	v_lshl_add_u32 v0, v0, 23, v5
	v_lshl_or_b32 v0, v2, 21, v0
	v_add_u32_e32 v0, 0x38000000, v0
                                        ; implicit-def: $vgpr2
                                        ; implicit-def: $vgpr30
.LBB6_19785:                            ;   in Loop: Header=BB6_18303 Depth=3
	s_andn2_saveexec_b64 s[36:37], s[36:37]
; %bb.19786:                            ;   in Loop: Header=BB6_18303 Depth=3
	v_cmp_lt_i16_e32 vcc, -1, v30
	v_mov_b32_e32 v0, 0xff800000
	v_mov_b32_e32 v5, 0x7f800000
	v_cndmask_b32_e32 v0, v0, v5, vcc
	v_cmp_eq_u32_e32 vcc, 0, v2
	v_mov_b32_e32 v2, 0x7f800001
	v_cndmask_b32_e32 v0, v2, v0, vcc
; %bb.19787:                            ;   in Loop: Header=BB6_18303 Depth=3
	s_or_b64 exec, exec, s[36:37]
.LBB6_19788:                            ;   in Loop: Header=BB6_18303 Depth=3
	s_or_b64 exec, exec, s[34:35]
.LBB6_19789:                            ;   in Loop: Header=BB6_18303 Depth=3
	s_or_b64 exec, exec, s[28:29]
	v_add_f32_e32 v2, v1, v0
	v_and_b32_e32 v30, 0x7f800000, v2
	v_mov_b32_e32 v31, v33
	v_cmp_ne_u64_e32 vcc, s[76:77], v[30:31]
	v_and_b32_e32 v0, 0x7fffff, v2
	v_mov_b32_e32 v1, v33
                                        ; implicit-def: $vgpr31
	s_and_saveexec_b64 s[28:29], vcc
	s_xor_b64 s[34:35], exec, s[28:29]
	s_cbranch_execz .LBB6_19807
; %bb.19790:                            ;   in Loop: Header=BB6_18303 Depth=3
	v_and_b32_e32 v30, 0x7fffffff, v2
	v_mov_b32_e32 v31, v33
	v_cmp_gt_u64_e32 vcc, s[78:79], v[30:31]
	v_and_b32_sdwa v5, v2, s97 dst_sel:DWORD dst_unused:UNUSED_PAD src0_sel:BYTE_3 src1_sel:DWORD
                                        ; implicit-def: $vgpr31
	s_and_saveexec_b64 s[28:29], vcc
	s_xor_b64 s[36:37], exec, s[28:29]
	s_cbranch_execz .LBB6_19804
; %bb.19791:                            ;   in Loop: Header=BB6_18303 Depth=3
	v_cmp_ne_u32_e32 vcc, 0, v2
	v_mov_b32_e32 v31, 0
	s_and_saveexec_b64 s[38:39], vcc
	s_cbranch_execz .LBB6_19803
; %bb.19792:                            ;   in Loop: Header=BB6_18303 Depth=3
	v_bfe_u32 v7, v2, 23, 8
	v_cmp_gt_u32_e64 s[28:29], s47, v7
	v_sub_u32_e32 v2, 0x71, v7
	v_cmp_eq_u32_e32 vcc, 0, v7
	v_cndmask_b32_e64 v2, 0, v2, s[28:29]
	v_mov_b32_e32 v23, 0x70
	v_cndmask_b32_e32 v23, v2, v23, vcc
	v_or_b32_e32 v30, 0x800000, v0
	v_add_u32_e32 v2, 21, v23
	v_cndmask_b32_e32 v0, v30, v0, vcc
	v_lshlrev_b64 v[30:31], v2, -1
	v_add_u32_e32 v2, 20, v23
	v_bfi_b32 v30, v30, 0, v0
	s_waitcnt vmcnt(0)
	v_lshlrev_b64 v[50:51], v2, 1
	v_lshrrev_b64 v[0:1], v23, v[0:1]
	v_bfi_b32 v31, v31, 0, 0
	v_cmp_eq_u64_e64 s[28:29], v[30:31], v[50:51]
	v_mov_b32_e32 v2, v1
	v_mov_b32_e32 v1, v0
	s_and_saveexec_b64 s[48:49], s[28:29]
; %bb.19793:                            ;   in Loop: Header=BB6_18303 Depth=3
	v_bfe_u32 v1, v0, 21, 1
	v_add_co_u32_e64 v1, s[28:29], v0, v1
	v_add_co_u32_e64 v1, s[28:29], -1, v1
; %bb.19794:                            ;   in Loop: Header=BB6_18303 Depth=3
	s_or_b64 exec, exec, s[48:49]
	v_add_u32_e32 v2, 0xffffff81, v7
	v_mov_b32_e32 v7, 0xffffff82
	v_cndmask_b32_e32 v2, v2, v7, vcc
	v_lshrrev_b32_e32 v7, 23, v0
	v_add3_u32 v23, v23, v2, v7
	v_add_u32_e32 v7, 14, v23
	v_and_b32_e32 v1, 0x1fffff, v1
	v_add_u32_e32 v0, v1, v0
	v_mov_b32_e32 v1, v33
	v_cmp_ne_u32_e32 vcc, 0, v7
                                        ; implicit-def: $vgpr2
	s_and_saveexec_b64 s[28:29], vcc
	s_xor_b64 s[28:29], exec, s[28:29]
; %bb.19795:                            ;   in Loop: Header=BB6_18303 Depth=3
	v_cmp_lt_u64_e32 vcc, s[88:89], v[0:1]
	v_add_u32_e32 v2, 15, v23
	v_cndmask_b32_e32 v2, v7, v2, vcc
	v_cndmask_b32_e64 v7, 0, 1, vcc
	v_lshrrev_b64 v[0:1], v7, v[0:1]
; %bb.19796:                            ;   in Loop: Header=BB6_18303 Depth=3
	s_andn2_saveexec_b64 s[28:29], s[28:29]
; %bb.19797:                            ;   in Loop: Header=BB6_18303 Depth=3
	v_bfe_u32 v2, v0, 23, 1
; %bb.19798:                            ;   in Loop: Header=BB6_18303 Depth=3
	s_or_b64 exec, exec, s[28:29]
	v_lshrrev_b64 v[0:1], 21, v[0:1]
	v_cmp_gt_i32_e32 vcc, 32, v2
	v_cndmask_b32_e32 v1, 0, v1, vcc
	v_cndmask_b32_e32 v0, 3, v0, vcc
	v_cmp_ne_u64_e32 vcc, 0, v[0:1]
	v_cmp_ne_u32_e64 s[28:29], 0, v2
	s_or_b64 s[28:29], s[28:29], vcc
                                        ; implicit-def: $vgpr31
	s_and_saveexec_b64 s[62:63], s[28:29]
	s_xor_b64 s[28:29], exec, s[62:63]
; %bb.19799:                            ;   in Loop: Header=BB6_18303 Depth=3
	v_min_i32_e32 v1, 31, v2
	v_lshl_or_b32 v1, v1, 2, v5
	v_and_or_b32 v31, v0, 3, v1
                                        ; implicit-def: $vgpr5
; %bb.19800:                            ;   in Loop: Header=BB6_18303 Depth=3
	s_andn2_saveexec_b64 s[28:29], s[28:29]
; %bb.19801:                            ;   in Loop: Header=BB6_18303 Depth=3
	v_mov_b32_e32 v31, v5
; %bb.19802:                            ;   in Loop: Header=BB6_18303 Depth=3
	s_or_b64 exec, exec, s[28:29]
.LBB6_19803:                            ;   in Loop: Header=BB6_18303 Depth=3
	s_or_b64 exec, exec, s[38:39]
                                        ; implicit-def: $vgpr5
.LBB6_19804:                            ;   in Loop: Header=BB6_18303 Depth=3
	s_andn2_saveexec_b64 s[28:29], s[36:37]
; %bb.19805:                            ;   in Loop: Header=BB6_18303 Depth=3
	v_or_b32_e32 v31, 0x7b, v5
; %bb.19806:                            ;   in Loop: Header=BB6_18303 Depth=3
	s_or_b64 exec, exec, s[28:29]
                                        ; implicit-def: $vgpr2
                                        ; implicit-def: $vgpr0_vgpr1
.LBB6_19807:                            ;   in Loop: Header=BB6_18303 Depth=3
	s_andn2_saveexec_b64 s[28:29], s[34:35]
	s_cbranch_execz .LBB6_19813
; %bb.19808:                            ;   in Loop: Header=BB6_18303 Depth=3
	v_cmp_ne_u64_e32 vcc, 0, v[0:1]
                                        ; implicit-def: $vgpr31
	s_and_saveexec_b64 s[62:63], vcc
	s_xor_b64 vcc, exec, s[62:63]
; %bb.19809:                            ;   in Loop: Header=BB6_18303 Depth=3
	v_or_b32_sdwa v31, v2, s44 dst_sel:DWORD dst_unused:UNUSED_PAD src0_sel:BYTE_3 src1_sel:DWORD
                                        ; implicit-def: $vgpr2
; %bb.19810:                            ;   in Loop: Header=BB6_18303 Depth=3
	s_andn2_saveexec_b64 s[34:35], vcc
; %bb.19811:                            ;   in Loop: Header=BB6_18303 Depth=3
	v_cmp_lt_i32_e32 vcc, -1, v2
	v_mov_b32_e32 v0, 0x7c
	v_cndmask_b32_e32 v31, -4, v0, vcc
; %bb.19812:                            ;   in Loop: Header=BB6_18303 Depth=3
	s_or_b64 exec, exec, s[34:35]
.LBB6_19813:                            ;   in Loop: Header=BB6_18303 Depth=3
	s_or_b64 exec, exec, s[28:29]
	buffer_load_dword v0, off, s[0:3], s33 offset:228 ; 4-byte Folded Reload
	buffer_load_dword v1, off, s[0:3], s33 offset:232 ; 4-byte Folded Reload
	s_waitcnt vmcnt(0)
	v_mov_b32_e32 v1, 0
	v_and_b32_e32 v5, 0xff, v0
	v_cmp_ne_u16_e32 vcc, 0, v5
	v_mov_b32_e32 v0, 0
	s_and_saveexec_b64 s[28:29], vcc
	s_cbranch_execz .LBB6_19821
; %bb.19814:                            ;   in Loop: Header=BB6_18303 Depth=3
	v_cmp_ne_u16_e32 vcc, s97, v5
	v_bfrev_b32_e32 v1, 1
	s_and_saveexec_b64 s[34:35], vcc
	s_cbranch_execz .LBB6_19820
; %bb.19815:                            ;   in Loop: Header=BB6_18303 Depth=3
	buffer_load_dword v1, off, s[0:3], s33 offset:228 ; 4-byte Folded Reload
	buffer_load_dword v2, off, s[0:3], s33 offset:232 ; 4-byte Folded Reload
	s_waitcnt vmcnt(0)
	v_and_b32_e32 v2, 3, v1
	v_and_b32_e32 v1, 0x7c, v1
	v_cmp_ne_u32_e32 vcc, s86, v1
                                        ; implicit-def: $vgpr1
	s_and_saveexec_b64 s[62:63], vcc
	s_xor_b64 s[36:37], exec, s[62:63]
	s_cbranch_execz .LBB6_19817
; %bb.19816:                            ;   in Loop: Header=BB6_18303 Depth=3
	buffer_load_dword v52, off, s[0:3], s33 offset:228 ; 4-byte Folded Reload
	buffer_load_dword v53, off, s[0:3], s33 offset:232 ; 4-byte Folded Reload
	v_bfe_u32 v1, v5, 2, 5
	v_ffbh_u32_e32 v5, v2
	v_min_u32_e32 v5, 32, v5
	s_waitcnt vmcnt(0)
	v_mov_b32_e32 v53, v33
	v_subrev_u32_e32 v7, 29, v5
	v_sub_u32_e32 v5, 30, v5
	v_cmp_eq_u32_e32 vcc, 0, v1
	v_cndmask_b32_e32 v1, v1, v5, vcc
	v_lshlrev_b32_e32 v5, 24, v52
	v_lshlrev_b64 v[50:51], v7, v[52:53]
	v_and_b32_e32 v5, 0x80000000, v5
	v_and_b32_e32 v7, 3, v50
	v_cndmask_b32_e32 v2, v2, v7, vcc
	v_lshl_add_u32 v1, v1, 23, v5
	v_lshl_or_b32 v1, v2, 21, v1
	v_add_u32_e32 v1, 0x38000000, v1
                                        ; implicit-def: $vgpr5
                                        ; implicit-def: $vgpr2
	buffer_store_dword v5, off, s[0:3], s33 offset:228 ; 4-byte Folded Spill
	s_nop 0
	buffer_store_dword v6, off, s[0:3], s33 offset:232 ; 4-byte Folded Spill
.LBB6_19817:                            ;   in Loop: Header=BB6_18303 Depth=3
	s_andn2_saveexec_b64 s[36:37], s[36:37]
	s_cbranch_execz .LBB6_19819
; %bb.19818:                            ;   in Loop: Header=BB6_18303 Depth=3
	buffer_load_dword v50, off, s[0:3], s33 offset:228 ; 4-byte Folded Reload
	buffer_load_dword v51, off, s[0:3], s33 offset:232 ; 4-byte Folded Reload
	v_mov_b32_e32 v1, -1
	v_mov_b32_e32 v5, 0x7f800000
	s_waitcnt vmcnt(1)
	v_cmp_gt_i16_sdwa vcc, sext(v50), v1 src0_sel:BYTE_0 src1_sel:DWORD
	v_mov_b32_e32 v1, 0xff800000
	v_cndmask_b32_e32 v1, v1, v5, vcc
	v_cmp_eq_u32_e32 vcc, 0, v2
	v_mov_b32_e32 v2, 0x7f800001
	v_cndmask_b32_e32 v1, v2, v1, vcc
.LBB6_19819:                            ;   in Loop: Header=BB6_18303 Depth=3
	s_or_b64 exec, exec, s[36:37]
.LBB6_19820:                            ;   in Loop: Header=BB6_18303 Depth=3
	s_or_b64 exec, exec, s[34:35]
.LBB6_19821:                            ;   in Loop: Header=BB6_18303 Depth=3
	s_or_b64 exec, exec, s[28:29]
	v_cmp_ne_u16_e32 vcc, 0, v29
	s_and_saveexec_b64 s[28:29], vcc
	s_cbranch_execz .LBB6_19829
; %bb.19822:                            ;   in Loop: Header=BB6_18303 Depth=3
	v_cmp_ne_u16_e32 vcc, s46, v29
	v_bfrev_b32_e32 v0, 1
	s_and_saveexec_b64 s[34:35], vcc
	s_cbranch_execz .LBB6_19828
; %bb.19823:                            ;   in Loop: Header=BB6_18303 Depth=3
	v_and_b32_e32 v0, 0x7c, v29
	v_and_b32_e32 v2, 3, v29
	v_cmp_ne_u32_e32 vcc, s86, v0
                                        ; implicit-def: $vgpr0
	s_and_saveexec_b64 s[62:63], vcc
	s_xor_b64 s[36:37], exec, s[62:63]
	s_cbranch_execz .LBB6_19825
; %bb.19824:                            ;   in Loop: Header=BB6_18303 Depth=3
	v_ffbh_u32_e32 v5, v2
	v_min_u32_e32 v5, 32, v5
	v_and_b32_e32 v0, 0xff, v29
	v_mov_b32_e32 v30, v33
	v_subrev_u32_e32 v7, 29, v5
	v_bfe_u32 v0, v0, 2, 5
	s_waitcnt vmcnt(0)
	v_lshlrev_b64 v[50:51], v7, v[29:30]
	v_sub_u32_e32 v5, 30, v5
	v_cmp_eq_u32_e32 vcc, 0, v0
	v_and_b32_e32 v7, 3, v50
	v_cndmask_b32_e32 v0, v0, v5, vcc
	v_and_b32_sdwa v5, sext(v29), s87 dst_sel:DWORD dst_unused:UNUSED_PAD src0_sel:WORD_0 src1_sel:DWORD
	v_cndmask_b32_e32 v2, v2, v7, vcc
	v_lshl_add_u32 v0, v0, 23, v5
	v_lshl_or_b32 v0, v2, 21, v0
	v_add_u32_e32 v0, 0x38000000, v0
                                        ; implicit-def: $vgpr2
                                        ; implicit-def: $vgpr29
.LBB6_19825:                            ;   in Loop: Header=BB6_18303 Depth=3
	s_andn2_saveexec_b64 s[36:37], s[36:37]
; %bb.19826:                            ;   in Loop: Header=BB6_18303 Depth=3
	v_cmp_lt_i16_e32 vcc, -1, v29
	v_mov_b32_e32 v0, 0xff800000
	v_mov_b32_e32 v5, 0x7f800000
	v_cndmask_b32_e32 v0, v0, v5, vcc
	v_cmp_eq_u32_e32 vcc, 0, v2
	v_mov_b32_e32 v2, 0x7f800001
	v_cndmask_b32_e32 v0, v2, v0, vcc
; %bb.19827:                            ;   in Loop: Header=BB6_18303 Depth=3
	s_or_b64 exec, exec, s[36:37]
.LBB6_19828:                            ;   in Loop: Header=BB6_18303 Depth=3
	s_or_b64 exec, exec, s[34:35]
.LBB6_19829:                            ;   in Loop: Header=BB6_18303 Depth=3
	s_or_b64 exec, exec, s[28:29]
	v_add_f32_e32 v2, v1, v0
	v_and_b32_e32 v29, 0x7f800000, v2
	v_mov_b32_e32 v30, v33
	v_cmp_ne_u64_e32 vcc, s[76:77], v[29:30]
	v_and_b32_e32 v0, 0x7fffff, v2
	v_mov_b32_e32 v1, v33
                                        ; implicit-def: $vgpr30
	s_and_saveexec_b64 s[28:29], vcc
	s_xor_b64 s[34:35], exec, s[28:29]
	s_cbranch_execz .LBB6_19847
; %bb.19830:                            ;   in Loop: Header=BB6_18303 Depth=3
	v_and_b32_e32 v29, 0x7fffffff, v2
	v_mov_b32_e32 v30, v33
	v_cmp_gt_u64_e32 vcc, s[78:79], v[29:30]
	v_and_b32_sdwa v5, v2, s97 dst_sel:DWORD dst_unused:UNUSED_PAD src0_sel:BYTE_3 src1_sel:DWORD
                                        ; implicit-def: $vgpr30
	s_and_saveexec_b64 s[28:29], vcc
	s_xor_b64 s[36:37], exec, s[28:29]
	s_cbranch_execz .LBB6_19844
; %bb.19831:                            ;   in Loop: Header=BB6_18303 Depth=3
	v_cmp_ne_u32_e32 vcc, 0, v2
	v_mov_b32_e32 v30, 0
	s_and_saveexec_b64 s[38:39], vcc
	s_cbranch_execz .LBB6_19843
; %bb.19832:                            ;   in Loop: Header=BB6_18303 Depth=3
	v_bfe_u32 v7, v2, 23, 8
	v_cmp_gt_u32_e64 s[28:29], s47, v7
	v_sub_u32_e32 v2, 0x71, v7
	v_cmp_eq_u32_e32 vcc, 0, v7
	v_cndmask_b32_e64 v2, 0, v2, s[28:29]
	v_mov_b32_e32 v23, 0x70
	v_cndmask_b32_e32 v23, v2, v23, vcc
	v_or_b32_e32 v29, 0x800000, v0
	v_add_u32_e32 v2, 21, v23
	v_cndmask_b32_e32 v0, v29, v0, vcc
	v_lshlrev_b64 v[29:30], v2, -1
	v_add_u32_e32 v2, 20, v23
	v_bfi_b32 v29, v29, 0, v0
	s_waitcnt vmcnt(0)
	v_lshlrev_b64 v[50:51], v2, 1
	v_lshrrev_b64 v[0:1], v23, v[0:1]
	v_bfi_b32 v30, v30, 0, 0
	v_cmp_eq_u64_e64 s[28:29], v[29:30], v[50:51]
	v_mov_b32_e32 v2, v1
	v_mov_b32_e32 v1, v0
	s_and_saveexec_b64 s[48:49], s[28:29]
; %bb.19833:                            ;   in Loop: Header=BB6_18303 Depth=3
	v_bfe_u32 v1, v0, 21, 1
	v_add_co_u32_e64 v1, s[28:29], v0, v1
	v_add_co_u32_e64 v1, s[28:29], -1, v1
; %bb.19834:                            ;   in Loop: Header=BB6_18303 Depth=3
	s_or_b64 exec, exec, s[48:49]
	v_add_u32_e32 v2, 0xffffff81, v7
	v_mov_b32_e32 v7, 0xffffff82
	v_cndmask_b32_e32 v2, v2, v7, vcc
	v_lshrrev_b32_e32 v7, 23, v0
	v_add3_u32 v23, v23, v2, v7
	v_add_u32_e32 v7, 14, v23
	v_and_b32_e32 v1, 0x1fffff, v1
	v_add_u32_e32 v0, v1, v0
	v_mov_b32_e32 v1, v33
	v_cmp_ne_u32_e32 vcc, 0, v7
                                        ; implicit-def: $vgpr2
	s_and_saveexec_b64 s[28:29], vcc
	s_xor_b64 s[28:29], exec, s[28:29]
; %bb.19835:                            ;   in Loop: Header=BB6_18303 Depth=3
	v_cmp_lt_u64_e32 vcc, s[88:89], v[0:1]
	v_add_u32_e32 v2, 15, v23
	v_cndmask_b32_e32 v2, v7, v2, vcc
	v_cndmask_b32_e64 v7, 0, 1, vcc
	v_lshrrev_b64 v[0:1], v7, v[0:1]
; %bb.19836:                            ;   in Loop: Header=BB6_18303 Depth=3
	s_andn2_saveexec_b64 s[28:29], s[28:29]
; %bb.19837:                            ;   in Loop: Header=BB6_18303 Depth=3
	v_bfe_u32 v2, v0, 23, 1
; %bb.19838:                            ;   in Loop: Header=BB6_18303 Depth=3
	s_or_b64 exec, exec, s[28:29]
	v_lshrrev_b64 v[0:1], 21, v[0:1]
	v_cmp_gt_i32_e32 vcc, 32, v2
	v_cndmask_b32_e32 v1, 0, v1, vcc
	v_cndmask_b32_e32 v0, 3, v0, vcc
	v_cmp_ne_u64_e32 vcc, 0, v[0:1]
	v_cmp_ne_u32_e64 s[28:29], 0, v2
	s_or_b64 s[28:29], s[28:29], vcc
                                        ; implicit-def: $vgpr30
	s_and_saveexec_b64 s[62:63], s[28:29]
	s_xor_b64 s[28:29], exec, s[62:63]
; %bb.19839:                            ;   in Loop: Header=BB6_18303 Depth=3
	v_min_i32_e32 v1, 31, v2
	v_lshl_or_b32 v1, v1, 2, v5
	v_and_or_b32 v30, v0, 3, v1
                                        ; implicit-def: $vgpr5
; %bb.19840:                            ;   in Loop: Header=BB6_18303 Depth=3
	s_andn2_saveexec_b64 s[28:29], s[28:29]
; %bb.19841:                            ;   in Loop: Header=BB6_18303 Depth=3
	v_mov_b32_e32 v30, v5
; %bb.19842:                            ;   in Loop: Header=BB6_18303 Depth=3
	s_or_b64 exec, exec, s[28:29]
.LBB6_19843:                            ;   in Loop: Header=BB6_18303 Depth=3
	s_or_b64 exec, exec, s[38:39]
                                        ; implicit-def: $vgpr5
.LBB6_19844:                            ;   in Loop: Header=BB6_18303 Depth=3
	s_andn2_saveexec_b64 s[28:29], s[36:37]
; %bb.19845:                            ;   in Loop: Header=BB6_18303 Depth=3
	v_or_b32_e32 v30, 0x7b, v5
; %bb.19846:                            ;   in Loop: Header=BB6_18303 Depth=3
	s_or_b64 exec, exec, s[28:29]
                                        ; implicit-def: $vgpr2
                                        ; implicit-def: $vgpr0_vgpr1
.LBB6_19847:                            ;   in Loop: Header=BB6_18303 Depth=3
	s_andn2_saveexec_b64 s[28:29], s[34:35]
	s_cbranch_execz .LBB6_19853
; %bb.19848:                            ;   in Loop: Header=BB6_18303 Depth=3
	v_cmp_ne_u64_e32 vcc, 0, v[0:1]
                                        ; implicit-def: $vgpr30
	s_and_saveexec_b64 s[62:63], vcc
	s_xor_b64 vcc, exec, s[62:63]
; %bb.19849:                            ;   in Loop: Header=BB6_18303 Depth=3
	v_or_b32_sdwa v30, v2, s44 dst_sel:DWORD dst_unused:UNUSED_PAD src0_sel:BYTE_3 src1_sel:DWORD
                                        ; implicit-def: $vgpr2
; %bb.19850:                            ;   in Loop: Header=BB6_18303 Depth=3
	s_andn2_saveexec_b64 s[34:35], vcc
; %bb.19851:                            ;   in Loop: Header=BB6_18303 Depth=3
	v_cmp_lt_i32_e32 vcc, -1, v2
	v_mov_b32_e32 v0, 0x7c
	v_cndmask_b32_e32 v30, -4, v0, vcc
; %bb.19852:                            ;   in Loop: Header=BB6_18303 Depth=3
	s_or_b64 exec, exec, s[34:35]
.LBB6_19853:                            ;   in Loop: Header=BB6_18303 Depth=3
	s_or_b64 exec, exec, s[28:29]
	buffer_load_dword v0, off, s[0:3], s33 offset:220 ; 4-byte Folded Reload
	buffer_load_dword v1, off, s[0:3], s33 offset:224 ; 4-byte Folded Reload
	s_waitcnt vmcnt(0)
	v_mov_b32_e32 v1, 0
	v_and_b32_e32 v5, 0xff, v0
	v_cmp_ne_u16_e32 vcc, 0, v5
	v_mov_b32_e32 v0, 0
	s_and_saveexec_b64 s[28:29], vcc
	s_cbranch_execz .LBB6_19861
; %bb.19854:                            ;   in Loop: Header=BB6_18303 Depth=3
	v_cmp_ne_u16_e32 vcc, s97, v5
	v_bfrev_b32_e32 v1, 1
	s_and_saveexec_b64 s[34:35], vcc
	s_cbranch_execz .LBB6_19860
; %bb.19855:                            ;   in Loop: Header=BB6_18303 Depth=3
	buffer_load_dword v1, off, s[0:3], s33 offset:220 ; 4-byte Folded Reload
	buffer_load_dword v2, off, s[0:3], s33 offset:224 ; 4-byte Folded Reload
	s_waitcnt vmcnt(0)
	v_and_b32_e32 v2, 3, v1
	v_and_b32_e32 v1, 0x7c, v1
	v_cmp_ne_u32_e32 vcc, s86, v1
                                        ; implicit-def: $vgpr1
	s_and_saveexec_b64 s[62:63], vcc
	s_xor_b64 s[36:37], exec, s[62:63]
	s_cbranch_execz .LBB6_19857
; %bb.19856:                            ;   in Loop: Header=BB6_18303 Depth=3
	buffer_load_dword v52, off, s[0:3], s33 offset:220 ; 4-byte Folded Reload
	buffer_load_dword v53, off, s[0:3], s33 offset:224 ; 4-byte Folded Reload
	v_bfe_u32 v1, v5, 2, 5
	v_ffbh_u32_e32 v5, v2
	v_min_u32_e32 v5, 32, v5
	s_waitcnt vmcnt(0)
	v_mov_b32_e32 v53, v33
	v_subrev_u32_e32 v7, 29, v5
	v_sub_u32_e32 v5, 30, v5
	v_cmp_eq_u32_e32 vcc, 0, v1
	v_cndmask_b32_e32 v1, v1, v5, vcc
	v_lshlrev_b32_e32 v5, 24, v52
	v_lshlrev_b64 v[50:51], v7, v[52:53]
	v_and_b32_e32 v5, 0x80000000, v5
	v_and_b32_e32 v7, 3, v50
	v_cndmask_b32_e32 v2, v2, v7, vcc
	v_lshl_add_u32 v1, v1, 23, v5
	v_lshl_or_b32 v1, v2, 21, v1
	v_add_u32_e32 v1, 0x38000000, v1
                                        ; implicit-def: $vgpr5
                                        ; implicit-def: $vgpr2
	buffer_store_dword v5, off, s[0:3], s33 offset:220 ; 4-byte Folded Spill
	s_nop 0
	buffer_store_dword v6, off, s[0:3], s33 offset:224 ; 4-byte Folded Spill
.LBB6_19857:                            ;   in Loop: Header=BB6_18303 Depth=3
	s_andn2_saveexec_b64 s[36:37], s[36:37]
	s_cbranch_execz .LBB6_19859
; %bb.19858:                            ;   in Loop: Header=BB6_18303 Depth=3
	buffer_load_dword v50, off, s[0:3], s33 offset:220 ; 4-byte Folded Reload
	buffer_load_dword v51, off, s[0:3], s33 offset:224 ; 4-byte Folded Reload
	v_mov_b32_e32 v1, -1
	v_mov_b32_e32 v5, 0x7f800000
	s_waitcnt vmcnt(1)
	v_cmp_gt_i16_sdwa vcc, sext(v50), v1 src0_sel:BYTE_0 src1_sel:DWORD
	v_mov_b32_e32 v1, 0xff800000
	v_cndmask_b32_e32 v1, v1, v5, vcc
	v_cmp_eq_u32_e32 vcc, 0, v2
	v_mov_b32_e32 v2, 0x7f800001
	v_cndmask_b32_e32 v1, v2, v1, vcc
.LBB6_19859:                            ;   in Loop: Header=BB6_18303 Depth=3
	s_or_b64 exec, exec, s[36:37]
.LBB6_19860:                            ;   in Loop: Header=BB6_18303 Depth=3
	s_or_b64 exec, exec, s[34:35]
.LBB6_19861:                            ;   in Loop: Header=BB6_18303 Depth=3
	s_or_b64 exec, exec, s[28:29]
	v_cmp_ne_u16_e32 vcc, 0, v4
	s_and_saveexec_b64 s[28:29], vcc
	s_cbranch_execz .LBB6_19869
; %bb.19862:                            ;   in Loop: Header=BB6_18303 Depth=3
	v_cmp_ne_u16_e32 vcc, s46, v4
	v_bfrev_b32_e32 v0, 1
	s_and_saveexec_b64 s[34:35], vcc
	s_cbranch_execz .LBB6_19868
; %bb.19863:                            ;   in Loop: Header=BB6_18303 Depth=3
	v_and_b32_e32 v0, 0x7c, v4
	v_and_b32_e32 v2, 3, v4
	v_cmp_ne_u32_e32 vcc, s86, v0
                                        ; implicit-def: $vgpr0
	s_and_saveexec_b64 s[62:63], vcc
	s_xor_b64 s[36:37], exec, s[62:63]
	s_cbranch_execz .LBB6_19865
; %bb.19864:                            ;   in Loop: Header=BB6_18303 Depth=3
	v_ffbh_u32_e32 v7, v2
	v_min_u32_e32 v7, 32, v7
	v_and_b32_e32 v0, 0xff, v4
	v_mov_b32_e32 v5, v33
	v_subrev_u32_e32 v23, 29, v7
	v_bfe_u32 v0, v0, 2, 5
	s_waitcnt vmcnt(0)
	v_lshlrev_b64 v[50:51], v23, v[4:5]
	v_sub_u32_e32 v5, 30, v7
	v_cmp_eq_u32_e32 vcc, 0, v0
	v_and_b32_e32 v7, 3, v50
	v_cndmask_b32_e32 v0, v0, v5, vcc
	v_and_b32_sdwa v4, sext(v4), s87 dst_sel:DWORD dst_unused:UNUSED_PAD src0_sel:WORD_0 src1_sel:DWORD
	v_cndmask_b32_e32 v2, v2, v7, vcc
	v_lshl_add_u32 v0, v0, 23, v4
	v_lshl_or_b32 v0, v2, 21, v0
	v_add_u32_e32 v0, 0x38000000, v0
                                        ; implicit-def: $vgpr2
                                        ; implicit-def: $vgpr4
.LBB6_19865:                            ;   in Loop: Header=BB6_18303 Depth=3
	s_andn2_saveexec_b64 s[36:37], s[36:37]
; %bb.19866:                            ;   in Loop: Header=BB6_18303 Depth=3
	v_cmp_lt_i16_e32 vcc, -1, v4
	v_mov_b32_e32 v0, 0xff800000
	v_mov_b32_e32 v4, 0x7f800000
	v_cndmask_b32_e32 v0, v0, v4, vcc
	v_cmp_eq_u32_e32 vcc, 0, v2
	v_mov_b32_e32 v2, 0x7f800001
	v_cndmask_b32_e32 v0, v2, v0, vcc
; %bb.19867:                            ;   in Loop: Header=BB6_18303 Depth=3
	s_or_b64 exec, exec, s[36:37]
.LBB6_19868:                            ;   in Loop: Header=BB6_18303 Depth=3
	s_or_b64 exec, exec, s[34:35]
.LBB6_19869:                            ;   in Loop: Header=BB6_18303 Depth=3
	s_or_b64 exec, exec, s[28:29]
	v_add_f32_e32 v2, v1, v0
	v_and_b32_e32 v4, 0x7f800000, v2
	v_mov_b32_e32 v5, v33
	v_cmp_ne_u64_e32 vcc, s[76:77], v[4:5]
	v_and_b32_e32 v0, 0x7fffff, v2
	v_mov_b32_e32 v1, v33
                                        ; implicit-def: $vgpr5
	s_and_saveexec_b64 s[28:29], vcc
	s_xor_b64 s[34:35], exec, s[28:29]
	s_cbranch_execz .LBB6_19887
; %bb.19870:                            ;   in Loop: Header=BB6_18303 Depth=3
	v_and_b32_e32 v4, 0x7fffffff, v2
	v_mov_b32_e32 v5, v33
	v_cmp_gt_u64_e32 vcc, s[78:79], v[4:5]
	v_and_b32_sdwa v4, v2, s97 dst_sel:DWORD dst_unused:UNUSED_PAD src0_sel:BYTE_3 src1_sel:DWORD
                                        ; implicit-def: $vgpr5
	s_and_saveexec_b64 s[28:29], vcc
	s_xor_b64 s[36:37], exec, s[28:29]
	s_cbranch_execz .LBB6_19884
; %bb.19871:                            ;   in Loop: Header=BB6_18303 Depth=3
	v_cmp_ne_u32_e32 vcc, 0, v2
	v_mov_b32_e32 v5, 0
	s_and_saveexec_b64 s[38:39], vcc
	s_cbranch_execz .LBB6_19883
; %bb.19872:                            ;   in Loop: Header=BB6_18303 Depth=3
	v_bfe_u32 v5, v2, 23, 8
	v_cmp_gt_u32_e64 s[28:29], s47, v5
	v_sub_u32_e32 v2, 0x71, v5
	v_cmp_eq_u32_e32 vcc, 0, v5
	v_cndmask_b32_e64 v2, 0, v2, s[28:29]
	v_mov_b32_e32 v7, 0x70
	v_cndmask_b32_e32 v7, v2, v7, vcc
	v_add_u32_e32 v2, 21, v7
	v_or_b32_e32 v23, 0x800000, v0
	s_waitcnt vmcnt(0)
	v_lshlrev_b64 v[50:51], v2, -1
	v_cndmask_b32_e32 v0, v23, v0, vcc
	v_add_u32_e32 v2, 20, v7
	v_bfi_b32 v50, v50, 0, v0
	v_lshlrev_b64 v[52:53], v2, 1
	v_lshrrev_b64 v[0:1], v7, v[0:1]
	v_bfi_b32 v51, v51, 0, 0
	v_cmp_eq_u64_e64 s[28:29], v[50:51], v[52:53]
	v_mov_b32_e32 v2, v1
	v_mov_b32_e32 v1, v0
	s_and_saveexec_b64 s[48:49], s[28:29]
; %bb.19873:                            ;   in Loop: Header=BB6_18303 Depth=3
	v_bfe_u32 v1, v0, 21, 1
	v_add_co_u32_e64 v1, s[28:29], v0, v1
	v_add_co_u32_e64 v1, s[28:29], -1, v1
; %bb.19874:                            ;   in Loop: Header=BB6_18303 Depth=3
	s_or_b64 exec, exec, s[48:49]
	v_add_u32_e32 v2, 0xffffff81, v5
	v_mov_b32_e32 v5, 0xffffff82
	v_cndmask_b32_e32 v2, v2, v5, vcc
	v_lshrrev_b32_e32 v5, 23, v0
	v_add3_u32 v7, v7, v2, v5
	v_add_u32_e32 v5, 14, v7
	v_and_b32_e32 v1, 0x1fffff, v1
	v_add_u32_e32 v0, v1, v0
	v_mov_b32_e32 v1, v33
	v_cmp_ne_u32_e32 vcc, 0, v5
                                        ; implicit-def: $vgpr2
	s_and_saveexec_b64 s[28:29], vcc
	s_xor_b64 s[28:29], exec, s[28:29]
; %bb.19875:                            ;   in Loop: Header=BB6_18303 Depth=3
	v_cmp_lt_u64_e32 vcc, s[88:89], v[0:1]
	v_add_u32_e32 v2, 15, v7
	v_cndmask_b32_e32 v2, v5, v2, vcc
	v_cndmask_b32_e64 v5, 0, 1, vcc
	v_lshrrev_b64 v[0:1], v5, v[0:1]
; %bb.19876:                            ;   in Loop: Header=BB6_18303 Depth=3
	s_andn2_saveexec_b64 s[28:29], s[28:29]
; %bb.19877:                            ;   in Loop: Header=BB6_18303 Depth=3
	v_bfe_u32 v2, v0, 23, 1
; %bb.19878:                            ;   in Loop: Header=BB6_18303 Depth=3
	s_or_b64 exec, exec, s[28:29]
	v_lshrrev_b64 v[0:1], 21, v[0:1]
	v_cmp_gt_i32_e32 vcc, 32, v2
	v_cndmask_b32_e32 v1, 0, v1, vcc
	v_cndmask_b32_e32 v0, 3, v0, vcc
	v_cmp_ne_u64_e32 vcc, 0, v[0:1]
	v_cmp_ne_u32_e64 s[28:29], 0, v2
	s_or_b64 s[28:29], s[28:29], vcc
                                        ; implicit-def: $vgpr5
	s_and_saveexec_b64 s[62:63], s[28:29]
	s_xor_b64 s[28:29], exec, s[62:63]
; %bb.19879:                            ;   in Loop: Header=BB6_18303 Depth=3
	v_min_i32_e32 v1, 31, v2
	v_lshl_or_b32 v1, v1, 2, v4
	v_and_or_b32 v5, v0, 3, v1
                                        ; implicit-def: $vgpr4
; %bb.19880:                            ;   in Loop: Header=BB6_18303 Depth=3
	s_andn2_saveexec_b64 s[28:29], s[28:29]
; %bb.19881:                            ;   in Loop: Header=BB6_18303 Depth=3
	v_mov_b32_e32 v5, v4
; %bb.19882:                            ;   in Loop: Header=BB6_18303 Depth=3
	s_or_b64 exec, exec, s[28:29]
.LBB6_19883:                            ;   in Loop: Header=BB6_18303 Depth=3
	s_or_b64 exec, exec, s[38:39]
                                        ; implicit-def: $vgpr4
.LBB6_19884:                            ;   in Loop: Header=BB6_18303 Depth=3
	s_andn2_saveexec_b64 s[28:29], s[36:37]
; %bb.19885:                            ;   in Loop: Header=BB6_18303 Depth=3
	v_or_b32_e32 v5, 0x7b, v4
; %bb.19886:                            ;   in Loop: Header=BB6_18303 Depth=3
	s_or_b64 exec, exec, s[28:29]
                                        ; implicit-def: $vgpr2
                                        ; implicit-def: $vgpr0_vgpr1
.LBB6_19887:                            ;   in Loop: Header=BB6_18303 Depth=3
	s_andn2_saveexec_b64 s[28:29], s[34:35]
	s_cbranch_execz .LBB6_19893
; %bb.19888:                            ;   in Loop: Header=BB6_18303 Depth=3
	v_cmp_ne_u64_e32 vcc, 0, v[0:1]
                                        ; implicit-def: $vgpr5
	s_and_saveexec_b64 s[62:63], vcc
	s_xor_b64 vcc, exec, s[62:63]
; %bb.19889:                            ;   in Loop: Header=BB6_18303 Depth=3
	v_or_b32_sdwa v5, v2, s44 dst_sel:DWORD dst_unused:UNUSED_PAD src0_sel:BYTE_3 src1_sel:DWORD
                                        ; implicit-def: $vgpr2
; %bb.19890:                            ;   in Loop: Header=BB6_18303 Depth=3
	s_andn2_saveexec_b64 s[34:35], vcc
; %bb.19891:                            ;   in Loop: Header=BB6_18303 Depth=3
	v_cmp_lt_i32_e32 vcc, -1, v2
	v_mov_b32_e32 v0, 0x7c
	v_cndmask_b32_e32 v5, -4, v0, vcc
; %bb.19892:                            ;   in Loop: Header=BB6_18303 Depth=3
	s_or_b64 exec, exec, s[34:35]
.LBB6_19893:                            ;   in Loop: Header=BB6_18303 Depth=3
	s_or_b64 exec, exec, s[28:29]
	buffer_load_dword v0, off, s[0:3], s33 offset:212 ; 4-byte Folded Reload
	buffer_load_dword v1, off, s[0:3], s33 offset:216 ; 4-byte Folded Reload
	s_waitcnt vmcnt(0)
	v_mov_b32_e32 v1, 0
	v_and_b32_e32 v4, 0xff, v0
	v_cmp_ne_u16_e32 vcc, 0, v4
	v_mov_b32_e32 v0, 0
	s_and_saveexec_b64 s[28:29], vcc
	s_cbranch_execz .LBB6_19901
; %bb.19894:                            ;   in Loop: Header=BB6_18303 Depth=3
	v_cmp_ne_u16_e32 vcc, s97, v4
	v_bfrev_b32_e32 v1, 1
	s_and_saveexec_b64 s[34:35], vcc
	s_cbranch_execz .LBB6_19900
; %bb.19895:                            ;   in Loop: Header=BB6_18303 Depth=3
	buffer_load_dword v1, off, s[0:3], s33 offset:212 ; 4-byte Folded Reload
	buffer_load_dword v2, off, s[0:3], s33 offset:216 ; 4-byte Folded Reload
	s_waitcnt vmcnt(0)
	v_and_b32_e32 v2, 3, v1
	v_and_b32_e32 v1, 0x7c, v1
	v_cmp_ne_u32_e32 vcc, s86, v1
                                        ; implicit-def: $vgpr1
	s_and_saveexec_b64 s[62:63], vcc
	s_xor_b64 s[36:37], exec, s[62:63]
	s_cbranch_execz .LBB6_19897
; %bb.19896:                            ;   in Loop: Header=BB6_18303 Depth=3
	buffer_load_dword v52, off, s[0:3], s33 offset:212 ; 4-byte Folded Reload
	buffer_load_dword v53, off, s[0:3], s33 offset:216 ; 4-byte Folded Reload
	v_bfe_u32 v1, v4, 2, 5
	v_ffbh_u32_e32 v4, v2
	v_min_u32_e32 v4, 32, v4
	s_waitcnt vmcnt(0)
	v_mov_b32_e32 v53, v33
	v_subrev_u32_e32 v7, 29, v4
	v_sub_u32_e32 v4, 30, v4
	v_cmp_eq_u32_e32 vcc, 0, v1
	v_cndmask_b32_e32 v1, v1, v4, vcc
	v_lshlrev_b32_e32 v4, 24, v52
	v_lshlrev_b64 v[50:51], v7, v[52:53]
	v_and_b32_e32 v4, 0x80000000, v4
	v_and_b32_e32 v7, 3, v50
	v_cndmask_b32_e32 v2, v2, v7, vcc
	v_lshl_add_u32 v1, v1, 23, v4
	v_lshl_or_b32 v1, v2, 21, v1
	v_add_u32_e32 v1, 0x38000000, v1
                                        ; implicit-def: $vgpr4
                                        ; implicit-def: $vgpr2
	buffer_store_dword v4, off, s[0:3], s33 offset:212 ; 4-byte Folded Spill
	s_nop 0
	buffer_store_dword v5, off, s[0:3], s33 offset:216 ; 4-byte Folded Spill
.LBB6_19897:                            ;   in Loop: Header=BB6_18303 Depth=3
	s_andn2_saveexec_b64 s[36:37], s[36:37]
	s_cbranch_execz .LBB6_19899
; %bb.19898:                            ;   in Loop: Header=BB6_18303 Depth=3
	buffer_load_dword v50, off, s[0:3], s33 offset:212 ; 4-byte Folded Reload
	buffer_load_dword v51, off, s[0:3], s33 offset:216 ; 4-byte Folded Reload
	v_mov_b32_e32 v1, -1
	v_mov_b32_e32 v4, 0x7f800000
	s_waitcnt vmcnt(1)
	v_cmp_gt_i16_sdwa vcc, sext(v50), v1 src0_sel:BYTE_0 src1_sel:DWORD
	v_mov_b32_e32 v1, 0xff800000
	v_cndmask_b32_e32 v1, v1, v4, vcc
	v_cmp_eq_u32_e32 vcc, 0, v2
	v_mov_b32_e32 v2, 0x7f800001
	v_cndmask_b32_e32 v1, v2, v1, vcc
.LBB6_19899:                            ;   in Loop: Header=BB6_18303 Depth=3
	s_or_b64 exec, exec, s[36:37]
.LBB6_19900:                            ;   in Loop: Header=BB6_18303 Depth=3
	s_or_b64 exec, exec, s[34:35]
.LBB6_19901:                            ;   in Loop: Header=BB6_18303 Depth=3
	s_or_b64 exec, exec, s[28:29]
	v_cmp_ne_u16_e32 vcc, 0, v3
	s_and_saveexec_b64 s[28:29], vcc
	s_cbranch_execz .LBB6_19909
; %bb.19902:                            ;   in Loop: Header=BB6_18303 Depth=3
	v_cmp_ne_u16_e32 vcc, s46, v3
	v_bfrev_b32_e32 v0, 1
	s_and_saveexec_b64 s[34:35], vcc
	s_cbranch_execz .LBB6_19908
; %bb.19903:                            ;   in Loop: Header=BB6_18303 Depth=3
	v_and_b32_e32 v0, 0x7c, v3
	v_and_b32_e32 v2, 3, v3
	v_cmp_ne_u32_e32 vcc, s86, v0
                                        ; implicit-def: $vgpr0
	s_and_saveexec_b64 s[62:63], vcc
	s_xor_b64 s[36:37], exec, s[62:63]
	s_cbranch_execz .LBB6_19905
; %bb.19904:                            ;   in Loop: Header=BB6_18303 Depth=3
	v_ffbh_u32_e32 v7, v2
	v_min_u32_e32 v7, 32, v7
	v_and_b32_e32 v0, 0xff, v3
	v_mov_b32_e32 v4, v33
	v_subrev_u32_e32 v23, 29, v7
	v_bfe_u32 v0, v0, 2, 5
	s_waitcnt vmcnt(0)
	v_lshlrev_b64 v[50:51], v23, v[3:4]
	v_sub_u32_e32 v4, 30, v7
	v_cmp_eq_u32_e32 vcc, 0, v0
	v_and_b32_e32 v7, 3, v50
	v_cndmask_b32_e32 v0, v0, v4, vcc
	v_and_b32_sdwa v3, sext(v3), s87 dst_sel:DWORD dst_unused:UNUSED_PAD src0_sel:WORD_0 src1_sel:DWORD
	v_cndmask_b32_e32 v2, v2, v7, vcc
	v_lshl_add_u32 v0, v0, 23, v3
	v_lshl_or_b32 v0, v2, 21, v0
	v_add_u32_e32 v0, 0x38000000, v0
                                        ; implicit-def: $vgpr2
                                        ; implicit-def: $vgpr3
.LBB6_19905:                            ;   in Loop: Header=BB6_18303 Depth=3
	s_andn2_saveexec_b64 s[36:37], s[36:37]
; %bb.19906:                            ;   in Loop: Header=BB6_18303 Depth=3
	v_cmp_lt_i16_e32 vcc, -1, v3
	v_mov_b32_e32 v0, 0xff800000
	v_mov_b32_e32 v3, 0x7f800000
	v_cndmask_b32_e32 v0, v0, v3, vcc
	v_cmp_eq_u32_e32 vcc, 0, v2
	v_mov_b32_e32 v2, 0x7f800001
	v_cndmask_b32_e32 v0, v2, v0, vcc
; %bb.19907:                            ;   in Loop: Header=BB6_18303 Depth=3
	s_or_b64 exec, exec, s[36:37]
.LBB6_19908:                            ;   in Loop: Header=BB6_18303 Depth=3
	s_or_b64 exec, exec, s[34:35]
.LBB6_19909:                            ;   in Loop: Header=BB6_18303 Depth=3
	s_or_b64 exec, exec, s[28:29]
	v_add_f32_e32 v2, v1, v0
	v_and_b32_e32 v3, 0x7f800000, v2
	v_mov_b32_e32 v4, v33
	v_cmp_ne_u64_e32 vcc, s[76:77], v[3:4]
	v_and_b32_e32 v0, 0x7fffff, v2
	v_mov_b32_e32 v1, v33
                                        ; implicit-def: $vgpr3
	s_and_saveexec_b64 s[28:29], vcc
	s_xor_b64 s[34:35], exec, s[28:29]
	s_cbranch_execz .LBB6_19927
; %bb.19910:                            ;   in Loop: Header=BB6_18303 Depth=3
	v_and_b32_e32 v3, 0x7fffffff, v2
	v_mov_b32_e32 v4, v33
	v_cmp_gt_u64_e32 vcc, s[78:79], v[3:4]
	v_and_b32_sdwa v4, v2, s97 dst_sel:DWORD dst_unused:UNUSED_PAD src0_sel:BYTE_3 src1_sel:DWORD
                                        ; implicit-def: $vgpr3
	s_and_saveexec_b64 s[28:29], vcc
	s_xor_b64 s[36:37], exec, s[28:29]
	s_cbranch_execz .LBB6_19924
; %bb.19911:                            ;   in Loop: Header=BB6_18303 Depth=3
	v_cmp_ne_u32_e32 vcc, 0, v2
	v_mov_b32_e32 v3, 0
	s_and_saveexec_b64 s[38:39], vcc
	s_cbranch_execz .LBB6_19923
; %bb.19912:                            ;   in Loop: Header=BB6_18303 Depth=3
	v_bfe_u32 v3, v2, 23, 8
	v_cmp_gt_u32_e64 s[28:29], s47, v3
	v_sub_u32_e32 v2, 0x71, v3
	v_cmp_eq_u32_e32 vcc, 0, v3
	v_cndmask_b32_e64 v2, 0, v2, s[28:29]
	v_mov_b32_e32 v7, 0x70
	v_cndmask_b32_e32 v7, v2, v7, vcc
	v_add_u32_e32 v2, 21, v7
	v_or_b32_e32 v23, 0x800000, v0
	s_waitcnt vmcnt(0)
	v_lshlrev_b64 v[50:51], v2, -1
	v_cndmask_b32_e32 v0, v23, v0, vcc
	v_add_u32_e32 v2, 20, v7
	v_bfi_b32 v50, v50, 0, v0
	v_lshlrev_b64 v[52:53], v2, 1
	v_lshrrev_b64 v[0:1], v7, v[0:1]
	v_bfi_b32 v51, v51, 0, 0
	v_cmp_eq_u64_e64 s[28:29], v[50:51], v[52:53]
	v_mov_b32_e32 v2, v1
	v_mov_b32_e32 v1, v0
	s_and_saveexec_b64 s[48:49], s[28:29]
; %bb.19913:                            ;   in Loop: Header=BB6_18303 Depth=3
	v_bfe_u32 v1, v0, 21, 1
	v_add_co_u32_e64 v1, s[28:29], v0, v1
	v_add_co_u32_e64 v1, s[28:29], -1, v1
; %bb.19914:                            ;   in Loop: Header=BB6_18303 Depth=3
	s_or_b64 exec, exec, s[48:49]
	v_add_u32_e32 v2, 0xffffff81, v3
	v_mov_b32_e32 v3, 0xffffff82
	v_cndmask_b32_e32 v2, v2, v3, vcc
	v_lshrrev_b32_e32 v3, 23, v0
	v_add3_u32 v7, v7, v2, v3
	v_add_u32_e32 v3, 14, v7
	v_and_b32_e32 v1, 0x1fffff, v1
	v_add_u32_e32 v0, v1, v0
	v_mov_b32_e32 v1, v33
	v_cmp_ne_u32_e32 vcc, 0, v3
                                        ; implicit-def: $vgpr2
	s_and_saveexec_b64 s[28:29], vcc
	s_xor_b64 s[28:29], exec, s[28:29]
; %bb.19915:                            ;   in Loop: Header=BB6_18303 Depth=3
	v_cmp_lt_u64_e32 vcc, s[88:89], v[0:1]
	v_add_u32_e32 v2, 15, v7
	v_cndmask_b32_e32 v2, v3, v2, vcc
	v_cndmask_b32_e64 v3, 0, 1, vcc
	v_lshrrev_b64 v[0:1], v3, v[0:1]
; %bb.19916:                            ;   in Loop: Header=BB6_18303 Depth=3
	s_andn2_saveexec_b64 s[28:29], s[28:29]
; %bb.19917:                            ;   in Loop: Header=BB6_18303 Depth=3
	v_bfe_u32 v2, v0, 23, 1
; %bb.19918:                            ;   in Loop: Header=BB6_18303 Depth=3
	s_or_b64 exec, exec, s[28:29]
	v_lshrrev_b64 v[0:1], 21, v[0:1]
	v_cmp_gt_i32_e32 vcc, 32, v2
	v_cndmask_b32_e32 v1, 0, v1, vcc
	v_cndmask_b32_e32 v0, 3, v0, vcc
	v_cmp_ne_u64_e32 vcc, 0, v[0:1]
	v_cmp_ne_u32_e64 s[28:29], 0, v2
	s_or_b64 s[28:29], s[28:29], vcc
                                        ; implicit-def: $vgpr3
	s_and_saveexec_b64 s[62:63], s[28:29]
	s_xor_b64 s[28:29], exec, s[62:63]
; %bb.19919:                            ;   in Loop: Header=BB6_18303 Depth=3
	v_min_i32_e32 v1, 31, v2
	v_lshl_or_b32 v1, v1, 2, v4
	v_and_or_b32 v3, v0, 3, v1
                                        ; implicit-def: $vgpr4
; %bb.19920:                            ;   in Loop: Header=BB6_18303 Depth=3
	s_andn2_saveexec_b64 s[28:29], s[28:29]
; %bb.19921:                            ;   in Loop: Header=BB6_18303 Depth=3
	v_mov_b32_e32 v3, v4
; %bb.19922:                            ;   in Loop: Header=BB6_18303 Depth=3
	s_or_b64 exec, exec, s[28:29]
.LBB6_19923:                            ;   in Loop: Header=BB6_18303 Depth=3
	s_or_b64 exec, exec, s[38:39]
                                        ; implicit-def: $vgpr4
.LBB6_19924:                            ;   in Loop: Header=BB6_18303 Depth=3
	s_andn2_saveexec_b64 s[28:29], s[36:37]
; %bb.19925:                            ;   in Loop: Header=BB6_18303 Depth=3
	v_or_b32_e32 v3, 0x7b, v4
; %bb.19926:                            ;   in Loop: Header=BB6_18303 Depth=3
	s_or_b64 exec, exec, s[28:29]
                                        ; implicit-def: $vgpr2
                                        ; implicit-def: $vgpr0_vgpr1
.LBB6_19927:                            ;   in Loop: Header=BB6_18303 Depth=3
	s_andn2_saveexec_b64 s[28:29], s[34:35]
	s_cbranch_execz .LBB6_19933
; %bb.19928:                            ;   in Loop: Header=BB6_18303 Depth=3
	v_cmp_ne_u64_e32 vcc, 0, v[0:1]
                                        ; implicit-def: $vgpr3
	s_and_saveexec_b64 s[62:63], vcc
	s_xor_b64 vcc, exec, s[62:63]
; %bb.19929:                            ;   in Loop: Header=BB6_18303 Depth=3
	v_or_b32_sdwa v3, v2, s44 dst_sel:DWORD dst_unused:UNUSED_PAD src0_sel:BYTE_3 src1_sel:DWORD
                                        ; implicit-def: $vgpr2
; %bb.19930:                            ;   in Loop: Header=BB6_18303 Depth=3
	s_andn2_saveexec_b64 s[34:35], vcc
; %bb.19931:                            ;   in Loop: Header=BB6_18303 Depth=3
	v_cmp_lt_i32_e32 vcc, -1, v2
	v_mov_b32_e32 v0, 0x7c
	v_cndmask_b32_e32 v3, -4, v0, vcc
; %bb.19932:                            ;   in Loop: Header=BB6_18303 Depth=3
	s_or_b64 exec, exec, s[34:35]
.LBB6_19933:                            ;   in Loop: Header=BB6_18303 Depth=3
	s_or_b64 exec, exec, s[28:29]
	buffer_load_dword v0, off, s[0:3], s33 offset:204 ; 4-byte Folded Reload
	buffer_load_dword v1, off, s[0:3], s33 offset:208 ; 4-byte Folded Reload
	s_waitcnt vmcnt(0)
	v_mov_b32_e32 v1, 0
	v_and_b32_e32 v4, 0xff, v0
	v_cmp_ne_u16_e32 vcc, 0, v4
	v_mov_b32_e32 v0, 0
	s_and_saveexec_b64 s[28:29], vcc
	s_cbranch_execz .LBB6_19941
; %bb.19934:                            ;   in Loop: Header=BB6_18303 Depth=3
	v_cmp_ne_u16_e32 vcc, s97, v4
	v_bfrev_b32_e32 v1, 1
	s_and_saveexec_b64 s[34:35], vcc
	s_cbranch_execz .LBB6_19940
; %bb.19935:                            ;   in Loop: Header=BB6_18303 Depth=3
	buffer_load_dword v1, off, s[0:3], s33 offset:204 ; 4-byte Folded Reload
	buffer_load_dword v2, off, s[0:3], s33 offset:208 ; 4-byte Folded Reload
	s_waitcnt vmcnt(0)
	v_and_b32_e32 v2, 3, v1
	v_and_b32_e32 v1, 0x7c, v1
	v_cmp_ne_u32_e32 vcc, s86, v1
                                        ; implicit-def: $vgpr1
	s_and_saveexec_b64 s[62:63], vcc
	s_xor_b64 s[36:37], exec, s[62:63]
	s_cbranch_execz .LBB6_19937
; %bb.19936:                            ;   in Loop: Header=BB6_18303 Depth=3
	buffer_load_dword v52, off, s[0:3], s33 offset:204 ; 4-byte Folded Reload
	buffer_load_dword v53, off, s[0:3], s33 offset:208 ; 4-byte Folded Reload
	v_bfe_u32 v1, v4, 2, 5
	v_ffbh_u32_e32 v4, v2
	v_min_u32_e32 v4, 32, v4
	s_waitcnt vmcnt(0)
	v_mov_b32_e32 v53, v33
	v_subrev_u32_e32 v7, 29, v4
	v_sub_u32_e32 v4, 30, v4
	v_cmp_eq_u32_e32 vcc, 0, v1
	v_cndmask_b32_e32 v1, v1, v4, vcc
	v_lshlrev_b32_e32 v4, 24, v52
	v_lshlrev_b64 v[50:51], v7, v[52:53]
	v_and_b32_e32 v4, 0x80000000, v4
	v_and_b32_e32 v7, 3, v50
	v_cndmask_b32_e32 v2, v2, v7, vcc
	v_lshl_add_u32 v1, v1, 23, v4
	v_lshl_or_b32 v1, v2, 21, v1
	v_add_u32_e32 v1, 0x38000000, v1
                                        ; implicit-def: $vgpr4
                                        ; implicit-def: $vgpr2
	buffer_store_dword v4, off, s[0:3], s33 offset:204 ; 4-byte Folded Spill
	s_nop 0
	buffer_store_dword v5, off, s[0:3], s33 offset:208 ; 4-byte Folded Spill
.LBB6_19937:                            ;   in Loop: Header=BB6_18303 Depth=3
	s_andn2_saveexec_b64 s[36:37], s[36:37]
	s_cbranch_execz .LBB6_19939
; %bb.19938:                            ;   in Loop: Header=BB6_18303 Depth=3
	buffer_load_dword v50, off, s[0:3], s33 offset:204 ; 4-byte Folded Reload
	buffer_load_dword v51, off, s[0:3], s33 offset:208 ; 4-byte Folded Reload
	v_mov_b32_e32 v1, -1
	v_mov_b32_e32 v4, 0x7f800000
	s_waitcnt vmcnt(1)
	v_cmp_gt_i16_sdwa vcc, sext(v50), v1 src0_sel:BYTE_0 src1_sel:DWORD
	v_mov_b32_e32 v1, 0xff800000
	v_cndmask_b32_e32 v1, v1, v4, vcc
	v_cmp_eq_u32_e32 vcc, 0, v2
	v_mov_b32_e32 v2, 0x7f800001
	v_cndmask_b32_e32 v1, v2, v1, vcc
.LBB6_19939:                            ;   in Loop: Header=BB6_18303 Depth=3
	s_or_b64 exec, exec, s[36:37]
.LBB6_19940:                            ;   in Loop: Header=BB6_18303 Depth=3
	s_or_b64 exec, exec, s[34:35]
.LBB6_19941:                            ;   in Loop: Header=BB6_18303 Depth=3
	s_or_b64 exec, exec, s[28:29]
	v_cmp_ne_u16_e32 vcc, 0, v60
	s_and_saveexec_b64 s[28:29], vcc
	s_cbranch_execz .LBB6_19949
; %bb.19942:                            ;   in Loop: Header=BB6_18303 Depth=3
	v_cmp_ne_u16_e32 vcc, s46, v60
	v_bfrev_b32_e32 v0, 1
	s_and_saveexec_b64 s[34:35], vcc
	s_cbranch_execz .LBB6_19948
; %bb.19943:                            ;   in Loop: Header=BB6_18303 Depth=3
	v_and_b32_e32 v0, 0x7c, v60
	v_and_b32_e32 v2, 3, v60
	v_cmp_ne_u32_e32 vcc, s86, v0
                                        ; implicit-def: $vgpr0
	s_and_saveexec_b64 s[62:63], vcc
	s_xor_b64 s[36:37], exec, s[62:63]
	s_cbranch_execz .LBB6_19945
; %bb.19944:                            ;   in Loop: Header=BB6_18303 Depth=3
	v_ffbh_u32_e32 v4, v2
	v_min_u32_e32 v4, 32, v4
	v_and_b32_e32 v0, 0xff, v60
	v_mov_b32_e32 v61, v33
	v_subrev_u32_e32 v7, 29, v4
	v_bfe_u32 v0, v0, 2, 5
	s_waitcnt vmcnt(0)
	v_lshlrev_b64 v[50:51], v7, v[60:61]
	v_sub_u32_e32 v4, 30, v4
	v_cmp_eq_u32_e32 vcc, 0, v0
	v_and_b32_e32 v7, 3, v50
	v_cndmask_b32_e32 v0, v0, v4, vcc
	v_and_b32_sdwa v4, sext(v60), s87 dst_sel:DWORD dst_unused:UNUSED_PAD src0_sel:WORD_0 src1_sel:DWORD
	v_cndmask_b32_e32 v2, v2, v7, vcc
	v_lshl_add_u32 v0, v0, 23, v4
	v_lshl_or_b32 v0, v2, 21, v0
	v_add_u32_e32 v0, 0x38000000, v0
                                        ; implicit-def: $vgpr2
                                        ; implicit-def: $vgpr60
.LBB6_19945:                            ;   in Loop: Header=BB6_18303 Depth=3
	s_andn2_saveexec_b64 s[36:37], s[36:37]
; %bb.19946:                            ;   in Loop: Header=BB6_18303 Depth=3
	v_cmp_lt_i16_e32 vcc, -1, v60
	v_mov_b32_e32 v0, 0xff800000
	v_mov_b32_e32 v4, 0x7f800000
	v_cndmask_b32_e32 v0, v0, v4, vcc
	v_cmp_eq_u32_e32 vcc, 0, v2
	v_mov_b32_e32 v2, 0x7f800001
	v_cndmask_b32_e32 v0, v2, v0, vcc
; %bb.19947:                            ;   in Loop: Header=BB6_18303 Depth=3
	s_or_b64 exec, exec, s[36:37]
.LBB6_19948:                            ;   in Loop: Header=BB6_18303 Depth=3
	s_or_b64 exec, exec, s[34:35]
.LBB6_19949:                            ;   in Loop: Header=BB6_18303 Depth=3
	s_or_b64 exec, exec, s[28:29]
	v_add_f32_e32 v2, v1, v0
	v_and_b32_e32 v50, 0x7f800000, v2
	s_waitcnt vmcnt(0)
	v_mov_b32_e32 v51, v33
	v_cmp_ne_u64_e32 vcc, s[76:77], v[50:51]
	v_and_b32_e32 v0, 0x7fffff, v2
	v_mov_b32_e32 v1, v33
                                        ; implicit-def: $vgpr4
	s_and_saveexec_b64 s[28:29], vcc
	s_xor_b64 s[34:35], exec, s[28:29]
	s_cbranch_execz .LBB6_19967
; %bb.19950:                            ;   in Loop: Header=BB6_18303 Depth=3
	v_and_b32_e32 v50, 0x7fffffff, v2
	v_mov_b32_e32 v51, v33
	v_cmp_gt_u64_e32 vcc, s[78:79], v[50:51]
	v_and_b32_sdwa v7, v2, s97 dst_sel:DWORD dst_unused:UNUSED_PAD src0_sel:BYTE_3 src1_sel:DWORD
                                        ; implicit-def: $vgpr4
	s_and_saveexec_b64 s[28:29], vcc
	s_xor_b64 s[36:37], exec, s[28:29]
	s_cbranch_execz .LBB6_19964
; %bb.19951:                            ;   in Loop: Header=BB6_18303 Depth=3
	v_cmp_ne_u32_e32 vcc, 0, v2
	v_mov_b32_e32 v4, 0
	s_and_saveexec_b64 s[38:39], vcc
	s_cbranch_execz .LBB6_19963
; %bb.19952:                            ;   in Loop: Header=BB6_18303 Depth=3
	v_bfe_u32 v4, v2, 23, 8
	v_cmp_gt_u32_e64 s[28:29], s47, v4
	v_sub_u32_e32 v2, 0x71, v4
	v_cmp_eq_u32_e32 vcc, 0, v4
	v_cndmask_b32_e64 v2, 0, v2, s[28:29]
	v_mov_b32_e32 v23, 0x70
	v_cndmask_b32_e32 v23, v2, v23, vcc
	v_add_u32_e32 v2, 21, v23
	v_or_b32_e32 v29, 0x800000, v0
	v_lshlrev_b64 v[50:51], v2, -1
	v_cndmask_b32_e32 v0, v29, v0, vcc
	v_add_u32_e32 v2, 20, v23
	v_bfi_b32 v50, v50, 0, v0
	v_lshlrev_b64 v[52:53], v2, 1
	v_lshrrev_b64 v[0:1], v23, v[0:1]
	v_bfi_b32 v51, v51, 0, 0
	v_cmp_eq_u64_e64 s[28:29], v[50:51], v[52:53]
	v_mov_b32_e32 v2, v1
	v_mov_b32_e32 v1, v0
	s_and_saveexec_b64 s[48:49], s[28:29]
; %bb.19953:                            ;   in Loop: Header=BB6_18303 Depth=3
	v_bfe_u32 v1, v0, 21, 1
	v_add_co_u32_e64 v1, s[28:29], v0, v1
	v_add_co_u32_e64 v1, s[28:29], -1, v1
; %bb.19954:                            ;   in Loop: Header=BB6_18303 Depth=3
	s_or_b64 exec, exec, s[48:49]
	v_add_u32_e32 v2, 0xffffff81, v4
	v_mov_b32_e32 v4, 0xffffff82
	v_cndmask_b32_e32 v2, v2, v4, vcc
	v_lshrrev_b32_e32 v4, 23, v0
	v_add3_u32 v23, v23, v2, v4
	v_add_u32_e32 v4, 14, v23
	v_and_b32_e32 v1, 0x1fffff, v1
	v_add_u32_e32 v0, v1, v0
	v_mov_b32_e32 v1, v33
	v_cmp_ne_u32_e32 vcc, 0, v4
                                        ; implicit-def: $vgpr2
	s_and_saveexec_b64 s[28:29], vcc
	s_xor_b64 s[28:29], exec, s[28:29]
; %bb.19955:                            ;   in Loop: Header=BB6_18303 Depth=3
	v_cmp_lt_u64_e32 vcc, s[88:89], v[0:1]
	v_add_u32_e32 v2, 15, v23
	v_cndmask_b32_e32 v2, v4, v2, vcc
	v_cndmask_b32_e64 v4, 0, 1, vcc
	v_lshrrev_b64 v[0:1], v4, v[0:1]
; %bb.19956:                            ;   in Loop: Header=BB6_18303 Depth=3
	s_andn2_saveexec_b64 s[28:29], s[28:29]
; %bb.19957:                            ;   in Loop: Header=BB6_18303 Depth=3
	v_bfe_u32 v2, v0, 23, 1
; %bb.19958:                            ;   in Loop: Header=BB6_18303 Depth=3
	s_or_b64 exec, exec, s[28:29]
	v_lshrrev_b64 v[0:1], 21, v[0:1]
	v_cmp_gt_i32_e32 vcc, 32, v2
	v_cndmask_b32_e32 v1, 0, v1, vcc
	v_cndmask_b32_e32 v0, 3, v0, vcc
	v_cmp_ne_u64_e32 vcc, 0, v[0:1]
	v_cmp_ne_u32_e64 s[28:29], 0, v2
	s_or_b64 s[28:29], s[28:29], vcc
                                        ; implicit-def: $vgpr4
	s_and_saveexec_b64 s[62:63], s[28:29]
	s_xor_b64 s[28:29], exec, s[62:63]
; %bb.19959:                            ;   in Loop: Header=BB6_18303 Depth=3
	v_min_i32_e32 v1, 31, v2
	v_lshl_or_b32 v1, v1, 2, v7
	v_and_or_b32 v4, v0, 3, v1
                                        ; implicit-def: $vgpr7
; %bb.19960:                            ;   in Loop: Header=BB6_18303 Depth=3
	s_andn2_saveexec_b64 s[28:29], s[28:29]
; %bb.19961:                            ;   in Loop: Header=BB6_18303 Depth=3
	v_mov_b32_e32 v4, v7
; %bb.19962:                            ;   in Loop: Header=BB6_18303 Depth=3
	s_or_b64 exec, exec, s[28:29]
.LBB6_19963:                            ;   in Loop: Header=BB6_18303 Depth=3
	s_or_b64 exec, exec, s[38:39]
                                        ; implicit-def: $vgpr7
.LBB6_19964:                            ;   in Loop: Header=BB6_18303 Depth=3
	s_andn2_saveexec_b64 s[28:29], s[36:37]
; %bb.19965:                            ;   in Loop: Header=BB6_18303 Depth=3
	v_or_b32_e32 v4, 0x7b, v7
; %bb.19966:                            ;   in Loop: Header=BB6_18303 Depth=3
	s_or_b64 exec, exec, s[28:29]
                                        ; implicit-def: $vgpr2
                                        ; implicit-def: $vgpr0_vgpr1
.LBB6_19967:                            ;   in Loop: Header=BB6_18303 Depth=3
	s_andn2_saveexec_b64 s[28:29], s[34:35]
	s_cbranch_execz .LBB6_19973
; %bb.19968:                            ;   in Loop: Header=BB6_18303 Depth=3
	v_cmp_ne_u64_e32 vcc, 0, v[0:1]
                                        ; implicit-def: $vgpr4
	s_and_saveexec_b64 s[62:63], vcc
	s_xor_b64 vcc, exec, s[62:63]
; %bb.19969:                            ;   in Loop: Header=BB6_18303 Depth=3
	v_or_b32_sdwa v4, v2, s44 dst_sel:DWORD dst_unused:UNUSED_PAD src0_sel:BYTE_3 src1_sel:DWORD
                                        ; implicit-def: $vgpr2
; %bb.19970:                            ;   in Loop: Header=BB6_18303 Depth=3
	s_andn2_saveexec_b64 s[34:35], vcc
; %bb.19971:                            ;   in Loop: Header=BB6_18303 Depth=3
	v_cmp_lt_i32_e32 vcc, -1, v2
	v_mov_b32_e32 v0, 0x7c
	v_cndmask_b32_e32 v4, -4, v0, vcc
; %bb.19972:                            ;   in Loop: Header=BB6_18303 Depth=3
	s_or_b64 exec, exec, s[34:35]
.LBB6_19973:                            ;   in Loop: Header=BB6_18303 Depth=3
	s_or_b64 exec, exec, s[28:29]
	buffer_load_dword v0, off, s[0:3], s33 offset:196 ; 4-byte Folded Reload
	buffer_load_dword v1, off, s[0:3], s33 offset:200 ; 4-byte Folded Reload
	s_waitcnt vmcnt(0)
	v_mov_b32_e32 v1, 0
	v_and_b32_e32 v7, 0xff, v0
	v_cmp_ne_u16_e32 vcc, 0, v7
	v_mov_b32_e32 v0, 0
	s_and_saveexec_b64 s[28:29], vcc
	s_cbranch_execz .LBB6_19981
; %bb.19974:                            ;   in Loop: Header=BB6_18303 Depth=3
	v_cmp_ne_u16_e32 vcc, s97, v7
	v_bfrev_b32_e32 v1, 1
	s_and_saveexec_b64 s[34:35], vcc
	s_cbranch_execz .LBB6_19980
; %bb.19975:                            ;   in Loop: Header=BB6_18303 Depth=3
	buffer_load_dword v1, off, s[0:3], s33 offset:196 ; 4-byte Folded Reload
	buffer_load_dword v2, off, s[0:3], s33 offset:200 ; 4-byte Folded Reload
	s_waitcnt vmcnt(0)
	v_and_b32_e32 v2, 3, v1
	v_and_b32_e32 v1, 0x7c, v1
	v_cmp_ne_u32_e32 vcc, s86, v1
                                        ; implicit-def: $vgpr1
	s_and_saveexec_b64 s[62:63], vcc
	s_xor_b64 s[36:37], exec, s[62:63]
	s_cbranch_execz .LBB6_19977
; %bb.19976:                            ;   in Loop: Header=BB6_18303 Depth=3
	buffer_load_dword v52, off, s[0:3], s33 offset:196 ; 4-byte Folded Reload
	buffer_load_dword v53, off, s[0:3], s33 offset:200 ; 4-byte Folded Reload
	v_bfe_u32 v1, v7, 2, 5
	v_ffbh_u32_e32 v7, v2
	v_min_u32_e32 v7, 32, v7
	s_waitcnt vmcnt(0)
	v_mov_b32_e32 v53, v33
	v_subrev_u32_e32 v23, 29, v7
	v_sub_u32_e32 v7, 30, v7
	v_cmp_eq_u32_e32 vcc, 0, v1
	v_cndmask_b32_e32 v1, v1, v7, vcc
	v_lshlrev_b32_e32 v7, 24, v52
	v_lshlrev_b64 v[50:51], v23, v[52:53]
	v_and_b32_e32 v7, 0x80000000, v7
	v_and_b32_e32 v23, 3, v50
	v_cndmask_b32_e32 v2, v2, v23, vcc
	v_lshl_add_u32 v1, v1, 23, v7
	v_lshl_or_b32 v1, v2, 21, v1
	v_add_u32_e32 v1, 0x38000000, v1
                                        ; implicit-def: $vgpr7
                                        ; implicit-def: $vgpr2
	buffer_store_dword v7, off, s[0:3], s33 offset:196 ; 4-byte Folded Spill
	s_nop 0
	buffer_store_dword v8, off, s[0:3], s33 offset:200 ; 4-byte Folded Spill
.LBB6_19977:                            ;   in Loop: Header=BB6_18303 Depth=3
	s_andn2_saveexec_b64 s[36:37], s[36:37]
	s_cbranch_execz .LBB6_19979
; %bb.19978:                            ;   in Loop: Header=BB6_18303 Depth=3
	buffer_load_dword v50, off, s[0:3], s33 offset:196 ; 4-byte Folded Reload
	buffer_load_dword v51, off, s[0:3], s33 offset:200 ; 4-byte Folded Reload
	v_mov_b32_e32 v1, -1
	v_mov_b32_e32 v7, 0x7f800000
	s_waitcnt vmcnt(1)
	v_cmp_gt_i16_sdwa vcc, sext(v50), v1 src0_sel:BYTE_0 src1_sel:DWORD
	v_mov_b32_e32 v1, 0xff800000
	v_cndmask_b32_e32 v1, v1, v7, vcc
	v_cmp_eq_u32_e32 vcc, 0, v2
	v_mov_b32_e32 v2, 0x7f800001
	v_cndmask_b32_e32 v1, v2, v1, vcc
.LBB6_19979:                            ;   in Loop: Header=BB6_18303 Depth=3
	s_or_b64 exec, exec, s[36:37]
.LBB6_19980:                            ;   in Loop: Header=BB6_18303 Depth=3
	s_or_b64 exec, exec, s[34:35]
.LBB6_19981:                            ;   in Loop: Header=BB6_18303 Depth=3
	s_or_b64 exec, exec, s[28:29]
	v_cmp_ne_u16_e32 vcc, 0, v59
	s_and_saveexec_b64 s[28:29], vcc
	s_cbranch_execz .LBB6_19989
; %bb.19982:                            ;   in Loop: Header=BB6_18303 Depth=3
	v_cmp_ne_u16_e32 vcc, s46, v59
	v_bfrev_b32_e32 v0, 1
	s_and_saveexec_b64 s[34:35], vcc
	s_cbranch_execz .LBB6_19988
; %bb.19983:                            ;   in Loop: Header=BB6_18303 Depth=3
	v_and_b32_e32 v0, 0x7c, v59
	v_and_b32_e32 v2, 3, v59
	v_cmp_ne_u32_e32 vcc, s86, v0
                                        ; implicit-def: $vgpr0
	s_and_saveexec_b64 s[62:63], vcc
	s_xor_b64 s[36:37], exec, s[62:63]
	s_cbranch_execz .LBB6_19985
; %bb.19984:                            ;   in Loop: Header=BB6_18303 Depth=3
	v_ffbh_u32_e32 v7, v2
	v_min_u32_e32 v7, 32, v7
	v_and_b32_e32 v0, 0xff, v59
	v_mov_b32_e32 v60, v33
	v_subrev_u32_e32 v23, 29, v7
	v_bfe_u32 v0, v0, 2, 5
	s_waitcnt vmcnt(0)
	v_lshlrev_b64 v[50:51], v23, v[59:60]
	v_sub_u32_e32 v7, 30, v7
	v_cmp_eq_u32_e32 vcc, 0, v0
	v_and_b32_e32 v23, 3, v50
	v_cndmask_b32_e32 v0, v0, v7, vcc
	v_and_b32_sdwa v7, sext(v59), s87 dst_sel:DWORD dst_unused:UNUSED_PAD src0_sel:WORD_0 src1_sel:DWORD
	v_cndmask_b32_e32 v2, v2, v23, vcc
	v_lshl_add_u32 v0, v0, 23, v7
	v_lshl_or_b32 v0, v2, 21, v0
	v_add_u32_e32 v0, 0x38000000, v0
                                        ; implicit-def: $vgpr2
                                        ; implicit-def: $vgpr59
.LBB6_19985:                            ;   in Loop: Header=BB6_18303 Depth=3
	s_andn2_saveexec_b64 s[36:37], s[36:37]
; %bb.19986:                            ;   in Loop: Header=BB6_18303 Depth=3
	v_cmp_lt_i16_e32 vcc, -1, v59
	v_mov_b32_e32 v0, 0xff800000
	v_mov_b32_e32 v7, 0x7f800000
	v_cndmask_b32_e32 v0, v0, v7, vcc
	v_cmp_eq_u32_e32 vcc, 0, v2
	v_mov_b32_e32 v2, 0x7f800001
	v_cndmask_b32_e32 v0, v2, v0, vcc
; %bb.19987:                            ;   in Loop: Header=BB6_18303 Depth=3
	s_or_b64 exec, exec, s[36:37]
.LBB6_19988:                            ;   in Loop: Header=BB6_18303 Depth=3
	s_or_b64 exec, exec, s[34:35]
.LBB6_19989:                            ;   in Loop: Header=BB6_18303 Depth=3
	s_or_b64 exec, exec, s[28:29]
	v_add_f32_e32 v2, v1, v0
	v_and_b32_e32 v50, 0x7f800000, v2
	s_waitcnt vmcnt(0)
	v_mov_b32_e32 v51, v33
	v_cmp_ne_u64_e32 vcc, s[76:77], v[50:51]
	v_and_b32_e32 v0, 0x7fffff, v2
	v_mov_b32_e32 v1, v33
                                        ; implicit-def: $vgpr39
	s_and_saveexec_b64 s[28:29], vcc
	s_xor_b64 s[34:35], exec, s[28:29]
	s_cbranch_execz .LBB6_20007
; %bb.19990:                            ;   in Loop: Header=BB6_18303 Depth=3
	v_and_b32_e32 v50, 0x7fffffff, v2
	v_mov_b32_e32 v51, v33
	v_cmp_gt_u64_e32 vcc, s[78:79], v[50:51]
	v_and_b32_sdwa v7, v2, s97 dst_sel:DWORD dst_unused:UNUSED_PAD src0_sel:BYTE_3 src1_sel:DWORD
                                        ; implicit-def: $vgpr39
	s_and_saveexec_b64 s[28:29], vcc
	s_xor_b64 s[36:37], exec, s[28:29]
	s_cbranch_execz .LBB6_20004
; %bb.19991:                            ;   in Loop: Header=BB6_18303 Depth=3
	v_cmp_ne_u32_e32 vcc, 0, v2
	v_mov_b32_e32 v39, 0
	s_and_saveexec_b64 s[38:39], vcc
	s_cbranch_execz .LBB6_20003
; %bb.19992:                            ;   in Loop: Header=BB6_18303 Depth=3
	v_bfe_u32 v23, v2, 23, 8
	v_cmp_gt_u32_e64 s[28:29], s47, v23
	v_sub_u32_e32 v2, 0x71, v23
	v_cmp_eq_u32_e32 vcc, 0, v23
	v_cndmask_b32_e64 v2, 0, v2, s[28:29]
	v_mov_b32_e32 v29, 0x70
	v_cndmask_b32_e32 v29, v2, v29, vcc
	v_add_u32_e32 v2, 21, v29
	v_or_b32_e32 v39, 0x800000, v0
	v_lshlrev_b64 v[50:51], v2, -1
	v_cndmask_b32_e32 v0, v39, v0, vcc
	v_add_u32_e32 v2, 20, v29
	v_bfi_b32 v50, v50, 0, v0
	v_lshlrev_b64 v[52:53], v2, 1
	v_lshrrev_b64 v[0:1], v29, v[0:1]
	v_bfi_b32 v51, v51, 0, 0
	v_cmp_eq_u64_e64 s[28:29], v[50:51], v[52:53]
	v_mov_b32_e32 v2, v1
	v_mov_b32_e32 v1, v0
	s_and_saveexec_b64 s[48:49], s[28:29]
; %bb.19993:                            ;   in Loop: Header=BB6_18303 Depth=3
	v_bfe_u32 v1, v0, 21, 1
	v_add_co_u32_e64 v1, s[28:29], v0, v1
	v_add_co_u32_e64 v1, s[28:29], -1, v1
; %bb.19994:                            ;   in Loop: Header=BB6_18303 Depth=3
	s_or_b64 exec, exec, s[48:49]
	v_add_u32_e32 v2, 0xffffff81, v23
	v_mov_b32_e32 v23, 0xffffff82
	v_cndmask_b32_e32 v2, v2, v23, vcc
	v_lshrrev_b32_e32 v23, 23, v0
	v_add3_u32 v29, v29, v2, v23
	v_add_u32_e32 v23, 14, v29
	v_and_b32_e32 v1, 0x1fffff, v1
	v_add_u32_e32 v0, v1, v0
	v_mov_b32_e32 v1, v33
	v_cmp_ne_u32_e32 vcc, 0, v23
                                        ; implicit-def: $vgpr2
	s_and_saveexec_b64 s[28:29], vcc
	s_xor_b64 s[28:29], exec, s[28:29]
; %bb.19995:                            ;   in Loop: Header=BB6_18303 Depth=3
	v_cmp_lt_u64_e32 vcc, s[88:89], v[0:1]
	v_add_u32_e32 v2, 15, v29
	v_cndmask_b32_e32 v2, v23, v2, vcc
	v_cndmask_b32_e64 v23, 0, 1, vcc
	v_lshrrev_b64 v[0:1], v23, v[0:1]
; %bb.19996:                            ;   in Loop: Header=BB6_18303 Depth=3
	s_andn2_saveexec_b64 s[28:29], s[28:29]
; %bb.19997:                            ;   in Loop: Header=BB6_18303 Depth=3
	v_bfe_u32 v2, v0, 23, 1
; %bb.19998:                            ;   in Loop: Header=BB6_18303 Depth=3
	s_or_b64 exec, exec, s[28:29]
	v_lshrrev_b64 v[0:1], 21, v[0:1]
	v_cmp_gt_i32_e32 vcc, 32, v2
	v_cndmask_b32_e32 v1, 0, v1, vcc
	v_cndmask_b32_e32 v0, 3, v0, vcc
	v_cmp_ne_u64_e32 vcc, 0, v[0:1]
	v_cmp_ne_u32_e64 s[28:29], 0, v2
	s_or_b64 s[28:29], s[28:29], vcc
                                        ; implicit-def: $vgpr39
	s_and_saveexec_b64 s[62:63], s[28:29]
	s_xor_b64 s[28:29], exec, s[62:63]
; %bb.19999:                            ;   in Loop: Header=BB6_18303 Depth=3
	v_min_i32_e32 v1, 31, v2
	v_lshl_or_b32 v1, v1, 2, v7
	v_and_or_b32 v39, v0, 3, v1
                                        ; implicit-def: $vgpr7
; %bb.20000:                            ;   in Loop: Header=BB6_18303 Depth=3
	s_andn2_saveexec_b64 s[28:29], s[28:29]
; %bb.20001:                            ;   in Loop: Header=BB6_18303 Depth=3
	v_mov_b32_e32 v39, v7
; %bb.20002:                            ;   in Loop: Header=BB6_18303 Depth=3
	s_or_b64 exec, exec, s[28:29]
.LBB6_20003:                            ;   in Loop: Header=BB6_18303 Depth=3
	s_or_b64 exec, exec, s[38:39]
                                        ; implicit-def: $vgpr7
.LBB6_20004:                            ;   in Loop: Header=BB6_18303 Depth=3
	s_andn2_saveexec_b64 s[28:29], s[36:37]
; %bb.20005:                            ;   in Loop: Header=BB6_18303 Depth=3
	v_or_b32_e32 v39, 0x7b, v7
; %bb.20006:                            ;   in Loop: Header=BB6_18303 Depth=3
	s_or_b64 exec, exec, s[28:29]
                                        ; implicit-def: $vgpr2
                                        ; implicit-def: $vgpr0_vgpr1
.LBB6_20007:                            ;   in Loop: Header=BB6_18303 Depth=3
	s_andn2_saveexec_b64 s[28:29], s[34:35]
	s_cbranch_execz .LBB6_20013
; %bb.20008:                            ;   in Loop: Header=BB6_18303 Depth=3
	v_cmp_ne_u64_e32 vcc, 0, v[0:1]
                                        ; implicit-def: $vgpr39
	s_and_saveexec_b64 s[62:63], vcc
	s_xor_b64 vcc, exec, s[62:63]
; %bb.20009:                            ;   in Loop: Header=BB6_18303 Depth=3
	v_or_b32_sdwa v39, v2, s44 dst_sel:DWORD dst_unused:UNUSED_PAD src0_sel:BYTE_3 src1_sel:DWORD
                                        ; implicit-def: $vgpr2
; %bb.20010:                            ;   in Loop: Header=BB6_18303 Depth=3
	s_andn2_saveexec_b64 s[34:35], vcc
; %bb.20011:                            ;   in Loop: Header=BB6_18303 Depth=3
	v_cmp_lt_i32_e32 vcc, -1, v2
	v_mov_b32_e32 v0, 0x7c
	v_cndmask_b32_e32 v39, -4, v0, vcc
; %bb.20012:                            ;   in Loop: Header=BB6_18303 Depth=3
	s_or_b64 exec, exec, s[34:35]
.LBB6_20013:                            ;   in Loop: Header=BB6_18303 Depth=3
	s_or_b64 exec, exec, s[28:29]
	buffer_load_dword v0, off, s[0:3], s33 offset:188 ; 4-byte Folded Reload
	buffer_load_dword v1, off, s[0:3], s33 offset:192 ; 4-byte Folded Reload
	s_waitcnt vmcnt(0)
	v_mov_b32_e32 v1, 0
	v_and_b32_e32 v7, 0xff, v0
	v_cmp_ne_u16_e32 vcc, 0, v7
	v_mov_b32_e32 v0, 0
	s_and_saveexec_b64 s[28:29], vcc
	s_cbranch_execz .LBB6_20021
; %bb.20014:                            ;   in Loop: Header=BB6_18303 Depth=3
	v_cmp_ne_u16_e32 vcc, s97, v7
	v_bfrev_b32_e32 v1, 1
	s_and_saveexec_b64 s[34:35], vcc
	s_cbranch_execz .LBB6_20020
; %bb.20015:                            ;   in Loop: Header=BB6_18303 Depth=3
	buffer_load_dword v1, off, s[0:3], s33 offset:188 ; 4-byte Folded Reload
	buffer_load_dword v2, off, s[0:3], s33 offset:192 ; 4-byte Folded Reload
	s_waitcnt vmcnt(0)
	v_and_b32_e32 v2, 3, v1
	v_and_b32_e32 v1, 0x7c, v1
	v_cmp_ne_u32_e32 vcc, s86, v1
                                        ; implicit-def: $vgpr1
	s_and_saveexec_b64 s[62:63], vcc
	s_xor_b64 s[36:37], exec, s[62:63]
	s_cbranch_execz .LBB6_20017
; %bb.20016:                            ;   in Loop: Header=BB6_18303 Depth=3
	buffer_load_dword v52, off, s[0:3], s33 offset:188 ; 4-byte Folded Reload
	buffer_load_dword v53, off, s[0:3], s33 offset:192 ; 4-byte Folded Reload
	v_bfe_u32 v1, v7, 2, 5
	v_ffbh_u32_e32 v7, v2
	v_min_u32_e32 v7, 32, v7
	s_waitcnt vmcnt(0)
	v_mov_b32_e32 v53, v33
	v_subrev_u32_e32 v23, 29, v7
	v_sub_u32_e32 v7, 30, v7
	v_cmp_eq_u32_e32 vcc, 0, v1
	v_cndmask_b32_e32 v1, v1, v7, vcc
	v_lshlrev_b32_e32 v7, 24, v52
	v_lshlrev_b64 v[50:51], v23, v[52:53]
	v_and_b32_e32 v7, 0x80000000, v7
	v_and_b32_e32 v23, 3, v50
	v_cndmask_b32_e32 v2, v2, v23, vcc
	v_lshl_add_u32 v1, v1, 23, v7
	v_lshl_or_b32 v1, v2, 21, v1
	v_add_u32_e32 v1, 0x38000000, v1
                                        ; implicit-def: $vgpr7
                                        ; implicit-def: $vgpr2
	buffer_store_dword v7, off, s[0:3], s33 offset:188 ; 4-byte Folded Spill
	s_nop 0
	buffer_store_dword v8, off, s[0:3], s33 offset:192 ; 4-byte Folded Spill
.LBB6_20017:                            ;   in Loop: Header=BB6_18303 Depth=3
	s_andn2_saveexec_b64 s[36:37], s[36:37]
	s_cbranch_execz .LBB6_20019
; %bb.20018:                            ;   in Loop: Header=BB6_18303 Depth=3
	buffer_load_dword v50, off, s[0:3], s33 offset:188 ; 4-byte Folded Reload
	buffer_load_dword v51, off, s[0:3], s33 offset:192 ; 4-byte Folded Reload
	v_mov_b32_e32 v1, -1
	v_mov_b32_e32 v7, 0x7f800000
	s_waitcnt vmcnt(1)
	v_cmp_gt_i16_sdwa vcc, sext(v50), v1 src0_sel:BYTE_0 src1_sel:DWORD
	v_mov_b32_e32 v1, 0xff800000
	v_cndmask_b32_e32 v1, v1, v7, vcc
	v_cmp_eq_u32_e32 vcc, 0, v2
	v_mov_b32_e32 v2, 0x7f800001
	v_cndmask_b32_e32 v1, v2, v1, vcc
.LBB6_20019:                            ;   in Loop: Header=BB6_18303 Depth=3
	s_or_b64 exec, exec, s[36:37]
.LBB6_20020:                            ;   in Loop: Header=BB6_18303 Depth=3
	s_or_b64 exec, exec, s[34:35]
.LBB6_20021:                            ;   in Loop: Header=BB6_18303 Depth=3
	s_or_b64 exec, exec, s[28:29]
	v_cmp_ne_u16_e32 vcc, 0, v58
	s_and_saveexec_b64 s[28:29], vcc
	s_cbranch_execz .LBB6_20029
; %bb.20022:                            ;   in Loop: Header=BB6_18303 Depth=3
	v_cmp_ne_u16_e32 vcc, s46, v58
	v_bfrev_b32_e32 v0, 1
	s_and_saveexec_b64 s[34:35], vcc
	s_cbranch_execz .LBB6_20028
; %bb.20023:                            ;   in Loop: Header=BB6_18303 Depth=3
	v_and_b32_e32 v0, 0x7c, v58
	v_and_b32_e32 v2, 3, v58
	v_cmp_ne_u32_e32 vcc, s86, v0
                                        ; implicit-def: $vgpr0
	s_and_saveexec_b64 s[62:63], vcc
	s_xor_b64 s[36:37], exec, s[62:63]
	s_cbranch_execz .LBB6_20025
; %bb.20024:                            ;   in Loop: Header=BB6_18303 Depth=3
	v_ffbh_u32_e32 v7, v2
	v_min_u32_e32 v7, 32, v7
	v_and_b32_e32 v0, 0xff, v58
	v_mov_b32_e32 v59, v33
	v_subrev_u32_e32 v23, 29, v7
	v_bfe_u32 v0, v0, 2, 5
	s_waitcnt vmcnt(0)
	v_lshlrev_b64 v[50:51], v23, v[58:59]
	v_sub_u32_e32 v7, 30, v7
	v_cmp_eq_u32_e32 vcc, 0, v0
	v_and_b32_e32 v23, 3, v50
	v_cndmask_b32_e32 v0, v0, v7, vcc
	v_and_b32_sdwa v7, sext(v58), s87 dst_sel:DWORD dst_unused:UNUSED_PAD src0_sel:WORD_0 src1_sel:DWORD
	v_cndmask_b32_e32 v2, v2, v23, vcc
	v_lshl_add_u32 v0, v0, 23, v7
	v_lshl_or_b32 v0, v2, 21, v0
	v_add_u32_e32 v0, 0x38000000, v0
                                        ; implicit-def: $vgpr2
                                        ; implicit-def: $vgpr58
.LBB6_20025:                            ;   in Loop: Header=BB6_18303 Depth=3
	s_andn2_saveexec_b64 s[36:37], s[36:37]
; %bb.20026:                            ;   in Loop: Header=BB6_18303 Depth=3
	v_cmp_lt_i16_e32 vcc, -1, v58
	v_mov_b32_e32 v0, 0xff800000
	v_mov_b32_e32 v7, 0x7f800000
	v_cndmask_b32_e32 v0, v0, v7, vcc
	v_cmp_eq_u32_e32 vcc, 0, v2
	v_mov_b32_e32 v2, 0x7f800001
	v_cndmask_b32_e32 v0, v2, v0, vcc
; %bb.20027:                            ;   in Loop: Header=BB6_18303 Depth=3
	s_or_b64 exec, exec, s[36:37]
.LBB6_20028:                            ;   in Loop: Header=BB6_18303 Depth=3
	s_or_b64 exec, exec, s[34:35]
.LBB6_20029:                            ;   in Loop: Header=BB6_18303 Depth=3
	s_or_b64 exec, exec, s[28:29]
	v_add_f32_e32 v2, v1, v0
	v_and_b32_e32 v50, 0x7f800000, v2
	s_waitcnt vmcnt(0)
	v_mov_b32_e32 v51, v33
	v_cmp_ne_u64_e32 vcc, s[76:77], v[50:51]
	v_and_b32_e32 v0, 0x7fffff, v2
	v_mov_b32_e32 v1, v33
                                        ; implicit-def: $vgpr50
	s_and_saveexec_b64 s[28:29], vcc
	s_xor_b64 s[34:35], exec, s[28:29]
	s_cbranch_execz .LBB6_20047
; %bb.20030:                            ;   in Loop: Header=BB6_18303 Depth=3
	v_and_b32_e32 v50, 0x7fffffff, v2
	v_mov_b32_e32 v51, v33
	v_cmp_gt_u64_e32 vcc, s[78:79], v[50:51]
	v_and_b32_sdwa v7, v2, s97 dst_sel:DWORD dst_unused:UNUSED_PAD src0_sel:BYTE_3 src1_sel:DWORD
                                        ; implicit-def: $vgpr50
	s_and_saveexec_b64 s[28:29], vcc
	s_xor_b64 s[36:37], exec, s[28:29]
	s_cbranch_execz .LBB6_20044
; %bb.20031:                            ;   in Loop: Header=BB6_18303 Depth=3
	v_cmp_ne_u32_e32 vcc, 0, v2
	v_mov_b32_e32 v50, 0
	s_and_saveexec_b64 s[38:39], vcc
	s_cbranch_execz .LBB6_20043
; %bb.20032:                            ;   in Loop: Header=BB6_18303 Depth=3
	v_bfe_u32 v23, v2, 23, 8
	v_cmp_gt_u32_e64 s[28:29], s47, v23
	v_sub_u32_e32 v2, 0x71, v23
	v_cmp_eq_u32_e32 vcc, 0, v23
	v_cndmask_b32_e64 v2, 0, v2, s[28:29]
	v_mov_b32_e32 v29, 0x70
	v_cndmask_b32_e32 v29, v2, v29, vcc
	v_add_u32_e32 v2, 21, v29
	v_or_b32_e32 v48, 0x800000, v0
	v_lshlrev_b64 v[50:51], v2, -1
	v_cndmask_b32_e32 v0, v48, v0, vcc
	v_add_u32_e32 v2, 20, v29
	v_bfi_b32 v50, v50, 0, v0
	v_lshlrev_b64 v[52:53], v2, 1
	v_lshrrev_b64 v[0:1], v29, v[0:1]
	v_bfi_b32 v51, v51, 0, 0
	v_cmp_eq_u64_e64 s[28:29], v[50:51], v[52:53]
	v_mov_b32_e32 v2, v1
	v_mov_b32_e32 v1, v0
	s_and_saveexec_b64 s[48:49], s[28:29]
; %bb.20033:                            ;   in Loop: Header=BB6_18303 Depth=3
	v_bfe_u32 v1, v0, 21, 1
	v_add_co_u32_e64 v1, s[28:29], v0, v1
	v_add_co_u32_e64 v1, s[28:29], -1, v1
; %bb.20034:                            ;   in Loop: Header=BB6_18303 Depth=3
	s_or_b64 exec, exec, s[48:49]
	v_add_u32_e32 v2, 0xffffff81, v23
	v_mov_b32_e32 v23, 0xffffff82
	v_cndmask_b32_e32 v2, v2, v23, vcc
	v_lshrrev_b32_e32 v23, 23, v0
	v_add3_u32 v29, v29, v2, v23
	v_add_u32_e32 v23, 14, v29
	v_and_b32_e32 v1, 0x1fffff, v1
	v_add_u32_e32 v0, v1, v0
	v_mov_b32_e32 v1, v33
	v_cmp_ne_u32_e32 vcc, 0, v23
                                        ; implicit-def: $vgpr2
	s_and_saveexec_b64 s[28:29], vcc
	s_xor_b64 s[28:29], exec, s[28:29]
; %bb.20035:                            ;   in Loop: Header=BB6_18303 Depth=3
	v_cmp_lt_u64_e32 vcc, s[88:89], v[0:1]
	v_add_u32_e32 v2, 15, v29
	v_cndmask_b32_e32 v2, v23, v2, vcc
	v_cndmask_b32_e64 v23, 0, 1, vcc
	v_lshrrev_b64 v[0:1], v23, v[0:1]
; %bb.20036:                            ;   in Loop: Header=BB6_18303 Depth=3
	s_andn2_saveexec_b64 s[28:29], s[28:29]
; %bb.20037:                            ;   in Loop: Header=BB6_18303 Depth=3
	v_bfe_u32 v2, v0, 23, 1
; %bb.20038:                            ;   in Loop: Header=BB6_18303 Depth=3
	s_or_b64 exec, exec, s[28:29]
	v_lshrrev_b64 v[0:1], 21, v[0:1]
	v_cmp_gt_i32_e32 vcc, 32, v2
	v_cndmask_b32_e32 v1, 0, v1, vcc
	v_cndmask_b32_e32 v0, 3, v0, vcc
	v_cmp_ne_u64_e32 vcc, 0, v[0:1]
	v_cmp_ne_u32_e64 s[28:29], 0, v2
	s_or_b64 s[28:29], s[28:29], vcc
                                        ; implicit-def: $vgpr50
	s_and_saveexec_b64 s[62:63], s[28:29]
	s_xor_b64 s[28:29], exec, s[62:63]
; %bb.20039:                            ;   in Loop: Header=BB6_18303 Depth=3
	v_min_i32_e32 v1, 31, v2
	v_lshl_or_b32 v1, v1, 2, v7
	v_and_or_b32 v50, v0, 3, v1
                                        ; implicit-def: $vgpr7
; %bb.20040:                            ;   in Loop: Header=BB6_18303 Depth=3
	s_andn2_saveexec_b64 s[28:29], s[28:29]
; %bb.20041:                            ;   in Loop: Header=BB6_18303 Depth=3
	v_mov_b32_e32 v50, v7
; %bb.20042:                            ;   in Loop: Header=BB6_18303 Depth=3
	s_or_b64 exec, exec, s[28:29]
.LBB6_20043:                            ;   in Loop: Header=BB6_18303 Depth=3
	s_or_b64 exec, exec, s[38:39]
                                        ; implicit-def: $vgpr7
.LBB6_20044:                            ;   in Loop: Header=BB6_18303 Depth=3
	s_andn2_saveexec_b64 s[28:29], s[36:37]
; %bb.20045:                            ;   in Loop: Header=BB6_18303 Depth=3
	v_or_b32_e32 v50, 0x7b, v7
; %bb.20046:                            ;   in Loop: Header=BB6_18303 Depth=3
	s_or_b64 exec, exec, s[28:29]
                                        ; implicit-def: $vgpr2
                                        ; implicit-def: $vgpr0_vgpr1
.LBB6_20047:                            ;   in Loop: Header=BB6_18303 Depth=3
	s_andn2_saveexec_b64 s[28:29], s[34:35]
	s_cbranch_execz .LBB6_20053
; %bb.20048:                            ;   in Loop: Header=BB6_18303 Depth=3
	v_cmp_ne_u64_e32 vcc, 0, v[0:1]
                                        ; implicit-def: $vgpr50
	s_and_saveexec_b64 s[62:63], vcc
	s_xor_b64 vcc, exec, s[62:63]
; %bb.20049:                            ;   in Loop: Header=BB6_18303 Depth=3
	v_or_b32_sdwa v50, v2, s44 dst_sel:DWORD dst_unused:UNUSED_PAD src0_sel:BYTE_3 src1_sel:DWORD
                                        ; implicit-def: $vgpr2
; %bb.20050:                            ;   in Loop: Header=BB6_18303 Depth=3
	s_andn2_saveexec_b64 s[34:35], vcc
; %bb.20051:                            ;   in Loop: Header=BB6_18303 Depth=3
	v_cmp_lt_i32_e32 vcc, -1, v2
	v_mov_b32_e32 v0, 0x7c
	v_cndmask_b32_e32 v50, -4, v0, vcc
; %bb.20052:                            ;   in Loop: Header=BB6_18303 Depth=3
	s_or_b64 exec, exec, s[34:35]
.LBB6_20053:                            ;   in Loop: Header=BB6_18303 Depth=3
	s_or_b64 exec, exec, s[28:29]
	buffer_load_dword v0, off, s[0:3], s33 offset:180 ; 4-byte Folded Reload
	buffer_load_dword v1, off, s[0:3], s33 offset:184 ; 4-byte Folded Reload
	s_waitcnt vmcnt(0)
	v_mov_b32_e32 v1, 0
	v_and_b32_e32 v7, 0xff, v0
	v_cmp_ne_u16_e32 vcc, 0, v7
	v_mov_b32_e32 v0, 0
	s_and_saveexec_b64 s[28:29], vcc
	s_cbranch_execz .LBB6_20061
; %bb.20054:                            ;   in Loop: Header=BB6_18303 Depth=3
	v_cmp_ne_u16_e32 vcc, s97, v7
	v_bfrev_b32_e32 v1, 1
	s_and_saveexec_b64 s[34:35], vcc
	s_cbranch_execz .LBB6_20060
; %bb.20055:                            ;   in Loop: Header=BB6_18303 Depth=3
	buffer_load_dword v1, off, s[0:3], s33 offset:180 ; 4-byte Folded Reload
	buffer_load_dword v2, off, s[0:3], s33 offset:184 ; 4-byte Folded Reload
	s_waitcnt vmcnt(0)
	v_and_b32_e32 v2, 3, v1
	v_and_b32_e32 v1, 0x7c, v1
	v_cmp_ne_u32_e32 vcc, s86, v1
                                        ; implicit-def: $vgpr1
	s_and_saveexec_b64 s[62:63], vcc
	s_xor_b64 s[36:37], exec, s[62:63]
	s_cbranch_execz .LBB6_20057
; %bb.20056:                            ;   in Loop: Header=BB6_18303 Depth=3
	buffer_load_dword v53, off, s[0:3], s33 offset:180 ; 4-byte Folded Reload
	buffer_load_dword v54, off, s[0:3], s33 offset:184 ; 4-byte Folded Reload
	v_bfe_u32 v1, v7, 2, 5
	v_ffbh_u32_e32 v7, v2
	v_min_u32_e32 v7, 32, v7
	s_waitcnt vmcnt(0)
	v_mov_b32_e32 v54, v33
	v_subrev_u32_e32 v23, 29, v7
	v_sub_u32_e32 v7, 30, v7
	v_cmp_eq_u32_e32 vcc, 0, v1
	v_cndmask_b32_e32 v1, v1, v7, vcc
	v_lshlrev_b32_e32 v7, 24, v53
	v_lshlrev_b64 v[51:52], v23, v[53:54]
	v_and_b32_e32 v7, 0x80000000, v7
	v_and_b32_e32 v23, 3, v51
	v_cndmask_b32_e32 v2, v2, v23, vcc
	v_lshl_add_u32 v1, v1, 23, v7
	v_lshl_or_b32 v1, v2, 21, v1
	v_add_u32_e32 v1, 0x38000000, v1
                                        ; implicit-def: $vgpr7
                                        ; implicit-def: $vgpr2
	buffer_store_dword v7, off, s[0:3], s33 offset:180 ; 4-byte Folded Spill
	s_nop 0
	buffer_store_dword v8, off, s[0:3], s33 offset:184 ; 4-byte Folded Spill
.LBB6_20057:                            ;   in Loop: Header=BB6_18303 Depth=3
	s_andn2_saveexec_b64 s[36:37], s[36:37]
	s_cbranch_execz .LBB6_20059
; %bb.20058:                            ;   in Loop: Header=BB6_18303 Depth=3
	buffer_load_dword v51, off, s[0:3], s33 offset:180 ; 4-byte Folded Reload
	buffer_load_dword v52, off, s[0:3], s33 offset:184 ; 4-byte Folded Reload
	v_mov_b32_e32 v1, -1
	v_mov_b32_e32 v7, 0x7f800000
	s_waitcnt vmcnt(1)
	v_cmp_gt_i16_sdwa vcc, sext(v51), v1 src0_sel:BYTE_0 src1_sel:DWORD
	v_mov_b32_e32 v1, 0xff800000
	v_cndmask_b32_e32 v1, v1, v7, vcc
	v_cmp_eq_u32_e32 vcc, 0, v2
	v_mov_b32_e32 v2, 0x7f800001
	v_cndmask_b32_e32 v1, v2, v1, vcc
.LBB6_20059:                            ;   in Loop: Header=BB6_18303 Depth=3
	s_or_b64 exec, exec, s[36:37]
.LBB6_20060:                            ;   in Loop: Header=BB6_18303 Depth=3
	s_or_b64 exec, exec, s[34:35]
.LBB6_20061:                            ;   in Loop: Header=BB6_18303 Depth=3
	s_or_b64 exec, exec, s[28:29]
	v_cmp_ne_u16_e32 vcc, 0, v28
	s_and_saveexec_b64 s[28:29], vcc
	s_cbranch_execz .LBB6_20069
; %bb.20062:                            ;   in Loop: Header=BB6_18303 Depth=3
	v_cmp_ne_u16_e32 vcc, s46, v28
	v_bfrev_b32_e32 v0, 1
	s_and_saveexec_b64 s[34:35], vcc
	s_cbranch_execz .LBB6_20068
; %bb.20063:                            ;   in Loop: Header=BB6_18303 Depth=3
	v_and_b32_e32 v0, 0x7c, v28
	v_and_b32_e32 v2, 3, v28
	v_cmp_ne_u32_e32 vcc, s86, v0
                                        ; implicit-def: $vgpr0
	s_and_saveexec_b64 s[62:63], vcc
	s_xor_b64 s[36:37], exec, s[62:63]
	s_cbranch_execz .LBB6_20065
; %bb.20064:                            ;   in Loop: Header=BB6_18303 Depth=3
	v_ffbh_u32_e32 v7, v2
	v_min_u32_e32 v7, 32, v7
	v_and_b32_e32 v0, 0xff, v28
	v_mov_b32_e32 v29, v33
	v_subrev_u32_e32 v23, 29, v7
	v_bfe_u32 v0, v0, 2, 5
	s_waitcnt vmcnt(0)
	v_lshlrev_b64 v[51:52], v23, v[28:29]
	v_sub_u32_e32 v7, 30, v7
	v_cmp_eq_u32_e32 vcc, 0, v0
	v_and_b32_e32 v23, 3, v51
	v_cndmask_b32_e32 v0, v0, v7, vcc
	v_and_b32_sdwa v7, sext(v28), s87 dst_sel:DWORD dst_unused:UNUSED_PAD src0_sel:WORD_0 src1_sel:DWORD
	v_cndmask_b32_e32 v2, v2, v23, vcc
	v_lshl_add_u32 v0, v0, 23, v7
	v_lshl_or_b32 v0, v2, 21, v0
	v_add_u32_e32 v0, 0x38000000, v0
                                        ; implicit-def: $vgpr2
                                        ; implicit-def: $vgpr28
.LBB6_20065:                            ;   in Loop: Header=BB6_18303 Depth=3
	s_andn2_saveexec_b64 s[36:37], s[36:37]
; %bb.20066:                            ;   in Loop: Header=BB6_18303 Depth=3
	v_cmp_lt_i16_e32 vcc, -1, v28
	v_mov_b32_e32 v0, 0xff800000
	v_mov_b32_e32 v7, 0x7f800000
	v_cndmask_b32_e32 v0, v0, v7, vcc
	v_cmp_eq_u32_e32 vcc, 0, v2
	v_mov_b32_e32 v2, 0x7f800001
	v_cndmask_b32_e32 v0, v2, v0, vcc
; %bb.20067:                            ;   in Loop: Header=BB6_18303 Depth=3
	s_or_b64 exec, exec, s[36:37]
.LBB6_20068:                            ;   in Loop: Header=BB6_18303 Depth=3
	s_or_b64 exec, exec, s[34:35]
.LBB6_20069:                            ;   in Loop: Header=BB6_18303 Depth=3
	s_or_b64 exec, exec, s[28:29]
	v_add_f32_e32 v2, v1, v0
	v_and_b32_e32 v28, 0x7f800000, v2
	v_mov_b32_e32 v29, v33
	v_cmp_ne_u64_e32 vcc, s[76:77], v[28:29]
	v_and_b32_e32 v0, 0x7fffff, v2
	v_mov_b32_e32 v1, v33
                                        ; implicit-def: $vgpr29
	s_and_saveexec_b64 s[28:29], vcc
	s_xor_b64 s[34:35], exec, s[28:29]
	s_cbranch_execz .LBB6_20087
; %bb.20070:                            ;   in Loop: Header=BB6_18303 Depth=3
	v_and_b32_e32 v28, 0x7fffffff, v2
	v_mov_b32_e32 v29, v33
	v_cmp_gt_u64_e32 vcc, s[78:79], v[28:29]
	v_and_b32_sdwa v7, v2, s97 dst_sel:DWORD dst_unused:UNUSED_PAD src0_sel:BYTE_3 src1_sel:DWORD
                                        ; implicit-def: $vgpr29
	s_and_saveexec_b64 s[28:29], vcc
	s_xor_b64 s[36:37], exec, s[28:29]
	s_cbranch_execz .LBB6_20084
; %bb.20071:                            ;   in Loop: Header=BB6_18303 Depth=3
	v_cmp_ne_u32_e32 vcc, 0, v2
	v_mov_b32_e32 v29, 0
	s_and_saveexec_b64 s[38:39], vcc
	s_cbranch_execz .LBB6_20083
; %bb.20072:                            ;   in Loop: Header=BB6_18303 Depth=3
	v_bfe_u32 v23, v2, 23, 8
	v_cmp_gt_u32_e64 s[28:29], s47, v23
	v_sub_u32_e32 v2, 0x71, v23
	v_cmp_eq_u32_e32 vcc, 0, v23
	v_cndmask_b32_e64 v2, 0, v2, s[28:29]
	v_mov_b32_e32 v28, 0x70
	v_cndmask_b32_e32 v28, v2, v28, vcc
	v_add_u32_e32 v2, 21, v28
	v_or_b32_e32 v29, 0x800000, v0
	s_waitcnt vmcnt(0)
	v_lshlrev_b64 v[51:52], v2, -1
	v_cndmask_b32_e32 v0, v29, v0, vcc
	v_add_u32_e32 v2, 20, v28
	v_bfi_b32 v51, v51, 0, v0
	v_lshlrev_b64 v[53:54], v2, 1
	v_lshrrev_b64 v[0:1], v28, v[0:1]
	v_bfi_b32 v52, v52, 0, 0
	v_cmp_eq_u64_e64 s[28:29], v[51:52], v[53:54]
	v_mov_b32_e32 v2, v1
	v_mov_b32_e32 v1, v0
	s_and_saveexec_b64 s[48:49], s[28:29]
; %bb.20073:                            ;   in Loop: Header=BB6_18303 Depth=3
	v_bfe_u32 v1, v0, 21, 1
	v_add_co_u32_e64 v1, s[28:29], v0, v1
	v_add_co_u32_e64 v1, s[28:29], -1, v1
; %bb.20074:                            ;   in Loop: Header=BB6_18303 Depth=3
	s_or_b64 exec, exec, s[48:49]
	v_add_u32_e32 v2, 0xffffff81, v23
	v_mov_b32_e32 v23, 0xffffff82
	v_cndmask_b32_e32 v2, v2, v23, vcc
	v_lshrrev_b32_e32 v23, 23, v0
	v_add3_u32 v28, v28, v2, v23
	v_add_u32_e32 v23, 14, v28
	v_and_b32_e32 v1, 0x1fffff, v1
	v_add_u32_e32 v0, v1, v0
	v_mov_b32_e32 v1, v33
	v_cmp_ne_u32_e32 vcc, 0, v23
                                        ; implicit-def: $vgpr2
	s_and_saveexec_b64 s[28:29], vcc
	s_xor_b64 s[28:29], exec, s[28:29]
; %bb.20075:                            ;   in Loop: Header=BB6_18303 Depth=3
	v_cmp_lt_u64_e32 vcc, s[88:89], v[0:1]
	v_add_u32_e32 v2, 15, v28
	v_cndmask_b32_e32 v2, v23, v2, vcc
	v_cndmask_b32_e64 v23, 0, 1, vcc
	v_lshrrev_b64 v[0:1], v23, v[0:1]
; %bb.20076:                            ;   in Loop: Header=BB6_18303 Depth=3
	s_andn2_saveexec_b64 s[28:29], s[28:29]
; %bb.20077:                            ;   in Loop: Header=BB6_18303 Depth=3
	v_bfe_u32 v2, v0, 23, 1
; %bb.20078:                            ;   in Loop: Header=BB6_18303 Depth=3
	s_or_b64 exec, exec, s[28:29]
	v_lshrrev_b64 v[0:1], 21, v[0:1]
	v_cmp_gt_i32_e32 vcc, 32, v2
	v_cndmask_b32_e32 v1, 0, v1, vcc
	v_cndmask_b32_e32 v0, 3, v0, vcc
	v_cmp_ne_u64_e32 vcc, 0, v[0:1]
	v_cmp_ne_u32_e64 s[28:29], 0, v2
	s_or_b64 s[28:29], s[28:29], vcc
                                        ; implicit-def: $vgpr29
	s_and_saveexec_b64 s[62:63], s[28:29]
	s_xor_b64 s[28:29], exec, s[62:63]
; %bb.20079:                            ;   in Loop: Header=BB6_18303 Depth=3
	v_min_i32_e32 v1, 31, v2
	v_lshl_or_b32 v1, v1, 2, v7
	v_and_or_b32 v29, v0, 3, v1
                                        ; implicit-def: $vgpr7
; %bb.20080:                            ;   in Loop: Header=BB6_18303 Depth=3
	s_andn2_saveexec_b64 s[28:29], s[28:29]
; %bb.20081:                            ;   in Loop: Header=BB6_18303 Depth=3
	v_mov_b32_e32 v29, v7
; %bb.20082:                            ;   in Loop: Header=BB6_18303 Depth=3
	s_or_b64 exec, exec, s[28:29]
.LBB6_20083:                            ;   in Loop: Header=BB6_18303 Depth=3
	s_or_b64 exec, exec, s[38:39]
                                        ; implicit-def: $vgpr7
.LBB6_20084:                            ;   in Loop: Header=BB6_18303 Depth=3
	s_andn2_saveexec_b64 s[28:29], s[36:37]
; %bb.20085:                            ;   in Loop: Header=BB6_18303 Depth=3
	v_or_b32_e32 v29, 0x7b, v7
; %bb.20086:                            ;   in Loop: Header=BB6_18303 Depth=3
	s_or_b64 exec, exec, s[28:29]
                                        ; implicit-def: $vgpr2
                                        ; implicit-def: $vgpr0_vgpr1
.LBB6_20087:                            ;   in Loop: Header=BB6_18303 Depth=3
	s_andn2_saveexec_b64 s[28:29], s[34:35]
	s_cbranch_execz .LBB6_20093
; %bb.20088:                            ;   in Loop: Header=BB6_18303 Depth=3
	v_cmp_ne_u64_e32 vcc, 0, v[0:1]
                                        ; implicit-def: $vgpr29
	s_and_saveexec_b64 s[62:63], vcc
	s_xor_b64 vcc, exec, s[62:63]
; %bb.20089:                            ;   in Loop: Header=BB6_18303 Depth=3
	v_or_b32_sdwa v29, v2, s44 dst_sel:DWORD dst_unused:UNUSED_PAD src0_sel:BYTE_3 src1_sel:DWORD
                                        ; implicit-def: $vgpr2
; %bb.20090:                            ;   in Loop: Header=BB6_18303 Depth=3
	s_andn2_saveexec_b64 s[34:35], vcc
; %bb.20091:                            ;   in Loop: Header=BB6_18303 Depth=3
	v_cmp_lt_i32_e32 vcc, -1, v2
	v_mov_b32_e32 v0, 0x7c
	v_cndmask_b32_e32 v29, -4, v0, vcc
; %bb.20092:                            ;   in Loop: Header=BB6_18303 Depth=3
	s_or_b64 exec, exec, s[34:35]
.LBB6_20093:                            ;   in Loop: Header=BB6_18303 Depth=3
	s_or_b64 exec, exec, s[28:29]
	buffer_load_dword v0, off, s[0:3], s33 offset:172 ; 4-byte Folded Reload
	buffer_load_dword v1, off, s[0:3], s33 offset:176 ; 4-byte Folded Reload
	s_waitcnt vmcnt(0)
	v_mov_b32_e32 v1, 0
	v_and_b32_e32 v7, 0xff, v0
	v_cmp_ne_u16_e32 vcc, 0, v7
	v_mov_b32_e32 v0, 0
	s_and_saveexec_b64 s[28:29], vcc
	s_cbranch_execz .LBB6_20101
; %bb.20094:                            ;   in Loop: Header=BB6_18303 Depth=3
	v_cmp_ne_u16_e32 vcc, s97, v7
	v_bfrev_b32_e32 v1, 1
	s_and_saveexec_b64 s[34:35], vcc
	s_cbranch_execz .LBB6_20100
; %bb.20095:                            ;   in Loop: Header=BB6_18303 Depth=3
	buffer_load_dword v1, off, s[0:3], s33 offset:172 ; 4-byte Folded Reload
	buffer_load_dword v2, off, s[0:3], s33 offset:176 ; 4-byte Folded Reload
	s_waitcnt vmcnt(0)
	v_and_b32_e32 v2, 3, v1
	v_and_b32_e32 v1, 0x7c, v1
	v_cmp_ne_u32_e32 vcc, s86, v1
                                        ; implicit-def: $vgpr1
	s_and_saveexec_b64 s[62:63], vcc
	s_xor_b64 s[36:37], exec, s[62:63]
	s_cbranch_execz .LBB6_20097
; %bb.20096:                            ;   in Loop: Header=BB6_18303 Depth=3
	buffer_load_dword v53, off, s[0:3], s33 offset:172 ; 4-byte Folded Reload
	buffer_load_dword v54, off, s[0:3], s33 offset:176 ; 4-byte Folded Reload
	v_bfe_u32 v1, v7, 2, 5
	v_ffbh_u32_e32 v7, v2
	v_min_u32_e32 v7, 32, v7
	s_waitcnt vmcnt(0)
	v_mov_b32_e32 v54, v33
	v_subrev_u32_e32 v23, 29, v7
	v_sub_u32_e32 v7, 30, v7
	v_cmp_eq_u32_e32 vcc, 0, v1
	v_cndmask_b32_e32 v1, v1, v7, vcc
	v_lshlrev_b32_e32 v7, 24, v53
	v_lshlrev_b64 v[51:52], v23, v[53:54]
	v_and_b32_e32 v7, 0x80000000, v7
	v_and_b32_e32 v23, 3, v51
	v_cndmask_b32_e32 v2, v2, v23, vcc
	v_lshl_add_u32 v1, v1, 23, v7
	v_lshl_or_b32 v1, v2, 21, v1
	v_add_u32_e32 v1, 0x38000000, v1
                                        ; implicit-def: $vgpr7
                                        ; implicit-def: $vgpr2
	buffer_store_dword v7, off, s[0:3], s33 offset:172 ; 4-byte Folded Spill
	s_nop 0
	buffer_store_dword v8, off, s[0:3], s33 offset:176 ; 4-byte Folded Spill
.LBB6_20097:                            ;   in Loop: Header=BB6_18303 Depth=3
	s_andn2_saveexec_b64 s[36:37], s[36:37]
	s_cbranch_execz .LBB6_20099
; %bb.20098:                            ;   in Loop: Header=BB6_18303 Depth=3
	buffer_load_dword v51, off, s[0:3], s33 offset:172 ; 4-byte Folded Reload
	buffer_load_dword v52, off, s[0:3], s33 offset:176 ; 4-byte Folded Reload
	v_mov_b32_e32 v1, -1
	v_mov_b32_e32 v7, 0x7f800000
	s_waitcnt vmcnt(1)
	v_cmp_gt_i16_sdwa vcc, sext(v51), v1 src0_sel:BYTE_0 src1_sel:DWORD
	v_mov_b32_e32 v1, 0xff800000
	v_cndmask_b32_e32 v1, v1, v7, vcc
	v_cmp_eq_u32_e32 vcc, 0, v2
	v_mov_b32_e32 v2, 0x7f800001
	v_cndmask_b32_e32 v1, v2, v1, vcc
.LBB6_20099:                            ;   in Loop: Header=BB6_18303 Depth=3
	s_or_b64 exec, exec, s[36:37]
.LBB6_20100:                            ;   in Loop: Header=BB6_18303 Depth=3
	s_or_b64 exec, exec, s[34:35]
.LBB6_20101:                            ;   in Loop: Header=BB6_18303 Depth=3
	s_or_b64 exec, exec, s[28:29]
	v_cmp_ne_u16_e32 vcc, 0, v27
	s_and_saveexec_b64 s[28:29], vcc
	s_cbranch_execz .LBB6_20109
; %bb.20102:                            ;   in Loop: Header=BB6_18303 Depth=3
	v_cmp_ne_u16_e32 vcc, s46, v27
	v_bfrev_b32_e32 v0, 1
	s_and_saveexec_b64 s[34:35], vcc
	s_cbranch_execz .LBB6_20108
; %bb.20103:                            ;   in Loop: Header=BB6_18303 Depth=3
	v_and_b32_e32 v0, 0x7c, v27
	v_and_b32_e32 v2, 3, v27
	v_cmp_ne_u32_e32 vcc, s86, v0
                                        ; implicit-def: $vgpr0
	s_and_saveexec_b64 s[62:63], vcc
	s_xor_b64 s[36:37], exec, s[62:63]
	s_cbranch_execz .LBB6_20105
; %bb.20104:                            ;   in Loop: Header=BB6_18303 Depth=3
	v_ffbh_u32_e32 v7, v2
	v_min_u32_e32 v7, 32, v7
	v_and_b32_e32 v0, 0xff, v27
	v_mov_b32_e32 v28, v33
	v_subrev_u32_e32 v23, 29, v7
	v_bfe_u32 v0, v0, 2, 5
	s_waitcnt vmcnt(0)
	v_lshlrev_b64 v[51:52], v23, v[27:28]
	v_sub_u32_e32 v7, 30, v7
	v_cmp_eq_u32_e32 vcc, 0, v0
	v_and_b32_e32 v23, 3, v51
	v_cndmask_b32_e32 v0, v0, v7, vcc
	v_and_b32_sdwa v7, sext(v27), s87 dst_sel:DWORD dst_unused:UNUSED_PAD src0_sel:WORD_0 src1_sel:DWORD
	v_cndmask_b32_e32 v2, v2, v23, vcc
	v_lshl_add_u32 v0, v0, 23, v7
	v_lshl_or_b32 v0, v2, 21, v0
	v_add_u32_e32 v0, 0x38000000, v0
                                        ; implicit-def: $vgpr2
                                        ; implicit-def: $vgpr27
.LBB6_20105:                            ;   in Loop: Header=BB6_18303 Depth=3
	s_andn2_saveexec_b64 s[36:37], s[36:37]
; %bb.20106:                            ;   in Loop: Header=BB6_18303 Depth=3
	v_cmp_lt_i16_e32 vcc, -1, v27
	v_mov_b32_e32 v0, 0xff800000
	v_mov_b32_e32 v7, 0x7f800000
	v_cndmask_b32_e32 v0, v0, v7, vcc
	v_cmp_eq_u32_e32 vcc, 0, v2
	v_mov_b32_e32 v2, 0x7f800001
	v_cndmask_b32_e32 v0, v2, v0, vcc
; %bb.20107:                            ;   in Loop: Header=BB6_18303 Depth=3
	s_or_b64 exec, exec, s[36:37]
.LBB6_20108:                            ;   in Loop: Header=BB6_18303 Depth=3
	s_or_b64 exec, exec, s[34:35]
.LBB6_20109:                            ;   in Loop: Header=BB6_18303 Depth=3
	s_or_b64 exec, exec, s[28:29]
	v_add_f32_e32 v2, v1, v0
	v_and_b32_e32 v27, 0x7f800000, v2
	v_mov_b32_e32 v28, v33
	v_cmp_ne_u64_e32 vcc, s[76:77], v[27:28]
	v_and_b32_e32 v0, 0x7fffff, v2
	v_mov_b32_e32 v1, v33
                                        ; implicit-def: $vgpr28
	s_and_saveexec_b64 s[28:29], vcc
	s_xor_b64 s[34:35], exec, s[28:29]
	s_cbranch_execz .LBB6_20127
; %bb.20110:                            ;   in Loop: Header=BB6_18303 Depth=3
	v_and_b32_e32 v27, 0x7fffffff, v2
	v_mov_b32_e32 v28, v33
	v_cmp_gt_u64_e32 vcc, s[78:79], v[27:28]
	v_and_b32_sdwa v7, v2, s97 dst_sel:DWORD dst_unused:UNUSED_PAD src0_sel:BYTE_3 src1_sel:DWORD
                                        ; implicit-def: $vgpr28
	s_and_saveexec_b64 s[28:29], vcc
	s_xor_b64 s[36:37], exec, s[28:29]
	s_cbranch_execz .LBB6_20124
; %bb.20111:                            ;   in Loop: Header=BB6_18303 Depth=3
	v_cmp_ne_u32_e32 vcc, 0, v2
	v_mov_b32_e32 v28, 0
	s_and_saveexec_b64 s[38:39], vcc
	s_cbranch_execz .LBB6_20123
; %bb.20112:                            ;   in Loop: Header=BB6_18303 Depth=3
	v_bfe_u32 v23, v2, 23, 8
	v_cmp_gt_u32_e64 s[28:29], s47, v23
	v_sub_u32_e32 v2, 0x71, v23
	v_cmp_eq_u32_e32 vcc, 0, v23
	v_cndmask_b32_e64 v2, 0, v2, s[28:29]
	v_mov_b32_e32 v27, 0x70
	v_cndmask_b32_e32 v27, v2, v27, vcc
	v_add_u32_e32 v2, 21, v27
	v_or_b32_e32 v28, 0x800000, v0
	s_waitcnt vmcnt(0)
	v_lshlrev_b64 v[51:52], v2, -1
	v_cndmask_b32_e32 v0, v28, v0, vcc
	v_add_u32_e32 v2, 20, v27
	v_bfi_b32 v51, v51, 0, v0
	v_lshlrev_b64 v[53:54], v2, 1
	v_lshrrev_b64 v[0:1], v27, v[0:1]
	v_bfi_b32 v52, v52, 0, 0
	v_cmp_eq_u64_e64 s[28:29], v[51:52], v[53:54]
	v_mov_b32_e32 v2, v1
	v_mov_b32_e32 v1, v0
	s_and_saveexec_b64 s[48:49], s[28:29]
; %bb.20113:                            ;   in Loop: Header=BB6_18303 Depth=3
	v_bfe_u32 v1, v0, 21, 1
	v_add_co_u32_e64 v1, s[28:29], v0, v1
	v_add_co_u32_e64 v1, s[28:29], -1, v1
; %bb.20114:                            ;   in Loop: Header=BB6_18303 Depth=3
	s_or_b64 exec, exec, s[48:49]
	v_add_u32_e32 v2, 0xffffff81, v23
	v_mov_b32_e32 v23, 0xffffff82
	v_cndmask_b32_e32 v2, v2, v23, vcc
	v_lshrrev_b32_e32 v23, 23, v0
	v_add3_u32 v27, v27, v2, v23
	v_add_u32_e32 v23, 14, v27
	v_and_b32_e32 v1, 0x1fffff, v1
	v_add_u32_e32 v0, v1, v0
	v_mov_b32_e32 v1, v33
	v_cmp_ne_u32_e32 vcc, 0, v23
                                        ; implicit-def: $vgpr2
	s_and_saveexec_b64 s[28:29], vcc
	s_xor_b64 s[28:29], exec, s[28:29]
; %bb.20115:                            ;   in Loop: Header=BB6_18303 Depth=3
	v_cmp_lt_u64_e32 vcc, s[88:89], v[0:1]
	v_add_u32_e32 v2, 15, v27
	v_cndmask_b32_e32 v2, v23, v2, vcc
	v_cndmask_b32_e64 v23, 0, 1, vcc
	v_lshrrev_b64 v[0:1], v23, v[0:1]
; %bb.20116:                            ;   in Loop: Header=BB6_18303 Depth=3
	s_andn2_saveexec_b64 s[28:29], s[28:29]
; %bb.20117:                            ;   in Loop: Header=BB6_18303 Depth=3
	v_bfe_u32 v2, v0, 23, 1
; %bb.20118:                            ;   in Loop: Header=BB6_18303 Depth=3
	s_or_b64 exec, exec, s[28:29]
	v_lshrrev_b64 v[0:1], 21, v[0:1]
	v_cmp_gt_i32_e32 vcc, 32, v2
	v_cndmask_b32_e32 v1, 0, v1, vcc
	v_cndmask_b32_e32 v0, 3, v0, vcc
	v_cmp_ne_u64_e32 vcc, 0, v[0:1]
	v_cmp_ne_u32_e64 s[28:29], 0, v2
	s_or_b64 s[28:29], s[28:29], vcc
                                        ; implicit-def: $vgpr28
	s_and_saveexec_b64 s[62:63], s[28:29]
	s_xor_b64 s[28:29], exec, s[62:63]
; %bb.20119:                            ;   in Loop: Header=BB6_18303 Depth=3
	v_min_i32_e32 v1, 31, v2
	v_lshl_or_b32 v1, v1, 2, v7
	v_and_or_b32 v28, v0, 3, v1
                                        ; implicit-def: $vgpr7
; %bb.20120:                            ;   in Loop: Header=BB6_18303 Depth=3
	s_andn2_saveexec_b64 s[28:29], s[28:29]
; %bb.20121:                            ;   in Loop: Header=BB6_18303 Depth=3
	v_mov_b32_e32 v28, v7
; %bb.20122:                            ;   in Loop: Header=BB6_18303 Depth=3
	s_or_b64 exec, exec, s[28:29]
.LBB6_20123:                            ;   in Loop: Header=BB6_18303 Depth=3
	s_or_b64 exec, exec, s[38:39]
                                        ; implicit-def: $vgpr7
.LBB6_20124:                            ;   in Loop: Header=BB6_18303 Depth=3
	s_andn2_saveexec_b64 s[28:29], s[36:37]
; %bb.20125:                            ;   in Loop: Header=BB6_18303 Depth=3
	v_or_b32_e32 v28, 0x7b, v7
; %bb.20126:                            ;   in Loop: Header=BB6_18303 Depth=3
	s_or_b64 exec, exec, s[28:29]
                                        ; implicit-def: $vgpr2
                                        ; implicit-def: $vgpr0_vgpr1
.LBB6_20127:                            ;   in Loop: Header=BB6_18303 Depth=3
	s_andn2_saveexec_b64 s[28:29], s[34:35]
	s_cbranch_execz .LBB6_20133
; %bb.20128:                            ;   in Loop: Header=BB6_18303 Depth=3
	v_cmp_ne_u64_e32 vcc, 0, v[0:1]
                                        ; implicit-def: $vgpr28
	s_and_saveexec_b64 s[62:63], vcc
	s_xor_b64 vcc, exec, s[62:63]
; %bb.20129:                            ;   in Loop: Header=BB6_18303 Depth=3
	v_or_b32_sdwa v28, v2, s44 dst_sel:DWORD dst_unused:UNUSED_PAD src0_sel:BYTE_3 src1_sel:DWORD
                                        ; implicit-def: $vgpr2
; %bb.20130:                            ;   in Loop: Header=BB6_18303 Depth=3
	s_andn2_saveexec_b64 s[34:35], vcc
; %bb.20131:                            ;   in Loop: Header=BB6_18303 Depth=3
	v_cmp_lt_i32_e32 vcc, -1, v2
	v_mov_b32_e32 v0, 0x7c
	v_cndmask_b32_e32 v28, -4, v0, vcc
; %bb.20132:                            ;   in Loop: Header=BB6_18303 Depth=3
	s_or_b64 exec, exec, s[34:35]
.LBB6_20133:                            ;   in Loop: Header=BB6_18303 Depth=3
	s_or_b64 exec, exec, s[28:29]
	buffer_load_dword v0, off, s[0:3], s33 offset:164 ; 4-byte Folded Reload
	buffer_load_dword v1, off, s[0:3], s33 offset:168 ; 4-byte Folded Reload
	s_waitcnt vmcnt(0)
	v_mov_b32_e32 v1, 0
	v_and_b32_e32 v7, 0xff, v0
	v_cmp_ne_u16_e32 vcc, 0, v7
	v_mov_b32_e32 v0, 0
	s_and_saveexec_b64 s[28:29], vcc
	s_cbranch_execz .LBB6_20141
; %bb.20134:                            ;   in Loop: Header=BB6_18303 Depth=3
	v_cmp_ne_u16_e32 vcc, s97, v7
	v_bfrev_b32_e32 v1, 1
	s_and_saveexec_b64 s[34:35], vcc
	s_cbranch_execz .LBB6_20140
; %bb.20135:                            ;   in Loop: Header=BB6_18303 Depth=3
	buffer_load_dword v1, off, s[0:3], s33 offset:164 ; 4-byte Folded Reload
	buffer_load_dword v2, off, s[0:3], s33 offset:168 ; 4-byte Folded Reload
	s_waitcnt vmcnt(0)
	v_and_b32_e32 v2, 3, v1
	v_and_b32_e32 v1, 0x7c, v1
	v_cmp_ne_u32_e32 vcc, s86, v1
                                        ; implicit-def: $vgpr1
	s_and_saveexec_b64 s[62:63], vcc
	s_xor_b64 s[36:37], exec, s[62:63]
	s_cbranch_execz .LBB6_20137
; %bb.20136:                            ;   in Loop: Header=BB6_18303 Depth=3
	buffer_load_dword v53, off, s[0:3], s33 offset:164 ; 4-byte Folded Reload
	buffer_load_dword v54, off, s[0:3], s33 offset:168 ; 4-byte Folded Reload
	v_bfe_u32 v1, v7, 2, 5
	v_ffbh_u32_e32 v7, v2
	v_min_u32_e32 v7, 32, v7
	s_waitcnt vmcnt(0)
	v_mov_b32_e32 v54, v33
	v_subrev_u32_e32 v23, 29, v7
	v_sub_u32_e32 v7, 30, v7
	v_cmp_eq_u32_e32 vcc, 0, v1
	v_cndmask_b32_e32 v1, v1, v7, vcc
	v_lshlrev_b32_e32 v7, 24, v53
	v_lshlrev_b64 v[51:52], v23, v[53:54]
	v_and_b32_e32 v7, 0x80000000, v7
	v_and_b32_e32 v23, 3, v51
	v_cndmask_b32_e32 v2, v2, v23, vcc
	v_lshl_add_u32 v1, v1, 23, v7
	v_lshl_or_b32 v1, v2, 21, v1
	v_add_u32_e32 v1, 0x38000000, v1
                                        ; implicit-def: $vgpr7
                                        ; implicit-def: $vgpr2
	buffer_store_dword v7, off, s[0:3], s33 offset:164 ; 4-byte Folded Spill
	s_nop 0
	buffer_store_dword v8, off, s[0:3], s33 offset:168 ; 4-byte Folded Spill
.LBB6_20137:                            ;   in Loop: Header=BB6_18303 Depth=3
	s_andn2_saveexec_b64 s[36:37], s[36:37]
	s_cbranch_execz .LBB6_20139
; %bb.20138:                            ;   in Loop: Header=BB6_18303 Depth=3
	buffer_load_dword v51, off, s[0:3], s33 offset:164 ; 4-byte Folded Reload
	buffer_load_dword v52, off, s[0:3], s33 offset:168 ; 4-byte Folded Reload
	v_mov_b32_e32 v1, -1
	v_mov_b32_e32 v7, 0x7f800000
	s_waitcnt vmcnt(1)
	v_cmp_gt_i16_sdwa vcc, sext(v51), v1 src0_sel:BYTE_0 src1_sel:DWORD
	v_mov_b32_e32 v1, 0xff800000
	v_cndmask_b32_e32 v1, v1, v7, vcc
	v_cmp_eq_u32_e32 vcc, 0, v2
	v_mov_b32_e32 v2, 0x7f800001
	v_cndmask_b32_e32 v1, v2, v1, vcc
.LBB6_20139:                            ;   in Loop: Header=BB6_18303 Depth=3
	s_or_b64 exec, exec, s[36:37]
.LBB6_20140:                            ;   in Loop: Header=BB6_18303 Depth=3
	s_or_b64 exec, exec, s[34:35]
.LBB6_20141:                            ;   in Loop: Header=BB6_18303 Depth=3
	s_or_b64 exec, exec, s[28:29]
	v_cmp_ne_u16_e32 vcc, 0, v26
	s_and_saveexec_b64 s[28:29], vcc
	s_cbranch_execz .LBB6_20149
; %bb.20142:                            ;   in Loop: Header=BB6_18303 Depth=3
	v_cmp_ne_u16_e32 vcc, s46, v26
	v_bfrev_b32_e32 v0, 1
	s_and_saveexec_b64 s[34:35], vcc
	s_cbranch_execz .LBB6_20148
; %bb.20143:                            ;   in Loop: Header=BB6_18303 Depth=3
	v_and_b32_e32 v0, 0x7c, v26
	v_and_b32_e32 v2, 3, v26
	v_cmp_ne_u32_e32 vcc, s86, v0
                                        ; implicit-def: $vgpr0
	s_and_saveexec_b64 s[62:63], vcc
	s_xor_b64 s[36:37], exec, s[62:63]
	s_cbranch_execz .LBB6_20145
; %bb.20144:                            ;   in Loop: Header=BB6_18303 Depth=3
	v_ffbh_u32_e32 v7, v2
	v_min_u32_e32 v7, 32, v7
	v_and_b32_e32 v0, 0xff, v26
	v_mov_b32_e32 v27, v33
	v_subrev_u32_e32 v23, 29, v7
	v_bfe_u32 v0, v0, 2, 5
	s_waitcnt vmcnt(0)
	v_lshlrev_b64 v[51:52], v23, v[26:27]
	v_sub_u32_e32 v7, 30, v7
	v_cmp_eq_u32_e32 vcc, 0, v0
	v_and_b32_e32 v23, 3, v51
	v_cndmask_b32_e32 v0, v0, v7, vcc
	v_and_b32_sdwa v7, sext(v26), s87 dst_sel:DWORD dst_unused:UNUSED_PAD src0_sel:WORD_0 src1_sel:DWORD
	v_cndmask_b32_e32 v2, v2, v23, vcc
	v_lshl_add_u32 v0, v0, 23, v7
	v_lshl_or_b32 v0, v2, 21, v0
	v_add_u32_e32 v0, 0x38000000, v0
                                        ; implicit-def: $vgpr2
                                        ; implicit-def: $vgpr26
.LBB6_20145:                            ;   in Loop: Header=BB6_18303 Depth=3
	s_andn2_saveexec_b64 s[36:37], s[36:37]
; %bb.20146:                            ;   in Loop: Header=BB6_18303 Depth=3
	v_cmp_lt_i16_e32 vcc, -1, v26
	v_mov_b32_e32 v0, 0xff800000
	v_mov_b32_e32 v7, 0x7f800000
	v_cndmask_b32_e32 v0, v0, v7, vcc
	v_cmp_eq_u32_e32 vcc, 0, v2
	v_mov_b32_e32 v2, 0x7f800001
	v_cndmask_b32_e32 v0, v2, v0, vcc
; %bb.20147:                            ;   in Loop: Header=BB6_18303 Depth=3
	s_or_b64 exec, exec, s[36:37]
.LBB6_20148:                            ;   in Loop: Header=BB6_18303 Depth=3
	s_or_b64 exec, exec, s[34:35]
.LBB6_20149:                            ;   in Loop: Header=BB6_18303 Depth=3
	s_or_b64 exec, exec, s[28:29]
	v_add_f32_e32 v2, v1, v0
	v_and_b32_e32 v26, 0x7f800000, v2
	v_mov_b32_e32 v27, v33
	v_cmp_ne_u64_e32 vcc, s[76:77], v[26:27]
	v_and_b32_e32 v0, 0x7fffff, v2
	v_mov_b32_e32 v1, v33
                                        ; implicit-def: $vgpr27
	s_and_saveexec_b64 s[28:29], vcc
	s_xor_b64 s[34:35], exec, s[28:29]
	s_cbranch_execz .LBB6_20167
; %bb.20150:                            ;   in Loop: Header=BB6_18303 Depth=3
	v_and_b32_e32 v26, 0x7fffffff, v2
	v_mov_b32_e32 v27, v33
	v_cmp_gt_u64_e32 vcc, s[78:79], v[26:27]
	v_and_b32_sdwa v7, v2, s97 dst_sel:DWORD dst_unused:UNUSED_PAD src0_sel:BYTE_3 src1_sel:DWORD
                                        ; implicit-def: $vgpr27
	s_and_saveexec_b64 s[28:29], vcc
	s_xor_b64 s[36:37], exec, s[28:29]
	s_cbranch_execz .LBB6_20164
; %bb.20151:                            ;   in Loop: Header=BB6_18303 Depth=3
	v_cmp_ne_u32_e32 vcc, 0, v2
	v_mov_b32_e32 v27, 0
	s_and_saveexec_b64 s[38:39], vcc
	s_cbranch_execz .LBB6_20163
; %bb.20152:                            ;   in Loop: Header=BB6_18303 Depth=3
	v_bfe_u32 v23, v2, 23, 8
	v_cmp_gt_u32_e64 s[28:29], s47, v23
	v_sub_u32_e32 v2, 0x71, v23
	v_cmp_eq_u32_e32 vcc, 0, v23
	v_cndmask_b32_e64 v2, 0, v2, s[28:29]
	v_mov_b32_e32 v26, 0x70
	v_cndmask_b32_e32 v26, v2, v26, vcc
	v_add_u32_e32 v2, 21, v26
	v_or_b32_e32 v27, 0x800000, v0
	s_waitcnt vmcnt(0)
	v_lshlrev_b64 v[51:52], v2, -1
	v_cndmask_b32_e32 v0, v27, v0, vcc
	v_add_u32_e32 v2, 20, v26
	v_bfi_b32 v51, v51, 0, v0
	v_lshlrev_b64 v[53:54], v2, 1
	v_lshrrev_b64 v[0:1], v26, v[0:1]
	v_bfi_b32 v52, v52, 0, 0
	v_cmp_eq_u64_e64 s[28:29], v[51:52], v[53:54]
	v_mov_b32_e32 v2, v1
	v_mov_b32_e32 v1, v0
	s_and_saveexec_b64 s[48:49], s[28:29]
; %bb.20153:                            ;   in Loop: Header=BB6_18303 Depth=3
	v_bfe_u32 v1, v0, 21, 1
	v_add_co_u32_e64 v1, s[28:29], v0, v1
	v_add_co_u32_e64 v1, s[28:29], -1, v1
; %bb.20154:                            ;   in Loop: Header=BB6_18303 Depth=3
	s_or_b64 exec, exec, s[48:49]
	v_add_u32_e32 v2, 0xffffff81, v23
	v_mov_b32_e32 v23, 0xffffff82
	v_cndmask_b32_e32 v2, v2, v23, vcc
	v_lshrrev_b32_e32 v23, 23, v0
	v_add3_u32 v26, v26, v2, v23
	v_add_u32_e32 v23, 14, v26
	v_and_b32_e32 v1, 0x1fffff, v1
	v_add_u32_e32 v0, v1, v0
	v_mov_b32_e32 v1, v33
	v_cmp_ne_u32_e32 vcc, 0, v23
                                        ; implicit-def: $vgpr2
	s_and_saveexec_b64 s[28:29], vcc
	s_xor_b64 s[28:29], exec, s[28:29]
; %bb.20155:                            ;   in Loop: Header=BB6_18303 Depth=3
	v_cmp_lt_u64_e32 vcc, s[88:89], v[0:1]
	v_add_u32_e32 v2, 15, v26
	v_cndmask_b32_e32 v2, v23, v2, vcc
	v_cndmask_b32_e64 v23, 0, 1, vcc
	v_lshrrev_b64 v[0:1], v23, v[0:1]
; %bb.20156:                            ;   in Loop: Header=BB6_18303 Depth=3
	s_andn2_saveexec_b64 s[28:29], s[28:29]
; %bb.20157:                            ;   in Loop: Header=BB6_18303 Depth=3
	v_bfe_u32 v2, v0, 23, 1
; %bb.20158:                            ;   in Loop: Header=BB6_18303 Depth=3
	s_or_b64 exec, exec, s[28:29]
	v_lshrrev_b64 v[0:1], 21, v[0:1]
	v_cmp_gt_i32_e32 vcc, 32, v2
	v_cndmask_b32_e32 v1, 0, v1, vcc
	v_cndmask_b32_e32 v0, 3, v0, vcc
	v_cmp_ne_u64_e32 vcc, 0, v[0:1]
	v_cmp_ne_u32_e64 s[28:29], 0, v2
	s_or_b64 s[28:29], s[28:29], vcc
                                        ; implicit-def: $vgpr27
	s_and_saveexec_b64 s[62:63], s[28:29]
	s_xor_b64 s[28:29], exec, s[62:63]
; %bb.20159:                            ;   in Loop: Header=BB6_18303 Depth=3
	v_min_i32_e32 v1, 31, v2
	v_lshl_or_b32 v1, v1, 2, v7
	v_and_or_b32 v27, v0, 3, v1
                                        ; implicit-def: $vgpr7
; %bb.20160:                            ;   in Loop: Header=BB6_18303 Depth=3
	s_andn2_saveexec_b64 s[28:29], s[28:29]
; %bb.20161:                            ;   in Loop: Header=BB6_18303 Depth=3
	v_mov_b32_e32 v27, v7
; %bb.20162:                            ;   in Loop: Header=BB6_18303 Depth=3
	s_or_b64 exec, exec, s[28:29]
.LBB6_20163:                            ;   in Loop: Header=BB6_18303 Depth=3
	s_or_b64 exec, exec, s[38:39]
                                        ; implicit-def: $vgpr7
.LBB6_20164:                            ;   in Loop: Header=BB6_18303 Depth=3
	s_andn2_saveexec_b64 s[28:29], s[36:37]
; %bb.20165:                            ;   in Loop: Header=BB6_18303 Depth=3
	v_or_b32_e32 v27, 0x7b, v7
; %bb.20166:                            ;   in Loop: Header=BB6_18303 Depth=3
	s_or_b64 exec, exec, s[28:29]
                                        ; implicit-def: $vgpr2
                                        ; implicit-def: $vgpr0_vgpr1
.LBB6_20167:                            ;   in Loop: Header=BB6_18303 Depth=3
	s_andn2_saveexec_b64 s[28:29], s[34:35]
	s_cbranch_execz .LBB6_20173
; %bb.20168:                            ;   in Loop: Header=BB6_18303 Depth=3
	v_cmp_ne_u64_e32 vcc, 0, v[0:1]
                                        ; implicit-def: $vgpr27
	s_and_saveexec_b64 s[62:63], vcc
	s_xor_b64 vcc, exec, s[62:63]
; %bb.20169:                            ;   in Loop: Header=BB6_18303 Depth=3
	v_or_b32_sdwa v27, v2, s44 dst_sel:DWORD dst_unused:UNUSED_PAD src0_sel:BYTE_3 src1_sel:DWORD
                                        ; implicit-def: $vgpr2
; %bb.20170:                            ;   in Loop: Header=BB6_18303 Depth=3
	s_andn2_saveexec_b64 s[34:35], vcc
; %bb.20171:                            ;   in Loop: Header=BB6_18303 Depth=3
	v_cmp_lt_i32_e32 vcc, -1, v2
	v_mov_b32_e32 v0, 0x7c
	v_cndmask_b32_e32 v27, -4, v0, vcc
; %bb.20172:                            ;   in Loop: Header=BB6_18303 Depth=3
	s_or_b64 exec, exec, s[34:35]
.LBB6_20173:                            ;   in Loop: Header=BB6_18303 Depth=3
	s_or_b64 exec, exec, s[28:29]
	buffer_load_dword v0, off, s[0:3], s33 offset:156 ; 4-byte Folded Reload
	buffer_load_dword v1, off, s[0:3], s33 offset:160 ; 4-byte Folded Reload
	s_waitcnt vmcnt(0)
	v_mov_b32_e32 v1, 0
	v_and_b32_e32 v7, 0xff, v0
	v_cmp_ne_u16_e32 vcc, 0, v7
	v_mov_b32_e32 v0, 0
	s_and_saveexec_b64 s[28:29], vcc
	s_cbranch_execz .LBB6_20181
; %bb.20174:                            ;   in Loop: Header=BB6_18303 Depth=3
	v_cmp_ne_u16_e32 vcc, s97, v7
	v_bfrev_b32_e32 v1, 1
	s_and_saveexec_b64 s[34:35], vcc
	s_cbranch_execz .LBB6_20180
; %bb.20175:                            ;   in Loop: Header=BB6_18303 Depth=3
	buffer_load_dword v1, off, s[0:3], s33 offset:156 ; 4-byte Folded Reload
	buffer_load_dword v2, off, s[0:3], s33 offset:160 ; 4-byte Folded Reload
	s_waitcnt vmcnt(0)
	v_and_b32_e32 v2, 3, v1
	v_and_b32_e32 v1, 0x7c, v1
	v_cmp_ne_u32_e32 vcc, s86, v1
                                        ; implicit-def: $vgpr1
	s_and_saveexec_b64 s[62:63], vcc
	s_xor_b64 s[36:37], exec, s[62:63]
	s_cbranch_execz .LBB6_20177
; %bb.20176:                            ;   in Loop: Header=BB6_18303 Depth=3
	buffer_load_dword v53, off, s[0:3], s33 offset:156 ; 4-byte Folded Reload
	buffer_load_dword v54, off, s[0:3], s33 offset:160 ; 4-byte Folded Reload
	v_bfe_u32 v1, v7, 2, 5
	v_ffbh_u32_e32 v7, v2
	v_min_u32_e32 v7, 32, v7
	s_waitcnt vmcnt(0)
	v_mov_b32_e32 v54, v33
	v_subrev_u32_e32 v23, 29, v7
	v_sub_u32_e32 v7, 30, v7
	v_cmp_eq_u32_e32 vcc, 0, v1
	v_cndmask_b32_e32 v1, v1, v7, vcc
	v_lshlrev_b32_e32 v7, 24, v53
	v_lshlrev_b64 v[51:52], v23, v[53:54]
	v_and_b32_e32 v7, 0x80000000, v7
	v_and_b32_e32 v23, 3, v51
	v_cndmask_b32_e32 v2, v2, v23, vcc
	v_lshl_add_u32 v1, v1, 23, v7
	v_lshl_or_b32 v1, v2, 21, v1
	v_add_u32_e32 v1, 0x38000000, v1
                                        ; implicit-def: $vgpr7
                                        ; implicit-def: $vgpr2
	buffer_store_dword v7, off, s[0:3], s33 offset:156 ; 4-byte Folded Spill
	s_nop 0
	buffer_store_dword v8, off, s[0:3], s33 offset:160 ; 4-byte Folded Spill
.LBB6_20177:                            ;   in Loop: Header=BB6_18303 Depth=3
	s_andn2_saveexec_b64 s[36:37], s[36:37]
	s_cbranch_execz .LBB6_20179
; %bb.20178:                            ;   in Loop: Header=BB6_18303 Depth=3
	buffer_load_dword v51, off, s[0:3], s33 offset:156 ; 4-byte Folded Reload
	buffer_load_dword v52, off, s[0:3], s33 offset:160 ; 4-byte Folded Reload
	v_mov_b32_e32 v1, -1
	v_mov_b32_e32 v7, 0x7f800000
	s_waitcnt vmcnt(1)
	v_cmp_gt_i16_sdwa vcc, sext(v51), v1 src0_sel:BYTE_0 src1_sel:DWORD
	v_mov_b32_e32 v1, 0xff800000
	v_cndmask_b32_e32 v1, v1, v7, vcc
	v_cmp_eq_u32_e32 vcc, 0, v2
	v_mov_b32_e32 v2, 0x7f800001
	v_cndmask_b32_e32 v1, v2, v1, vcc
.LBB6_20179:                            ;   in Loop: Header=BB6_18303 Depth=3
	s_or_b64 exec, exec, s[36:37]
.LBB6_20180:                            ;   in Loop: Header=BB6_18303 Depth=3
	s_or_b64 exec, exec, s[34:35]
.LBB6_20181:                            ;   in Loop: Header=BB6_18303 Depth=3
	s_or_b64 exec, exec, s[28:29]
	v_cmp_ne_u16_e32 vcc, 0, v47
	s_and_saveexec_b64 s[28:29], vcc
	s_cbranch_execz .LBB6_20189
; %bb.20182:                            ;   in Loop: Header=BB6_18303 Depth=3
	v_cmp_ne_u16_e32 vcc, s46, v47
	v_bfrev_b32_e32 v0, 1
	s_and_saveexec_b64 s[34:35], vcc
	s_cbranch_execz .LBB6_20188
; %bb.20183:                            ;   in Loop: Header=BB6_18303 Depth=3
	v_and_b32_e32 v0, 0x7c, v47
	v_and_b32_e32 v2, 3, v47
	v_cmp_ne_u32_e32 vcc, s86, v0
                                        ; implicit-def: $vgpr0
	s_and_saveexec_b64 s[62:63], vcc
	s_xor_b64 s[36:37], exec, s[62:63]
	s_cbranch_execz .LBB6_20185
; %bb.20184:                            ;   in Loop: Header=BB6_18303 Depth=3
	v_ffbh_u32_e32 v7, v2
	v_min_u32_e32 v7, 32, v7
	v_and_b32_e32 v0, 0xff, v47
	v_mov_b32_e32 v48, v33
	v_subrev_u32_e32 v23, 29, v7
	v_bfe_u32 v0, v0, 2, 5
	s_waitcnt vmcnt(0)
	v_lshlrev_b64 v[51:52], v23, v[47:48]
	v_sub_u32_e32 v7, 30, v7
	v_cmp_eq_u32_e32 vcc, 0, v0
	v_and_b32_e32 v23, 3, v51
	v_cndmask_b32_e32 v0, v0, v7, vcc
	v_and_b32_sdwa v7, sext(v47), s87 dst_sel:DWORD dst_unused:UNUSED_PAD src0_sel:WORD_0 src1_sel:DWORD
	v_cndmask_b32_e32 v2, v2, v23, vcc
	v_lshl_add_u32 v0, v0, 23, v7
	v_lshl_or_b32 v0, v2, 21, v0
	v_add_u32_e32 v0, 0x38000000, v0
                                        ; implicit-def: $vgpr2
                                        ; implicit-def: $vgpr47
.LBB6_20185:                            ;   in Loop: Header=BB6_18303 Depth=3
	s_andn2_saveexec_b64 s[36:37], s[36:37]
; %bb.20186:                            ;   in Loop: Header=BB6_18303 Depth=3
	v_cmp_lt_i16_e32 vcc, -1, v47
	v_mov_b32_e32 v0, 0xff800000
	v_mov_b32_e32 v7, 0x7f800000
	v_cndmask_b32_e32 v0, v0, v7, vcc
	v_cmp_eq_u32_e32 vcc, 0, v2
	v_mov_b32_e32 v2, 0x7f800001
	v_cndmask_b32_e32 v0, v2, v0, vcc
; %bb.20187:                            ;   in Loop: Header=BB6_18303 Depth=3
	s_or_b64 exec, exec, s[36:37]
.LBB6_20188:                            ;   in Loop: Header=BB6_18303 Depth=3
	s_or_b64 exec, exec, s[34:35]
.LBB6_20189:                            ;   in Loop: Header=BB6_18303 Depth=3
	s_or_b64 exec, exec, s[28:29]
	v_add_f32_e32 v2, v1, v0
	v_and_b32_e32 v51, 0x7f800000, v2
	s_waitcnt vmcnt(0)
	v_mov_b32_e32 v52, v33
	v_cmp_ne_u64_e32 vcc, s[76:77], v[51:52]
	v_and_b32_e32 v0, 0x7fffff, v2
	v_mov_b32_e32 v1, v33
                                        ; implicit-def: $vgpr48
	s_and_saveexec_b64 s[28:29], vcc
	s_xor_b64 s[34:35], exec, s[28:29]
	s_cbranch_execz .LBB6_20207
; %bb.20190:                            ;   in Loop: Header=BB6_18303 Depth=3
	v_and_b32_e32 v51, 0x7fffffff, v2
	v_mov_b32_e32 v52, v33
	v_cmp_gt_u64_e32 vcc, s[78:79], v[51:52]
	v_and_b32_sdwa v7, v2, s97 dst_sel:DWORD dst_unused:UNUSED_PAD src0_sel:BYTE_3 src1_sel:DWORD
                                        ; implicit-def: $vgpr48
	s_and_saveexec_b64 s[28:29], vcc
	s_xor_b64 s[36:37], exec, s[28:29]
	s_cbranch_execz .LBB6_20204
; %bb.20191:                            ;   in Loop: Header=BB6_18303 Depth=3
	v_cmp_ne_u32_e32 vcc, 0, v2
	v_mov_b32_e32 v48, 0
	s_and_saveexec_b64 s[38:39], vcc
	s_cbranch_execz .LBB6_20203
; %bb.20192:                            ;   in Loop: Header=BB6_18303 Depth=3
	v_bfe_u32 v23, v2, 23, 8
	v_cmp_gt_u32_e64 s[28:29], s47, v23
	v_sub_u32_e32 v2, 0x71, v23
	v_cmp_eq_u32_e32 vcc, 0, v23
	v_cndmask_b32_e64 v2, 0, v2, s[28:29]
	v_mov_b32_e32 v26, 0x70
	v_cndmask_b32_e32 v26, v2, v26, vcc
	v_add_u32_e32 v2, 21, v26
	v_or_b32_e32 v48, 0x800000, v0
	v_lshlrev_b64 v[51:52], v2, -1
	v_cndmask_b32_e32 v0, v48, v0, vcc
	v_add_u32_e32 v2, 20, v26
	v_bfi_b32 v51, v51, 0, v0
	v_lshlrev_b64 v[53:54], v2, 1
	v_lshrrev_b64 v[0:1], v26, v[0:1]
	v_bfi_b32 v52, v52, 0, 0
	v_cmp_eq_u64_e64 s[28:29], v[51:52], v[53:54]
	v_mov_b32_e32 v2, v1
	v_mov_b32_e32 v1, v0
	s_and_saveexec_b64 s[48:49], s[28:29]
; %bb.20193:                            ;   in Loop: Header=BB6_18303 Depth=3
	v_bfe_u32 v1, v0, 21, 1
	v_add_co_u32_e64 v1, s[28:29], v0, v1
	v_add_co_u32_e64 v1, s[28:29], -1, v1
; %bb.20194:                            ;   in Loop: Header=BB6_18303 Depth=3
	s_or_b64 exec, exec, s[48:49]
	v_add_u32_e32 v2, 0xffffff81, v23
	v_mov_b32_e32 v23, 0xffffff82
	v_cndmask_b32_e32 v2, v2, v23, vcc
	v_lshrrev_b32_e32 v23, 23, v0
	v_add3_u32 v26, v26, v2, v23
	v_add_u32_e32 v23, 14, v26
	v_and_b32_e32 v1, 0x1fffff, v1
	v_add_u32_e32 v0, v1, v0
	v_mov_b32_e32 v1, v33
	v_cmp_ne_u32_e32 vcc, 0, v23
                                        ; implicit-def: $vgpr2
	s_and_saveexec_b64 s[28:29], vcc
	s_xor_b64 s[28:29], exec, s[28:29]
; %bb.20195:                            ;   in Loop: Header=BB6_18303 Depth=3
	v_cmp_lt_u64_e32 vcc, s[88:89], v[0:1]
	v_add_u32_e32 v2, 15, v26
	v_cndmask_b32_e32 v2, v23, v2, vcc
	v_cndmask_b32_e64 v23, 0, 1, vcc
	v_lshrrev_b64 v[0:1], v23, v[0:1]
; %bb.20196:                            ;   in Loop: Header=BB6_18303 Depth=3
	s_andn2_saveexec_b64 s[28:29], s[28:29]
; %bb.20197:                            ;   in Loop: Header=BB6_18303 Depth=3
	v_bfe_u32 v2, v0, 23, 1
; %bb.20198:                            ;   in Loop: Header=BB6_18303 Depth=3
	s_or_b64 exec, exec, s[28:29]
	v_lshrrev_b64 v[0:1], 21, v[0:1]
	v_cmp_gt_i32_e32 vcc, 32, v2
	v_cndmask_b32_e32 v1, 0, v1, vcc
	v_cndmask_b32_e32 v0, 3, v0, vcc
	v_cmp_ne_u64_e32 vcc, 0, v[0:1]
	v_cmp_ne_u32_e64 s[28:29], 0, v2
	s_or_b64 s[28:29], s[28:29], vcc
                                        ; implicit-def: $vgpr48
	s_and_saveexec_b64 s[62:63], s[28:29]
	s_xor_b64 s[28:29], exec, s[62:63]
; %bb.20199:                            ;   in Loop: Header=BB6_18303 Depth=3
	v_min_i32_e32 v1, 31, v2
	v_lshl_or_b32 v1, v1, 2, v7
	v_and_or_b32 v48, v0, 3, v1
                                        ; implicit-def: $vgpr7
; %bb.20200:                            ;   in Loop: Header=BB6_18303 Depth=3
	s_andn2_saveexec_b64 s[28:29], s[28:29]
; %bb.20201:                            ;   in Loop: Header=BB6_18303 Depth=3
	v_mov_b32_e32 v48, v7
; %bb.20202:                            ;   in Loop: Header=BB6_18303 Depth=3
	s_or_b64 exec, exec, s[28:29]
.LBB6_20203:                            ;   in Loop: Header=BB6_18303 Depth=3
	s_or_b64 exec, exec, s[38:39]
                                        ; implicit-def: $vgpr7
.LBB6_20204:                            ;   in Loop: Header=BB6_18303 Depth=3
	s_andn2_saveexec_b64 s[28:29], s[36:37]
; %bb.20205:                            ;   in Loop: Header=BB6_18303 Depth=3
	v_or_b32_e32 v48, 0x7b, v7
; %bb.20206:                            ;   in Loop: Header=BB6_18303 Depth=3
	s_or_b64 exec, exec, s[28:29]
                                        ; implicit-def: $vgpr2
                                        ; implicit-def: $vgpr0_vgpr1
.LBB6_20207:                            ;   in Loop: Header=BB6_18303 Depth=3
	s_andn2_saveexec_b64 s[28:29], s[34:35]
	s_cbranch_execz .LBB6_20213
; %bb.20208:                            ;   in Loop: Header=BB6_18303 Depth=3
	v_cmp_ne_u64_e32 vcc, 0, v[0:1]
                                        ; implicit-def: $vgpr48
	s_and_saveexec_b64 s[62:63], vcc
	s_xor_b64 vcc, exec, s[62:63]
; %bb.20209:                            ;   in Loop: Header=BB6_18303 Depth=3
	v_or_b32_sdwa v48, v2, s44 dst_sel:DWORD dst_unused:UNUSED_PAD src0_sel:BYTE_3 src1_sel:DWORD
                                        ; implicit-def: $vgpr2
; %bb.20210:                            ;   in Loop: Header=BB6_18303 Depth=3
	s_andn2_saveexec_b64 s[34:35], vcc
; %bb.20211:                            ;   in Loop: Header=BB6_18303 Depth=3
	v_cmp_lt_i32_e32 vcc, -1, v2
	v_mov_b32_e32 v0, 0x7c
	v_cndmask_b32_e32 v48, -4, v0, vcc
; %bb.20212:                            ;   in Loop: Header=BB6_18303 Depth=3
	s_or_b64 exec, exec, s[34:35]
.LBB6_20213:                            ;   in Loop: Header=BB6_18303 Depth=3
	s_or_b64 exec, exec, s[28:29]
	buffer_load_dword v0, off, s[0:3], s33 offset:148 ; 4-byte Folded Reload
	buffer_load_dword v1, off, s[0:3], s33 offset:152 ; 4-byte Folded Reload
	s_waitcnt vmcnt(0)
	v_mov_b32_e32 v1, 0
	v_and_b32_e32 v7, 0xff, v0
	v_cmp_ne_u16_e32 vcc, 0, v7
	v_mov_b32_e32 v0, 0
	s_and_saveexec_b64 s[28:29], vcc
	s_cbranch_execz .LBB6_20221
; %bb.20214:                            ;   in Loop: Header=BB6_18303 Depth=3
	v_cmp_ne_u16_e32 vcc, s97, v7
	v_bfrev_b32_e32 v1, 1
	s_and_saveexec_b64 s[34:35], vcc
	s_cbranch_execz .LBB6_20220
; %bb.20215:                            ;   in Loop: Header=BB6_18303 Depth=3
	buffer_load_dword v1, off, s[0:3], s33 offset:148 ; 4-byte Folded Reload
	buffer_load_dword v2, off, s[0:3], s33 offset:152 ; 4-byte Folded Reload
	s_waitcnt vmcnt(0)
	v_and_b32_e32 v2, 3, v1
	v_and_b32_e32 v1, 0x7c, v1
	v_cmp_ne_u32_e32 vcc, s86, v1
                                        ; implicit-def: $vgpr1
	s_and_saveexec_b64 s[62:63], vcc
	s_xor_b64 s[36:37], exec, s[62:63]
	s_cbranch_execz .LBB6_20217
; %bb.20216:                            ;   in Loop: Header=BB6_18303 Depth=3
	buffer_load_dword v53, off, s[0:3], s33 offset:148 ; 4-byte Folded Reload
	buffer_load_dword v54, off, s[0:3], s33 offset:152 ; 4-byte Folded Reload
	v_bfe_u32 v1, v7, 2, 5
	v_ffbh_u32_e32 v7, v2
	v_min_u32_e32 v7, 32, v7
	s_waitcnt vmcnt(0)
	v_mov_b32_e32 v54, v33
	v_subrev_u32_e32 v23, 29, v7
	v_sub_u32_e32 v7, 30, v7
	v_cmp_eq_u32_e32 vcc, 0, v1
	v_cndmask_b32_e32 v1, v1, v7, vcc
	v_lshlrev_b32_e32 v7, 24, v53
	v_lshlrev_b64 v[51:52], v23, v[53:54]
	v_and_b32_e32 v7, 0x80000000, v7
	v_and_b32_e32 v23, 3, v51
	v_cndmask_b32_e32 v2, v2, v23, vcc
	v_lshl_add_u32 v1, v1, 23, v7
	v_lshl_or_b32 v1, v2, 21, v1
	v_add_u32_e32 v1, 0x38000000, v1
                                        ; implicit-def: $vgpr7
                                        ; implicit-def: $vgpr2
	buffer_store_dword v7, off, s[0:3], s33 offset:148 ; 4-byte Folded Spill
	s_nop 0
	buffer_store_dword v8, off, s[0:3], s33 offset:152 ; 4-byte Folded Spill
.LBB6_20217:                            ;   in Loop: Header=BB6_18303 Depth=3
	s_andn2_saveexec_b64 s[36:37], s[36:37]
	s_cbranch_execz .LBB6_20219
; %bb.20218:                            ;   in Loop: Header=BB6_18303 Depth=3
	buffer_load_dword v51, off, s[0:3], s33 offset:148 ; 4-byte Folded Reload
	buffer_load_dword v52, off, s[0:3], s33 offset:152 ; 4-byte Folded Reload
	v_mov_b32_e32 v1, -1
	v_mov_b32_e32 v7, 0x7f800000
	s_waitcnt vmcnt(1)
	v_cmp_gt_i16_sdwa vcc, sext(v51), v1 src0_sel:BYTE_0 src1_sel:DWORD
	v_mov_b32_e32 v1, 0xff800000
	v_cndmask_b32_e32 v1, v1, v7, vcc
	v_cmp_eq_u32_e32 vcc, 0, v2
	v_mov_b32_e32 v2, 0x7f800001
	v_cndmask_b32_e32 v1, v2, v1, vcc
.LBB6_20219:                            ;   in Loop: Header=BB6_18303 Depth=3
	s_or_b64 exec, exec, s[36:37]
.LBB6_20220:                            ;   in Loop: Header=BB6_18303 Depth=3
	s_or_b64 exec, exec, s[34:35]
.LBB6_20221:                            ;   in Loop: Header=BB6_18303 Depth=3
	s_or_b64 exec, exec, s[28:29]
	v_cmp_ne_u16_e32 vcc, 0, v22
	s_and_saveexec_b64 s[28:29], vcc
	s_cbranch_execz .LBB6_20229
; %bb.20222:                            ;   in Loop: Header=BB6_18303 Depth=3
	v_cmp_ne_u16_e32 vcc, s46, v22
	v_bfrev_b32_e32 v0, 1
	s_and_saveexec_b64 s[34:35], vcc
	s_cbranch_execz .LBB6_20228
; %bb.20223:                            ;   in Loop: Header=BB6_18303 Depth=3
	v_and_b32_e32 v0, 0x7c, v22
	v_and_b32_e32 v2, 3, v22
	v_cmp_ne_u32_e32 vcc, s86, v0
                                        ; implicit-def: $vgpr0
	s_and_saveexec_b64 s[62:63], vcc
	s_xor_b64 s[36:37], exec, s[62:63]
	s_cbranch_execz .LBB6_20225
; %bb.20224:                            ;   in Loop: Header=BB6_18303 Depth=3
	v_ffbh_u32_e32 v7, v2
	v_min_u32_e32 v7, 32, v7
	v_and_b32_e32 v0, 0xff, v22
	v_mov_b32_e32 v23, v33
	v_subrev_u32_e32 v26, 29, v7
	v_bfe_u32 v0, v0, 2, 5
	s_waitcnt vmcnt(0)
	v_lshlrev_b64 v[51:52], v26, v[22:23]
	v_sub_u32_e32 v7, 30, v7
	v_cmp_eq_u32_e32 vcc, 0, v0
	v_and_b32_e32 v23, 3, v51
	v_cndmask_b32_e32 v0, v0, v7, vcc
	v_and_b32_sdwa v7, sext(v22), s87 dst_sel:DWORD dst_unused:UNUSED_PAD src0_sel:WORD_0 src1_sel:DWORD
	v_cndmask_b32_e32 v2, v2, v23, vcc
	v_lshl_add_u32 v0, v0, 23, v7
	v_lshl_or_b32 v0, v2, 21, v0
	v_add_u32_e32 v0, 0x38000000, v0
                                        ; implicit-def: $vgpr2
                                        ; implicit-def: $vgpr22
.LBB6_20225:                            ;   in Loop: Header=BB6_18303 Depth=3
	s_andn2_saveexec_b64 s[36:37], s[36:37]
; %bb.20226:                            ;   in Loop: Header=BB6_18303 Depth=3
	v_cmp_lt_i16_e32 vcc, -1, v22
	v_mov_b32_e32 v0, 0xff800000
	v_mov_b32_e32 v7, 0x7f800000
	v_cndmask_b32_e32 v0, v0, v7, vcc
	v_cmp_eq_u32_e32 vcc, 0, v2
	v_mov_b32_e32 v2, 0x7f800001
	v_cndmask_b32_e32 v0, v2, v0, vcc
; %bb.20227:                            ;   in Loop: Header=BB6_18303 Depth=3
	s_or_b64 exec, exec, s[36:37]
.LBB6_20228:                            ;   in Loop: Header=BB6_18303 Depth=3
	s_or_b64 exec, exec, s[34:35]
.LBB6_20229:                            ;   in Loop: Header=BB6_18303 Depth=3
	s_or_b64 exec, exec, s[28:29]
	v_add_f32_e32 v2, v1, v0
	v_and_b32_e32 v22, 0x7f800000, v2
	v_mov_b32_e32 v23, v33
	v_cmp_ne_u64_e32 vcc, s[76:77], v[22:23]
	v_and_b32_e32 v0, 0x7fffff, v2
	v_mov_b32_e32 v1, v33
                                        ; implicit-def: $vgpr23
	s_and_saveexec_b64 s[28:29], vcc
	s_xor_b64 s[34:35], exec, s[28:29]
	s_cbranch_execz .LBB6_20247
; %bb.20230:                            ;   in Loop: Header=BB6_18303 Depth=3
	v_and_b32_e32 v22, 0x7fffffff, v2
	v_mov_b32_e32 v23, v33
	v_cmp_gt_u64_e32 vcc, s[78:79], v[22:23]
	v_and_b32_sdwa v7, v2, s97 dst_sel:DWORD dst_unused:UNUSED_PAD src0_sel:BYTE_3 src1_sel:DWORD
                                        ; implicit-def: $vgpr23
	s_and_saveexec_b64 s[28:29], vcc
	s_xor_b64 s[36:37], exec, s[28:29]
	s_cbranch_execz .LBB6_20244
; %bb.20231:                            ;   in Loop: Header=BB6_18303 Depth=3
	v_cmp_ne_u32_e32 vcc, 0, v2
	v_mov_b32_e32 v23, 0
	s_and_saveexec_b64 s[38:39], vcc
	s_cbranch_execz .LBB6_20243
; %bb.20232:                            ;   in Loop: Header=BB6_18303 Depth=3
	v_bfe_u32 v22, v2, 23, 8
	v_cmp_gt_u32_e64 s[28:29], s47, v22
	v_sub_u32_e32 v2, 0x71, v22
	v_cmp_eq_u32_e32 vcc, 0, v22
	v_cndmask_b32_e64 v2, 0, v2, s[28:29]
	v_mov_b32_e32 v23, 0x70
	v_cndmask_b32_e32 v23, v2, v23, vcc
	v_add_u32_e32 v2, 21, v23
	v_or_b32_e32 v26, 0x800000, v0
	s_waitcnt vmcnt(0)
	v_lshlrev_b64 v[51:52], v2, -1
	v_cndmask_b32_e32 v0, v26, v0, vcc
	v_add_u32_e32 v2, 20, v23
	v_bfi_b32 v51, v51, 0, v0
	v_lshlrev_b64 v[53:54], v2, 1
	v_lshrrev_b64 v[0:1], v23, v[0:1]
	v_bfi_b32 v52, v52, 0, 0
	v_cmp_eq_u64_e64 s[28:29], v[51:52], v[53:54]
	v_mov_b32_e32 v2, v1
	v_mov_b32_e32 v1, v0
	s_and_saveexec_b64 s[48:49], s[28:29]
; %bb.20233:                            ;   in Loop: Header=BB6_18303 Depth=3
	v_bfe_u32 v1, v0, 21, 1
	v_add_co_u32_e64 v1, s[28:29], v0, v1
	v_add_co_u32_e64 v1, s[28:29], -1, v1
; %bb.20234:                            ;   in Loop: Header=BB6_18303 Depth=3
	s_or_b64 exec, exec, s[48:49]
	v_add_u32_e32 v2, 0xffffff81, v22
	v_mov_b32_e32 v22, 0xffffff82
	v_cndmask_b32_e32 v2, v2, v22, vcc
	v_lshrrev_b32_e32 v22, 23, v0
	v_add3_u32 v23, v23, v2, v22
	v_add_u32_e32 v22, 14, v23
	v_and_b32_e32 v1, 0x1fffff, v1
	v_add_u32_e32 v0, v1, v0
	v_mov_b32_e32 v1, v33
	v_cmp_ne_u32_e32 vcc, 0, v22
                                        ; implicit-def: $vgpr2
	s_and_saveexec_b64 s[28:29], vcc
	s_xor_b64 s[28:29], exec, s[28:29]
; %bb.20235:                            ;   in Loop: Header=BB6_18303 Depth=3
	v_cmp_lt_u64_e32 vcc, s[88:89], v[0:1]
	v_add_u32_e32 v2, 15, v23
	v_cndmask_b32_e32 v2, v22, v2, vcc
	v_cndmask_b32_e64 v22, 0, 1, vcc
	v_lshrrev_b64 v[0:1], v22, v[0:1]
; %bb.20236:                            ;   in Loop: Header=BB6_18303 Depth=3
	s_andn2_saveexec_b64 s[28:29], s[28:29]
; %bb.20237:                            ;   in Loop: Header=BB6_18303 Depth=3
	v_bfe_u32 v2, v0, 23, 1
; %bb.20238:                            ;   in Loop: Header=BB6_18303 Depth=3
	s_or_b64 exec, exec, s[28:29]
	v_lshrrev_b64 v[0:1], 21, v[0:1]
	v_cmp_gt_i32_e32 vcc, 32, v2
	v_cndmask_b32_e32 v1, 0, v1, vcc
	v_cndmask_b32_e32 v0, 3, v0, vcc
	v_cmp_ne_u64_e32 vcc, 0, v[0:1]
	v_cmp_ne_u32_e64 s[28:29], 0, v2
	s_or_b64 s[28:29], s[28:29], vcc
                                        ; implicit-def: $vgpr23
	s_and_saveexec_b64 s[62:63], s[28:29]
	s_xor_b64 s[28:29], exec, s[62:63]
; %bb.20239:                            ;   in Loop: Header=BB6_18303 Depth=3
	v_min_i32_e32 v1, 31, v2
	v_lshl_or_b32 v1, v1, 2, v7
	v_and_or_b32 v23, v0, 3, v1
                                        ; implicit-def: $vgpr7
; %bb.20240:                            ;   in Loop: Header=BB6_18303 Depth=3
	s_andn2_saveexec_b64 s[28:29], s[28:29]
; %bb.20241:                            ;   in Loop: Header=BB6_18303 Depth=3
	v_mov_b32_e32 v23, v7
; %bb.20242:                            ;   in Loop: Header=BB6_18303 Depth=3
	s_or_b64 exec, exec, s[28:29]
.LBB6_20243:                            ;   in Loop: Header=BB6_18303 Depth=3
	s_or_b64 exec, exec, s[38:39]
                                        ; implicit-def: $vgpr7
.LBB6_20244:                            ;   in Loop: Header=BB6_18303 Depth=3
	s_andn2_saveexec_b64 s[28:29], s[36:37]
; %bb.20245:                            ;   in Loop: Header=BB6_18303 Depth=3
	v_or_b32_e32 v23, 0x7b, v7
; %bb.20246:                            ;   in Loop: Header=BB6_18303 Depth=3
	s_or_b64 exec, exec, s[28:29]
                                        ; implicit-def: $vgpr2
                                        ; implicit-def: $vgpr0_vgpr1
.LBB6_20247:                            ;   in Loop: Header=BB6_18303 Depth=3
	s_andn2_saveexec_b64 s[28:29], s[34:35]
	s_cbranch_execz .LBB6_20253
; %bb.20248:                            ;   in Loop: Header=BB6_18303 Depth=3
	v_cmp_ne_u64_e32 vcc, 0, v[0:1]
                                        ; implicit-def: $vgpr23
	s_and_saveexec_b64 s[62:63], vcc
	s_xor_b64 vcc, exec, s[62:63]
; %bb.20249:                            ;   in Loop: Header=BB6_18303 Depth=3
	v_or_b32_sdwa v23, v2, s44 dst_sel:DWORD dst_unused:UNUSED_PAD src0_sel:BYTE_3 src1_sel:DWORD
                                        ; implicit-def: $vgpr2
; %bb.20250:                            ;   in Loop: Header=BB6_18303 Depth=3
	s_andn2_saveexec_b64 s[34:35], vcc
; %bb.20251:                            ;   in Loop: Header=BB6_18303 Depth=3
	v_cmp_lt_i32_e32 vcc, -1, v2
	v_mov_b32_e32 v0, 0x7c
	v_cndmask_b32_e32 v23, -4, v0, vcc
; %bb.20252:                            ;   in Loop: Header=BB6_18303 Depth=3
	s_or_b64 exec, exec, s[34:35]
.LBB6_20253:                            ;   in Loop: Header=BB6_18303 Depth=3
	s_or_b64 exec, exec, s[28:29]
	v_and_b32_e32 v7, 0xff, v46
	v_cmp_ne_u16_e32 vcc, 0, v7
	v_mov_b32_e32 v0, 0
	v_mov_b32_e32 v1, 0
	s_and_saveexec_b64 s[28:29], vcc
	s_cbranch_execz .LBB6_20261
; %bb.20254:                            ;   in Loop: Header=BB6_18303 Depth=3
	v_cmp_ne_u16_e32 vcc, s97, v7
	v_bfrev_b32_e32 v1, 1
	s_and_saveexec_b64 s[34:35], vcc
	s_cbranch_execz .LBB6_20260
; %bb.20255:                            ;   in Loop: Header=BB6_18303 Depth=3
	v_and_b32_e32 v1, 0x7c, v46
	v_and_b32_e32 v2, 3, v46
	v_cmp_ne_u32_e32 vcc, s86, v1
                                        ; implicit-def: $vgpr1
	s_and_saveexec_b64 s[62:63], vcc
	s_xor_b64 s[36:37], exec, s[62:63]
	s_cbranch_execz .LBB6_20257
; %bb.20256:                            ;   in Loop: Header=BB6_18303 Depth=3
	v_bfe_u32 v1, v7, 2, 5
	v_ffbh_u32_e32 v7, v2
	v_min_u32_e32 v7, 32, v7
	v_mov_b32_e32 v47, v33
	v_subrev_u32_e32 v22, 29, v7
	s_waitcnt vmcnt(0)
	v_lshlrev_b64 v[51:52], v22, v[46:47]
	v_sub_u32_e32 v7, 30, v7
	v_cmp_eq_u32_e32 vcc, 0, v1
	v_cndmask_b32_e32 v1, v1, v7, vcc
	v_lshlrev_b32_e32 v7, 24, v46
	v_and_b32_e32 v22, 3, v51
	v_and_b32_e32 v7, 0x80000000, v7
	v_cndmask_b32_e32 v2, v2, v22, vcc
	v_lshl_add_u32 v1, v1, 23, v7
	v_lshl_or_b32 v1, v2, 21, v1
	v_add_u32_e32 v1, 0x38000000, v1
                                        ; implicit-def: $vgpr2
                                        ; implicit-def: $vgpr46
.LBB6_20257:                            ;   in Loop: Header=BB6_18303 Depth=3
	s_andn2_saveexec_b64 s[36:37], s[36:37]
; %bb.20258:                            ;   in Loop: Header=BB6_18303 Depth=3
	v_mov_b32_e32 v1, -1
	v_cmp_gt_i16_sdwa vcc, sext(v46), v1 src0_sel:BYTE_0 src1_sel:DWORD
	v_mov_b32_e32 v1, 0xff800000
	v_mov_b32_e32 v7, 0x7f800000
	v_cndmask_b32_e32 v1, v1, v7, vcc
	v_cmp_eq_u32_e32 vcc, 0, v2
	v_mov_b32_e32 v2, 0x7f800001
	v_cndmask_b32_e32 v1, v2, v1, vcc
; %bb.20259:                            ;   in Loop: Header=BB6_18303 Depth=3
	s_or_b64 exec, exec, s[36:37]
.LBB6_20260:                            ;   in Loop: Header=BB6_18303 Depth=3
	s_or_b64 exec, exec, s[34:35]
.LBB6_20261:                            ;   in Loop: Header=BB6_18303 Depth=3
	s_or_b64 exec, exec, s[28:29]
	v_cmp_ne_u16_e32 vcc, 0, v21
	s_and_saveexec_b64 s[28:29], vcc
	s_cbranch_execz .LBB6_20269
; %bb.20262:                            ;   in Loop: Header=BB6_18303 Depth=3
	v_cmp_ne_u16_e32 vcc, s46, v21
	v_bfrev_b32_e32 v0, 1
	s_and_saveexec_b64 s[34:35], vcc
	s_cbranch_execz .LBB6_20268
; %bb.20263:                            ;   in Loop: Header=BB6_18303 Depth=3
	v_and_b32_e32 v0, 0x7c, v21
	v_and_b32_e32 v2, 3, v21
	v_cmp_ne_u32_e32 vcc, s86, v0
                                        ; implicit-def: $vgpr0
	s_and_saveexec_b64 s[62:63], vcc
	s_xor_b64 s[36:37], exec, s[62:63]
	s_cbranch_execz .LBB6_20265
; %bb.20264:                            ;   in Loop: Header=BB6_18303 Depth=3
	v_ffbh_u32_e32 v7, v2
	v_min_u32_e32 v7, 32, v7
	v_and_b32_e32 v0, 0xff, v21
	v_mov_b32_e32 v22, v33
	v_subrev_u32_e32 v26, 29, v7
	v_bfe_u32 v0, v0, 2, 5
	s_waitcnt vmcnt(0)
	v_lshlrev_b64 v[51:52], v26, v[21:22]
	v_sub_u32_e32 v7, 30, v7
	v_cmp_eq_u32_e32 vcc, 0, v0
	v_and_b32_e32 v22, 3, v51
	v_cndmask_b32_e32 v0, v0, v7, vcc
	v_and_b32_sdwa v7, sext(v21), s87 dst_sel:DWORD dst_unused:UNUSED_PAD src0_sel:WORD_0 src1_sel:DWORD
	v_cndmask_b32_e32 v2, v2, v22, vcc
	v_lshl_add_u32 v0, v0, 23, v7
	v_lshl_or_b32 v0, v2, 21, v0
	v_add_u32_e32 v0, 0x38000000, v0
                                        ; implicit-def: $vgpr2
                                        ; implicit-def: $vgpr21
.LBB6_20265:                            ;   in Loop: Header=BB6_18303 Depth=3
	s_andn2_saveexec_b64 s[36:37], s[36:37]
; %bb.20266:                            ;   in Loop: Header=BB6_18303 Depth=3
	v_cmp_lt_i16_e32 vcc, -1, v21
	v_mov_b32_e32 v0, 0xff800000
	v_mov_b32_e32 v7, 0x7f800000
	v_cndmask_b32_e32 v0, v0, v7, vcc
	v_cmp_eq_u32_e32 vcc, 0, v2
	v_mov_b32_e32 v2, 0x7f800001
	v_cndmask_b32_e32 v0, v2, v0, vcc
; %bb.20267:                            ;   in Loop: Header=BB6_18303 Depth=3
	s_or_b64 exec, exec, s[36:37]
.LBB6_20268:                            ;   in Loop: Header=BB6_18303 Depth=3
	s_or_b64 exec, exec, s[34:35]
.LBB6_20269:                            ;   in Loop: Header=BB6_18303 Depth=3
	s_or_b64 exec, exec, s[28:29]
	v_add_f32_e32 v2, v1, v0
	v_and_b32_e32 v21, 0x7f800000, v2
	v_mov_b32_e32 v22, v33
	v_cmp_ne_u64_e32 vcc, s[76:77], v[21:22]
	v_and_b32_e32 v0, 0x7fffff, v2
	v_mov_b32_e32 v1, v33
                                        ; implicit-def: $vgpr22
	s_and_saveexec_b64 s[28:29], vcc
	s_xor_b64 s[34:35], exec, s[28:29]
	s_cbranch_execz .LBB6_20287
; %bb.20270:                            ;   in Loop: Header=BB6_18303 Depth=3
	v_and_b32_e32 v21, 0x7fffffff, v2
	v_mov_b32_e32 v22, v33
	v_cmp_gt_u64_e32 vcc, s[78:79], v[21:22]
	v_and_b32_sdwa v7, v2, s97 dst_sel:DWORD dst_unused:UNUSED_PAD src0_sel:BYTE_3 src1_sel:DWORD
                                        ; implicit-def: $vgpr22
	s_and_saveexec_b64 s[28:29], vcc
	s_xor_b64 s[36:37], exec, s[28:29]
	s_cbranch_execz .LBB6_20284
; %bb.20271:                            ;   in Loop: Header=BB6_18303 Depth=3
	v_cmp_ne_u32_e32 vcc, 0, v2
	v_mov_b32_e32 v22, 0
	s_and_saveexec_b64 s[38:39], vcc
	s_cbranch_execz .LBB6_20283
; %bb.20272:                            ;   in Loop: Header=BB6_18303 Depth=3
	v_bfe_u32 v21, v2, 23, 8
	v_cmp_gt_u32_e64 s[28:29], s47, v21
	v_sub_u32_e32 v2, 0x71, v21
	v_cmp_eq_u32_e32 vcc, 0, v21
	v_cndmask_b32_e64 v2, 0, v2, s[28:29]
	v_mov_b32_e32 v22, 0x70
	v_cndmask_b32_e32 v22, v2, v22, vcc
	v_add_u32_e32 v2, 21, v22
	v_or_b32_e32 v26, 0x800000, v0
	s_waitcnt vmcnt(0)
	v_lshlrev_b64 v[51:52], v2, -1
	v_cndmask_b32_e32 v0, v26, v0, vcc
	v_add_u32_e32 v2, 20, v22
	v_bfi_b32 v51, v51, 0, v0
	v_lshlrev_b64 v[53:54], v2, 1
	v_lshrrev_b64 v[0:1], v22, v[0:1]
	v_bfi_b32 v52, v52, 0, 0
	v_cmp_eq_u64_e64 s[28:29], v[51:52], v[53:54]
	v_mov_b32_e32 v2, v1
	v_mov_b32_e32 v1, v0
	s_and_saveexec_b64 s[48:49], s[28:29]
; %bb.20273:                            ;   in Loop: Header=BB6_18303 Depth=3
	v_bfe_u32 v1, v0, 21, 1
	v_add_co_u32_e64 v1, s[28:29], v0, v1
	v_add_co_u32_e64 v1, s[28:29], -1, v1
; %bb.20274:                            ;   in Loop: Header=BB6_18303 Depth=3
	s_or_b64 exec, exec, s[48:49]
	v_add_u32_e32 v2, 0xffffff81, v21
	v_mov_b32_e32 v21, 0xffffff82
	v_cndmask_b32_e32 v2, v2, v21, vcc
	v_lshrrev_b32_e32 v21, 23, v0
	v_add3_u32 v22, v22, v2, v21
	v_add_u32_e32 v21, 14, v22
	v_and_b32_e32 v1, 0x1fffff, v1
	v_add_u32_e32 v0, v1, v0
	v_mov_b32_e32 v1, v33
	v_cmp_ne_u32_e32 vcc, 0, v21
                                        ; implicit-def: $vgpr2
	s_and_saveexec_b64 s[28:29], vcc
	s_xor_b64 s[28:29], exec, s[28:29]
; %bb.20275:                            ;   in Loop: Header=BB6_18303 Depth=3
	v_cmp_lt_u64_e32 vcc, s[88:89], v[0:1]
	v_add_u32_e32 v2, 15, v22
	v_cndmask_b32_e32 v2, v21, v2, vcc
	v_cndmask_b32_e64 v21, 0, 1, vcc
	v_lshrrev_b64 v[0:1], v21, v[0:1]
; %bb.20276:                            ;   in Loop: Header=BB6_18303 Depth=3
	s_andn2_saveexec_b64 s[28:29], s[28:29]
; %bb.20277:                            ;   in Loop: Header=BB6_18303 Depth=3
	v_bfe_u32 v2, v0, 23, 1
; %bb.20278:                            ;   in Loop: Header=BB6_18303 Depth=3
	s_or_b64 exec, exec, s[28:29]
	v_lshrrev_b64 v[0:1], 21, v[0:1]
	v_cmp_gt_i32_e32 vcc, 32, v2
	v_cndmask_b32_e32 v1, 0, v1, vcc
	v_cndmask_b32_e32 v0, 3, v0, vcc
	v_cmp_ne_u64_e32 vcc, 0, v[0:1]
	v_cmp_ne_u32_e64 s[28:29], 0, v2
	s_or_b64 s[28:29], s[28:29], vcc
                                        ; implicit-def: $vgpr22
	s_and_saveexec_b64 s[62:63], s[28:29]
	s_xor_b64 s[28:29], exec, s[62:63]
; %bb.20279:                            ;   in Loop: Header=BB6_18303 Depth=3
	v_min_i32_e32 v1, 31, v2
	v_lshl_or_b32 v1, v1, 2, v7
	v_and_or_b32 v22, v0, 3, v1
                                        ; implicit-def: $vgpr7
; %bb.20280:                            ;   in Loop: Header=BB6_18303 Depth=3
	s_andn2_saveexec_b64 s[28:29], s[28:29]
; %bb.20281:                            ;   in Loop: Header=BB6_18303 Depth=3
	v_mov_b32_e32 v22, v7
; %bb.20282:                            ;   in Loop: Header=BB6_18303 Depth=3
	s_or_b64 exec, exec, s[28:29]
.LBB6_20283:                            ;   in Loop: Header=BB6_18303 Depth=3
	s_or_b64 exec, exec, s[38:39]
                                        ; implicit-def: $vgpr7
.LBB6_20284:                            ;   in Loop: Header=BB6_18303 Depth=3
	s_andn2_saveexec_b64 s[28:29], s[36:37]
; %bb.20285:                            ;   in Loop: Header=BB6_18303 Depth=3
	v_or_b32_e32 v22, 0x7b, v7
; %bb.20286:                            ;   in Loop: Header=BB6_18303 Depth=3
	s_or_b64 exec, exec, s[28:29]
                                        ; implicit-def: $vgpr2
                                        ; implicit-def: $vgpr0_vgpr1
.LBB6_20287:                            ;   in Loop: Header=BB6_18303 Depth=3
	s_andn2_saveexec_b64 s[28:29], s[34:35]
	s_cbranch_execz .LBB6_20293
; %bb.20288:                            ;   in Loop: Header=BB6_18303 Depth=3
	v_cmp_ne_u64_e32 vcc, 0, v[0:1]
                                        ; implicit-def: $vgpr22
	s_and_saveexec_b64 s[62:63], vcc
	s_xor_b64 vcc, exec, s[62:63]
; %bb.20289:                            ;   in Loop: Header=BB6_18303 Depth=3
	v_or_b32_sdwa v22, v2, s44 dst_sel:DWORD dst_unused:UNUSED_PAD src0_sel:BYTE_3 src1_sel:DWORD
                                        ; implicit-def: $vgpr2
; %bb.20290:                            ;   in Loop: Header=BB6_18303 Depth=3
	s_andn2_saveexec_b64 s[34:35], vcc
; %bb.20291:                            ;   in Loop: Header=BB6_18303 Depth=3
	v_cmp_lt_i32_e32 vcc, -1, v2
	v_mov_b32_e32 v0, 0x7c
	v_cndmask_b32_e32 v22, -4, v0, vcc
; %bb.20292:                            ;   in Loop: Header=BB6_18303 Depth=3
	s_or_b64 exec, exec, s[34:35]
.LBB6_20293:                            ;   in Loop: Header=BB6_18303 Depth=3
	s_or_b64 exec, exec, s[28:29]
	buffer_load_dword v0, off, s[0:3], s33 offset:140 ; 4-byte Folded Reload
	buffer_load_dword v1, off, s[0:3], s33 offset:144 ; 4-byte Folded Reload
	s_waitcnt vmcnt(0)
	v_mov_b32_e32 v1, 0
	v_and_b32_e32 v7, 0xff, v0
	v_cmp_ne_u16_e32 vcc, 0, v7
	v_mov_b32_e32 v0, 0
	s_and_saveexec_b64 s[28:29], vcc
	s_cbranch_execz .LBB6_20301
; %bb.20294:                            ;   in Loop: Header=BB6_18303 Depth=3
	v_cmp_ne_u16_e32 vcc, s97, v7
	v_bfrev_b32_e32 v1, 1
	s_and_saveexec_b64 s[34:35], vcc
	s_cbranch_execz .LBB6_20300
; %bb.20295:                            ;   in Loop: Header=BB6_18303 Depth=3
	buffer_load_dword v1, off, s[0:3], s33 offset:140 ; 4-byte Folded Reload
	buffer_load_dword v2, off, s[0:3], s33 offset:144 ; 4-byte Folded Reload
	s_waitcnt vmcnt(0)
	v_and_b32_e32 v2, 3, v1
	v_and_b32_e32 v1, 0x7c, v1
	v_cmp_ne_u32_e32 vcc, s86, v1
                                        ; implicit-def: $vgpr1
	s_and_saveexec_b64 s[62:63], vcc
	s_xor_b64 s[36:37], exec, s[62:63]
	s_cbranch_execz .LBB6_20297
; %bb.20296:                            ;   in Loop: Header=BB6_18303 Depth=3
	buffer_load_dword v53, off, s[0:3], s33 offset:140 ; 4-byte Folded Reload
	buffer_load_dword v54, off, s[0:3], s33 offset:144 ; 4-byte Folded Reload
	v_bfe_u32 v1, v7, 2, 5
	v_ffbh_u32_e32 v7, v2
	v_min_u32_e32 v7, 32, v7
	s_waitcnt vmcnt(0)
	v_mov_b32_e32 v54, v33
	v_subrev_u32_e32 v21, 29, v7
	v_sub_u32_e32 v7, 30, v7
	v_cmp_eq_u32_e32 vcc, 0, v1
	v_cndmask_b32_e32 v1, v1, v7, vcc
	v_lshlrev_b32_e32 v7, 24, v53
	v_lshlrev_b64 v[51:52], v21, v[53:54]
	v_and_b32_e32 v7, 0x80000000, v7
	v_and_b32_e32 v21, 3, v51
	v_cndmask_b32_e32 v2, v2, v21, vcc
	v_lshl_add_u32 v1, v1, 23, v7
	v_lshl_or_b32 v1, v2, 21, v1
	v_add_u32_e32 v1, 0x38000000, v1
                                        ; implicit-def: $vgpr7
                                        ; implicit-def: $vgpr2
	buffer_store_dword v7, off, s[0:3], s33 offset:140 ; 4-byte Folded Spill
	s_nop 0
	buffer_store_dword v8, off, s[0:3], s33 offset:144 ; 4-byte Folded Spill
.LBB6_20297:                            ;   in Loop: Header=BB6_18303 Depth=3
	s_andn2_saveexec_b64 s[36:37], s[36:37]
	s_cbranch_execz .LBB6_20299
; %bb.20298:                            ;   in Loop: Header=BB6_18303 Depth=3
	buffer_load_dword v51, off, s[0:3], s33 offset:140 ; 4-byte Folded Reload
	buffer_load_dword v52, off, s[0:3], s33 offset:144 ; 4-byte Folded Reload
	v_mov_b32_e32 v1, -1
	v_mov_b32_e32 v7, 0x7f800000
	s_waitcnt vmcnt(1)
	v_cmp_gt_i16_sdwa vcc, sext(v51), v1 src0_sel:BYTE_0 src1_sel:DWORD
	v_mov_b32_e32 v1, 0xff800000
	v_cndmask_b32_e32 v1, v1, v7, vcc
	v_cmp_eq_u32_e32 vcc, 0, v2
	v_mov_b32_e32 v2, 0x7f800001
	v_cndmask_b32_e32 v1, v2, v1, vcc
.LBB6_20299:                            ;   in Loop: Header=BB6_18303 Depth=3
	s_or_b64 exec, exec, s[36:37]
.LBB6_20300:                            ;   in Loop: Header=BB6_18303 Depth=3
	s_or_b64 exec, exec, s[34:35]
.LBB6_20301:                            ;   in Loop: Header=BB6_18303 Depth=3
	s_or_b64 exec, exec, s[28:29]
	v_cmp_ne_u16_e32 vcc, 0, v20
	s_and_saveexec_b64 s[28:29], vcc
	s_cbranch_execz .LBB6_20309
; %bb.20302:                            ;   in Loop: Header=BB6_18303 Depth=3
	v_cmp_ne_u16_e32 vcc, s46, v20
	v_bfrev_b32_e32 v0, 1
	s_and_saveexec_b64 s[34:35], vcc
	s_cbranch_execz .LBB6_20308
; %bb.20303:                            ;   in Loop: Header=BB6_18303 Depth=3
	v_and_b32_e32 v0, 0x7c, v20
	v_and_b32_e32 v2, 3, v20
	v_cmp_ne_u32_e32 vcc, s86, v0
                                        ; implicit-def: $vgpr0
	s_and_saveexec_b64 s[62:63], vcc
	s_xor_b64 s[36:37], exec, s[62:63]
	s_cbranch_execz .LBB6_20305
; %bb.20304:                            ;   in Loop: Header=BB6_18303 Depth=3
	v_ffbh_u32_e32 v7, v2
	v_min_u32_e32 v7, 32, v7
	v_and_b32_e32 v0, 0xff, v20
	v_mov_b32_e32 v21, v33
	v_subrev_u32_e32 v26, 29, v7
	v_bfe_u32 v0, v0, 2, 5
	s_waitcnt vmcnt(0)
	v_lshlrev_b64 v[51:52], v26, v[20:21]
	v_sub_u32_e32 v7, 30, v7
	v_cmp_eq_u32_e32 vcc, 0, v0
	v_and_b32_e32 v21, 3, v51
	v_cndmask_b32_e32 v0, v0, v7, vcc
	v_and_b32_sdwa v7, sext(v20), s87 dst_sel:DWORD dst_unused:UNUSED_PAD src0_sel:WORD_0 src1_sel:DWORD
	v_cndmask_b32_e32 v2, v2, v21, vcc
	v_lshl_add_u32 v0, v0, 23, v7
	v_lshl_or_b32 v0, v2, 21, v0
	v_add_u32_e32 v0, 0x38000000, v0
                                        ; implicit-def: $vgpr2
                                        ; implicit-def: $vgpr20
.LBB6_20305:                            ;   in Loop: Header=BB6_18303 Depth=3
	s_andn2_saveexec_b64 s[36:37], s[36:37]
; %bb.20306:                            ;   in Loop: Header=BB6_18303 Depth=3
	v_cmp_lt_i16_e32 vcc, -1, v20
	v_mov_b32_e32 v0, 0xff800000
	v_mov_b32_e32 v7, 0x7f800000
	v_cndmask_b32_e32 v0, v0, v7, vcc
	v_cmp_eq_u32_e32 vcc, 0, v2
	v_mov_b32_e32 v2, 0x7f800001
	v_cndmask_b32_e32 v0, v2, v0, vcc
; %bb.20307:                            ;   in Loop: Header=BB6_18303 Depth=3
	s_or_b64 exec, exec, s[36:37]
.LBB6_20308:                            ;   in Loop: Header=BB6_18303 Depth=3
	s_or_b64 exec, exec, s[34:35]
.LBB6_20309:                            ;   in Loop: Header=BB6_18303 Depth=3
	s_or_b64 exec, exec, s[28:29]
	v_add_f32_e32 v2, v1, v0
	v_and_b32_e32 v20, 0x7f800000, v2
	v_mov_b32_e32 v21, v33
	v_cmp_ne_u64_e32 vcc, s[76:77], v[20:21]
	v_and_b32_e32 v0, 0x7fffff, v2
	v_mov_b32_e32 v1, v33
                                        ; implicit-def: $vgpr20
	s_and_saveexec_b64 s[28:29], vcc
	s_xor_b64 s[34:35], exec, s[28:29]
	s_cbranch_execz .LBB6_20327
; %bb.20310:                            ;   in Loop: Header=BB6_18303 Depth=3
	v_and_b32_e32 v20, 0x7fffffff, v2
	v_mov_b32_e32 v21, v33
	v_cmp_gt_u64_e32 vcc, s[78:79], v[20:21]
	v_and_b32_sdwa v7, v2, s97 dst_sel:DWORD dst_unused:UNUSED_PAD src0_sel:BYTE_3 src1_sel:DWORD
                                        ; implicit-def: $vgpr20
	s_and_saveexec_b64 s[28:29], vcc
	s_xor_b64 s[36:37], exec, s[28:29]
	s_cbranch_execz .LBB6_20324
; %bb.20311:                            ;   in Loop: Header=BB6_18303 Depth=3
	v_cmp_ne_u32_e32 vcc, 0, v2
	v_mov_b32_e32 v20, 0
	s_and_saveexec_b64 s[38:39], vcc
	s_cbranch_execz .LBB6_20323
; %bb.20312:                            ;   in Loop: Header=BB6_18303 Depth=3
	v_bfe_u32 v20, v2, 23, 8
	v_cmp_gt_u32_e64 s[28:29], s47, v20
	v_sub_u32_e32 v2, 0x71, v20
	v_cmp_eq_u32_e32 vcc, 0, v20
	v_cndmask_b32_e64 v2, 0, v2, s[28:29]
	v_mov_b32_e32 v21, 0x70
	v_cndmask_b32_e32 v21, v2, v21, vcc
	v_add_u32_e32 v2, 21, v21
	v_or_b32_e32 v26, 0x800000, v0
	s_waitcnt vmcnt(0)
	v_lshlrev_b64 v[51:52], v2, -1
	v_cndmask_b32_e32 v0, v26, v0, vcc
	v_add_u32_e32 v2, 20, v21
	v_bfi_b32 v51, v51, 0, v0
	v_lshlrev_b64 v[53:54], v2, 1
	v_lshrrev_b64 v[0:1], v21, v[0:1]
	v_bfi_b32 v52, v52, 0, 0
	v_cmp_eq_u64_e64 s[28:29], v[51:52], v[53:54]
	v_mov_b32_e32 v2, v1
	v_mov_b32_e32 v1, v0
	s_and_saveexec_b64 s[48:49], s[28:29]
; %bb.20313:                            ;   in Loop: Header=BB6_18303 Depth=3
	v_bfe_u32 v1, v0, 21, 1
	v_add_co_u32_e64 v1, s[28:29], v0, v1
	v_add_co_u32_e64 v1, s[28:29], -1, v1
; %bb.20314:                            ;   in Loop: Header=BB6_18303 Depth=3
	s_or_b64 exec, exec, s[48:49]
	v_add_u32_e32 v2, 0xffffff81, v20
	v_mov_b32_e32 v20, 0xffffff82
	v_cndmask_b32_e32 v2, v2, v20, vcc
	v_lshrrev_b32_e32 v20, 23, v0
	v_add3_u32 v21, v21, v2, v20
	v_add_u32_e32 v20, 14, v21
	v_and_b32_e32 v1, 0x1fffff, v1
	v_add_u32_e32 v0, v1, v0
	v_mov_b32_e32 v1, v33
	v_cmp_ne_u32_e32 vcc, 0, v20
                                        ; implicit-def: $vgpr2
	s_and_saveexec_b64 s[28:29], vcc
	s_xor_b64 s[28:29], exec, s[28:29]
; %bb.20315:                            ;   in Loop: Header=BB6_18303 Depth=3
	v_cmp_lt_u64_e32 vcc, s[88:89], v[0:1]
	v_add_u32_e32 v2, 15, v21
	v_cndmask_b32_e32 v2, v20, v2, vcc
	v_cndmask_b32_e64 v20, 0, 1, vcc
	v_lshrrev_b64 v[0:1], v20, v[0:1]
; %bb.20316:                            ;   in Loop: Header=BB6_18303 Depth=3
	s_andn2_saveexec_b64 s[28:29], s[28:29]
; %bb.20317:                            ;   in Loop: Header=BB6_18303 Depth=3
	v_bfe_u32 v2, v0, 23, 1
; %bb.20318:                            ;   in Loop: Header=BB6_18303 Depth=3
	s_or_b64 exec, exec, s[28:29]
	v_lshrrev_b64 v[0:1], 21, v[0:1]
	v_cmp_gt_i32_e32 vcc, 32, v2
	v_cndmask_b32_e32 v1, 0, v1, vcc
	v_cndmask_b32_e32 v0, 3, v0, vcc
	v_cmp_ne_u64_e32 vcc, 0, v[0:1]
	v_cmp_ne_u32_e64 s[28:29], 0, v2
	s_or_b64 s[28:29], s[28:29], vcc
                                        ; implicit-def: $vgpr20
	s_and_saveexec_b64 s[62:63], s[28:29]
	s_xor_b64 s[28:29], exec, s[62:63]
; %bb.20319:                            ;   in Loop: Header=BB6_18303 Depth=3
	v_min_i32_e32 v1, 31, v2
	v_lshl_or_b32 v1, v1, 2, v7
	v_and_or_b32 v20, v0, 3, v1
                                        ; implicit-def: $vgpr7
; %bb.20320:                            ;   in Loop: Header=BB6_18303 Depth=3
	s_andn2_saveexec_b64 s[28:29], s[28:29]
; %bb.20321:                            ;   in Loop: Header=BB6_18303 Depth=3
	v_mov_b32_e32 v20, v7
; %bb.20322:                            ;   in Loop: Header=BB6_18303 Depth=3
	s_or_b64 exec, exec, s[28:29]
.LBB6_20323:                            ;   in Loop: Header=BB6_18303 Depth=3
	s_or_b64 exec, exec, s[38:39]
                                        ; implicit-def: $vgpr7
.LBB6_20324:                            ;   in Loop: Header=BB6_18303 Depth=3
	s_andn2_saveexec_b64 s[28:29], s[36:37]
; %bb.20325:                            ;   in Loop: Header=BB6_18303 Depth=3
	v_or_b32_e32 v20, 0x7b, v7
; %bb.20326:                            ;   in Loop: Header=BB6_18303 Depth=3
	s_or_b64 exec, exec, s[28:29]
                                        ; implicit-def: $vgpr2
                                        ; implicit-def: $vgpr0_vgpr1
.LBB6_20327:                            ;   in Loop: Header=BB6_18303 Depth=3
	s_andn2_saveexec_b64 s[28:29], s[34:35]
	s_cbranch_execz .LBB6_20333
; %bb.20328:                            ;   in Loop: Header=BB6_18303 Depth=3
	v_cmp_ne_u64_e32 vcc, 0, v[0:1]
                                        ; implicit-def: $vgpr20
	s_and_saveexec_b64 s[62:63], vcc
	s_xor_b64 vcc, exec, s[62:63]
; %bb.20329:                            ;   in Loop: Header=BB6_18303 Depth=3
	v_or_b32_sdwa v20, v2, s44 dst_sel:DWORD dst_unused:UNUSED_PAD src0_sel:BYTE_3 src1_sel:DWORD
                                        ; implicit-def: $vgpr2
; %bb.20330:                            ;   in Loop: Header=BB6_18303 Depth=3
	s_andn2_saveexec_b64 s[34:35], vcc
; %bb.20331:                            ;   in Loop: Header=BB6_18303 Depth=3
	v_cmp_lt_i32_e32 vcc, -1, v2
	v_mov_b32_e32 v0, 0x7c
	v_cndmask_b32_e32 v20, -4, v0, vcc
; %bb.20332:                            ;   in Loop: Header=BB6_18303 Depth=3
	s_or_b64 exec, exec, s[34:35]
.LBB6_20333:                            ;   in Loop: Header=BB6_18303 Depth=3
	s_or_b64 exec, exec, s[28:29]
	buffer_load_dword v0, off, s[0:3], s33 offset:132 ; 4-byte Folded Reload
	buffer_load_dword v1, off, s[0:3], s33 offset:136 ; 4-byte Folded Reload
	s_waitcnt vmcnt(0)
	v_mov_b32_e32 v1, 0
	v_and_b32_e32 v7, 0xff, v0
	v_cmp_ne_u16_e32 vcc, 0, v7
	v_mov_b32_e32 v0, 0
	s_and_saveexec_b64 s[28:29], vcc
	s_cbranch_execz .LBB6_20341
; %bb.20334:                            ;   in Loop: Header=BB6_18303 Depth=3
	v_cmp_ne_u16_e32 vcc, s97, v7
	v_bfrev_b32_e32 v1, 1
	s_and_saveexec_b64 s[34:35], vcc
	s_cbranch_execz .LBB6_20340
; %bb.20335:                            ;   in Loop: Header=BB6_18303 Depth=3
	buffer_load_dword v1, off, s[0:3], s33 offset:132 ; 4-byte Folded Reload
	buffer_load_dword v2, off, s[0:3], s33 offset:136 ; 4-byte Folded Reload
	s_waitcnt vmcnt(0)
	v_and_b32_e32 v2, 3, v1
	v_and_b32_e32 v1, 0x7c, v1
	v_cmp_ne_u32_e32 vcc, s86, v1
                                        ; implicit-def: $vgpr1
	s_and_saveexec_b64 s[62:63], vcc
	s_xor_b64 s[36:37], exec, s[62:63]
	s_cbranch_execz .LBB6_20337
; %bb.20336:                            ;   in Loop: Header=BB6_18303 Depth=3
	buffer_load_dword v53, off, s[0:3], s33 offset:132 ; 4-byte Folded Reload
	buffer_load_dword v54, off, s[0:3], s33 offset:136 ; 4-byte Folded Reload
	v_bfe_u32 v1, v7, 2, 5
	v_ffbh_u32_e32 v7, v2
	v_min_u32_e32 v7, 32, v7
	s_waitcnt vmcnt(0)
	v_mov_b32_e32 v54, v33
	v_subrev_u32_e32 v21, 29, v7
	v_sub_u32_e32 v7, 30, v7
	v_cmp_eq_u32_e32 vcc, 0, v1
	v_cndmask_b32_e32 v1, v1, v7, vcc
	v_lshlrev_b32_e32 v7, 24, v53
	v_lshlrev_b64 v[51:52], v21, v[53:54]
	v_and_b32_e32 v7, 0x80000000, v7
	v_and_b32_e32 v21, 3, v51
	v_cndmask_b32_e32 v2, v2, v21, vcc
	v_lshl_add_u32 v1, v1, 23, v7
	v_lshl_or_b32 v1, v2, 21, v1
	v_add_u32_e32 v1, 0x38000000, v1
                                        ; implicit-def: $vgpr7
                                        ; implicit-def: $vgpr2
	buffer_store_dword v7, off, s[0:3], s33 offset:132 ; 4-byte Folded Spill
	s_nop 0
	buffer_store_dword v8, off, s[0:3], s33 offset:136 ; 4-byte Folded Spill
.LBB6_20337:                            ;   in Loop: Header=BB6_18303 Depth=3
	s_andn2_saveexec_b64 s[36:37], s[36:37]
	s_cbranch_execz .LBB6_20339
; %bb.20338:                            ;   in Loop: Header=BB6_18303 Depth=3
	buffer_load_dword v51, off, s[0:3], s33 offset:132 ; 4-byte Folded Reload
	buffer_load_dword v52, off, s[0:3], s33 offset:136 ; 4-byte Folded Reload
	v_mov_b32_e32 v1, -1
	v_mov_b32_e32 v7, 0x7f800000
	s_waitcnt vmcnt(1)
	v_cmp_gt_i16_sdwa vcc, sext(v51), v1 src0_sel:BYTE_0 src1_sel:DWORD
	v_mov_b32_e32 v1, 0xff800000
	v_cndmask_b32_e32 v1, v1, v7, vcc
	v_cmp_eq_u32_e32 vcc, 0, v2
	v_mov_b32_e32 v2, 0x7f800001
	v_cndmask_b32_e32 v1, v2, v1, vcc
.LBB6_20339:                            ;   in Loop: Header=BB6_18303 Depth=3
	s_or_b64 exec, exec, s[36:37]
.LBB6_20340:                            ;   in Loop: Header=BB6_18303 Depth=3
	s_or_b64 exec, exec, s[34:35]
.LBB6_20341:                            ;   in Loop: Header=BB6_18303 Depth=3
	s_or_b64 exec, exec, s[28:29]
	v_cmp_ne_u16_e32 vcc, 0, v41
	s_and_saveexec_b64 s[28:29], vcc
	s_cbranch_execz .LBB6_20349
; %bb.20342:                            ;   in Loop: Header=BB6_18303 Depth=3
	v_cmp_ne_u16_e32 vcc, s46, v41
	v_bfrev_b32_e32 v0, 1
	s_and_saveexec_b64 s[34:35], vcc
	s_cbranch_execz .LBB6_20348
; %bb.20343:                            ;   in Loop: Header=BB6_18303 Depth=3
	v_and_b32_e32 v0, 0x7c, v41
	v_and_b32_e32 v2, 3, v41
	v_cmp_ne_u32_e32 vcc, s86, v0
                                        ; implicit-def: $vgpr0
	s_and_saveexec_b64 s[62:63], vcc
	s_xor_b64 s[36:37], exec, s[62:63]
	s_cbranch_execz .LBB6_20345
; %bb.20344:                            ;   in Loop: Header=BB6_18303 Depth=3
	v_ffbh_u32_e32 v7, v2
	v_min_u32_e32 v7, 32, v7
	v_and_b32_e32 v0, 0xff, v41
	v_mov_b32_e32 v42, v33
	v_subrev_u32_e32 v21, 29, v7
	v_bfe_u32 v0, v0, 2, 5
	s_waitcnt vmcnt(0)
	v_lshlrev_b64 v[51:52], v21, v[41:42]
	v_sub_u32_e32 v7, 30, v7
	v_cmp_eq_u32_e32 vcc, 0, v0
	v_and_b32_e32 v21, 3, v51
	v_cndmask_b32_e32 v0, v0, v7, vcc
	v_and_b32_sdwa v7, sext(v41), s87 dst_sel:DWORD dst_unused:UNUSED_PAD src0_sel:WORD_0 src1_sel:DWORD
	v_cndmask_b32_e32 v2, v2, v21, vcc
	v_lshl_add_u32 v0, v0, 23, v7
	v_lshl_or_b32 v0, v2, 21, v0
	v_add_u32_e32 v0, 0x38000000, v0
                                        ; implicit-def: $vgpr2
                                        ; implicit-def: $vgpr41
.LBB6_20345:                            ;   in Loop: Header=BB6_18303 Depth=3
	s_andn2_saveexec_b64 s[36:37], s[36:37]
; %bb.20346:                            ;   in Loop: Header=BB6_18303 Depth=3
	v_cmp_lt_i16_e32 vcc, -1, v41
	v_mov_b32_e32 v0, 0xff800000
	v_mov_b32_e32 v7, 0x7f800000
	v_cndmask_b32_e32 v0, v0, v7, vcc
	v_cmp_eq_u32_e32 vcc, 0, v2
	v_mov_b32_e32 v2, 0x7f800001
	v_cndmask_b32_e32 v0, v2, v0, vcc
; %bb.20347:                            ;   in Loop: Header=BB6_18303 Depth=3
	s_or_b64 exec, exec, s[36:37]
.LBB6_20348:                            ;   in Loop: Header=BB6_18303 Depth=3
	s_or_b64 exec, exec, s[34:35]
.LBB6_20349:                            ;   in Loop: Header=BB6_18303 Depth=3
	s_or_b64 exec, exec, s[28:29]
	v_add_f32_e32 v2, v1, v0
	v_and_b32_e32 v51, 0x7f800000, v2
	s_waitcnt vmcnt(0)
	v_mov_b32_e32 v52, v33
	v_cmp_ne_u64_e32 vcc, s[76:77], v[51:52]
	v_and_b32_e32 v0, 0x7fffff, v2
	v_mov_b32_e32 v1, v33
                                        ; implicit-def: $vgpr21
	s_and_saveexec_b64 s[28:29], vcc
	s_xor_b64 s[34:35], exec, s[28:29]
	s_cbranch_execz .LBB6_20367
; %bb.20350:                            ;   in Loop: Header=BB6_18303 Depth=3
	v_and_b32_e32 v51, 0x7fffffff, v2
	v_mov_b32_e32 v52, v33
	v_cmp_gt_u64_e32 vcc, s[78:79], v[51:52]
	v_and_b32_sdwa v7, v2, s97 dst_sel:DWORD dst_unused:UNUSED_PAD src0_sel:BYTE_3 src1_sel:DWORD
                                        ; implicit-def: $vgpr21
	s_and_saveexec_b64 s[28:29], vcc
	s_xor_b64 s[36:37], exec, s[28:29]
	s_cbranch_execz .LBB6_20364
; %bb.20351:                            ;   in Loop: Header=BB6_18303 Depth=3
	v_cmp_ne_u32_e32 vcc, 0, v2
	v_mov_b32_e32 v21, 0
	s_and_saveexec_b64 s[38:39], vcc
	s_cbranch_execz .LBB6_20363
; %bb.20352:                            ;   in Loop: Header=BB6_18303 Depth=3
	v_bfe_u32 v21, v2, 23, 8
	v_cmp_gt_u32_e64 s[28:29], s47, v21
	v_sub_u32_e32 v2, 0x71, v21
	v_cmp_eq_u32_e32 vcc, 0, v21
	v_cndmask_b32_e64 v2, 0, v2, s[28:29]
	v_mov_b32_e32 v26, 0x70
	v_cndmask_b32_e32 v26, v2, v26, vcc
	v_or_b32_e32 v51, 0x800000, v0
	v_add_u32_e32 v2, 21, v26
	v_cndmask_b32_e32 v0, v51, v0, vcc
	v_lshlrev_b64 v[51:52], v2, -1
	v_add_u32_e32 v2, 20, v26
	v_bfi_b32 v51, v51, 0, v0
	v_lshlrev_b64 v[53:54], v2, 1
	v_lshrrev_b64 v[0:1], v26, v[0:1]
	v_bfi_b32 v52, v52, 0, 0
	v_cmp_eq_u64_e64 s[28:29], v[51:52], v[53:54]
	v_mov_b32_e32 v2, v1
	v_mov_b32_e32 v1, v0
	s_and_saveexec_b64 s[48:49], s[28:29]
; %bb.20353:                            ;   in Loop: Header=BB6_18303 Depth=3
	v_bfe_u32 v1, v0, 21, 1
	v_add_co_u32_e64 v1, s[28:29], v0, v1
	v_add_co_u32_e64 v1, s[28:29], -1, v1
; %bb.20354:                            ;   in Loop: Header=BB6_18303 Depth=3
	s_or_b64 exec, exec, s[48:49]
	v_add_u32_e32 v2, 0xffffff81, v21
	v_mov_b32_e32 v21, 0xffffff82
	v_cndmask_b32_e32 v2, v2, v21, vcc
	v_lshrrev_b32_e32 v21, 23, v0
	v_add3_u32 v26, v26, v2, v21
	v_add_u32_e32 v21, 14, v26
	v_and_b32_e32 v1, 0x1fffff, v1
	v_add_u32_e32 v0, v1, v0
	v_mov_b32_e32 v1, v33
	v_cmp_ne_u32_e32 vcc, 0, v21
                                        ; implicit-def: $vgpr2
	s_and_saveexec_b64 s[28:29], vcc
	s_xor_b64 s[28:29], exec, s[28:29]
; %bb.20355:                            ;   in Loop: Header=BB6_18303 Depth=3
	v_cmp_lt_u64_e32 vcc, s[88:89], v[0:1]
	v_add_u32_e32 v2, 15, v26
	v_cndmask_b32_e32 v2, v21, v2, vcc
	v_cndmask_b32_e64 v21, 0, 1, vcc
	v_lshrrev_b64 v[0:1], v21, v[0:1]
; %bb.20356:                            ;   in Loop: Header=BB6_18303 Depth=3
	s_andn2_saveexec_b64 s[28:29], s[28:29]
; %bb.20357:                            ;   in Loop: Header=BB6_18303 Depth=3
	v_bfe_u32 v2, v0, 23, 1
; %bb.20358:                            ;   in Loop: Header=BB6_18303 Depth=3
	s_or_b64 exec, exec, s[28:29]
	v_lshrrev_b64 v[0:1], 21, v[0:1]
	v_cmp_gt_i32_e32 vcc, 32, v2
	v_cndmask_b32_e32 v1, 0, v1, vcc
	v_cndmask_b32_e32 v0, 3, v0, vcc
	v_cmp_ne_u64_e32 vcc, 0, v[0:1]
	v_cmp_ne_u32_e64 s[28:29], 0, v2
	s_or_b64 s[28:29], s[28:29], vcc
                                        ; implicit-def: $vgpr21
	s_and_saveexec_b64 s[62:63], s[28:29]
	s_xor_b64 s[28:29], exec, s[62:63]
; %bb.20359:                            ;   in Loop: Header=BB6_18303 Depth=3
	v_min_i32_e32 v1, 31, v2
	v_lshl_or_b32 v1, v1, 2, v7
	v_and_or_b32 v21, v0, 3, v1
                                        ; implicit-def: $vgpr7
; %bb.20360:                            ;   in Loop: Header=BB6_18303 Depth=3
	s_andn2_saveexec_b64 s[28:29], s[28:29]
; %bb.20361:                            ;   in Loop: Header=BB6_18303 Depth=3
	v_mov_b32_e32 v21, v7
; %bb.20362:                            ;   in Loop: Header=BB6_18303 Depth=3
	s_or_b64 exec, exec, s[28:29]
.LBB6_20363:                            ;   in Loop: Header=BB6_18303 Depth=3
	s_or_b64 exec, exec, s[38:39]
                                        ; implicit-def: $vgpr7
.LBB6_20364:                            ;   in Loop: Header=BB6_18303 Depth=3
	s_andn2_saveexec_b64 s[28:29], s[36:37]
; %bb.20365:                            ;   in Loop: Header=BB6_18303 Depth=3
	v_or_b32_e32 v21, 0x7b, v7
; %bb.20366:                            ;   in Loop: Header=BB6_18303 Depth=3
	s_or_b64 exec, exec, s[28:29]
                                        ; implicit-def: $vgpr2
                                        ; implicit-def: $vgpr0_vgpr1
.LBB6_20367:                            ;   in Loop: Header=BB6_18303 Depth=3
	s_andn2_saveexec_b64 s[28:29], s[34:35]
	s_cbranch_execz .LBB6_20373
; %bb.20368:                            ;   in Loop: Header=BB6_18303 Depth=3
	v_cmp_ne_u64_e32 vcc, 0, v[0:1]
                                        ; implicit-def: $vgpr21
	s_and_saveexec_b64 s[62:63], vcc
	s_xor_b64 vcc, exec, s[62:63]
; %bb.20369:                            ;   in Loop: Header=BB6_18303 Depth=3
	v_or_b32_sdwa v21, v2, s44 dst_sel:DWORD dst_unused:UNUSED_PAD src0_sel:BYTE_3 src1_sel:DWORD
                                        ; implicit-def: $vgpr2
; %bb.20370:                            ;   in Loop: Header=BB6_18303 Depth=3
	s_andn2_saveexec_b64 s[34:35], vcc
; %bb.20371:                            ;   in Loop: Header=BB6_18303 Depth=3
	v_cmp_lt_i32_e32 vcc, -1, v2
	v_mov_b32_e32 v0, 0x7c
	v_cndmask_b32_e32 v21, -4, v0, vcc
; %bb.20372:                            ;   in Loop: Header=BB6_18303 Depth=3
	s_or_b64 exec, exec, s[34:35]
.LBB6_20373:                            ;   in Loop: Header=BB6_18303 Depth=3
	s_or_b64 exec, exec, s[28:29]
	buffer_load_dword v0, off, s[0:3], s33 offset:124 ; 4-byte Folded Reload
	buffer_load_dword v1, off, s[0:3], s33 offset:128 ; 4-byte Folded Reload
	s_waitcnt vmcnt(0)
	v_mov_b32_e32 v1, 0
	v_and_b32_e32 v7, 0xff, v0
	v_cmp_ne_u16_e32 vcc, 0, v7
	v_mov_b32_e32 v0, 0
	s_and_saveexec_b64 s[28:29], vcc
	s_cbranch_execz .LBB6_20381
; %bb.20374:                            ;   in Loop: Header=BB6_18303 Depth=3
	v_cmp_ne_u16_e32 vcc, s97, v7
	v_bfrev_b32_e32 v1, 1
	s_and_saveexec_b64 s[34:35], vcc
	s_cbranch_execz .LBB6_20380
; %bb.20375:                            ;   in Loop: Header=BB6_18303 Depth=3
	buffer_load_dword v1, off, s[0:3], s33 offset:124 ; 4-byte Folded Reload
	buffer_load_dword v2, off, s[0:3], s33 offset:128 ; 4-byte Folded Reload
	s_waitcnt vmcnt(0)
	v_and_b32_e32 v2, 3, v1
	v_and_b32_e32 v1, 0x7c, v1
	v_cmp_ne_u32_e32 vcc, s86, v1
                                        ; implicit-def: $vgpr1
	s_and_saveexec_b64 s[62:63], vcc
	s_xor_b64 s[36:37], exec, s[62:63]
	s_cbranch_execz .LBB6_20377
; %bb.20376:                            ;   in Loop: Header=BB6_18303 Depth=3
	buffer_load_dword v53, off, s[0:3], s33 offset:124 ; 4-byte Folded Reload
	buffer_load_dword v54, off, s[0:3], s33 offset:128 ; 4-byte Folded Reload
	v_bfe_u32 v1, v7, 2, 5
	v_ffbh_u32_e32 v7, v2
	v_min_u32_e32 v7, 32, v7
	s_waitcnt vmcnt(0)
	v_mov_b32_e32 v54, v33
	v_subrev_u32_e32 v26, 29, v7
	v_sub_u32_e32 v7, 30, v7
	v_cmp_eq_u32_e32 vcc, 0, v1
	v_cndmask_b32_e32 v1, v1, v7, vcc
	v_lshlrev_b32_e32 v7, 24, v53
	v_lshlrev_b64 v[51:52], v26, v[53:54]
	v_and_b32_e32 v7, 0x80000000, v7
	v_and_b32_e32 v26, 3, v51
	v_cndmask_b32_e32 v2, v2, v26, vcc
	v_lshl_add_u32 v1, v1, 23, v7
	v_lshl_or_b32 v1, v2, 21, v1
	v_add_u32_e32 v1, 0x38000000, v1
                                        ; implicit-def: $vgpr7
                                        ; implicit-def: $vgpr2
	buffer_store_dword v7, off, s[0:3], s33 offset:124 ; 4-byte Folded Spill
	s_nop 0
	buffer_store_dword v8, off, s[0:3], s33 offset:128 ; 4-byte Folded Spill
.LBB6_20377:                            ;   in Loop: Header=BB6_18303 Depth=3
	s_andn2_saveexec_b64 s[36:37], s[36:37]
	s_cbranch_execz .LBB6_20379
; %bb.20378:                            ;   in Loop: Header=BB6_18303 Depth=3
	buffer_load_dword v51, off, s[0:3], s33 offset:124 ; 4-byte Folded Reload
	buffer_load_dword v52, off, s[0:3], s33 offset:128 ; 4-byte Folded Reload
	v_mov_b32_e32 v1, -1
	v_mov_b32_e32 v7, 0x7f800000
	s_waitcnt vmcnt(1)
	v_cmp_gt_i16_sdwa vcc, sext(v51), v1 src0_sel:BYTE_0 src1_sel:DWORD
	v_mov_b32_e32 v1, 0xff800000
	v_cndmask_b32_e32 v1, v1, v7, vcc
	v_cmp_eq_u32_e32 vcc, 0, v2
	v_mov_b32_e32 v2, 0x7f800001
	v_cndmask_b32_e32 v1, v2, v1, vcc
.LBB6_20379:                            ;   in Loop: Header=BB6_18303 Depth=3
	s_or_b64 exec, exec, s[36:37]
.LBB6_20380:                            ;   in Loop: Header=BB6_18303 Depth=3
	s_or_b64 exec, exec, s[34:35]
.LBB6_20381:                            ;   in Loop: Header=BB6_18303 Depth=3
	s_or_b64 exec, exec, s[28:29]
	v_cmp_ne_u16_e32 vcc, 0, v40
	s_and_saveexec_b64 s[28:29], vcc
	s_cbranch_execz .LBB6_20389
; %bb.20382:                            ;   in Loop: Header=BB6_18303 Depth=3
	v_cmp_ne_u16_e32 vcc, s46, v40
	v_bfrev_b32_e32 v0, 1
	s_and_saveexec_b64 s[34:35], vcc
	s_cbranch_execz .LBB6_20388
; %bb.20383:                            ;   in Loop: Header=BB6_18303 Depth=3
	v_and_b32_e32 v0, 0x7c, v40
	v_and_b32_e32 v2, 3, v40
	v_cmp_ne_u32_e32 vcc, s86, v0
                                        ; implicit-def: $vgpr0
	s_and_saveexec_b64 s[62:63], vcc
	s_xor_b64 s[36:37], exec, s[62:63]
	s_cbranch_execz .LBB6_20385
; %bb.20384:                            ;   in Loop: Header=BB6_18303 Depth=3
	v_ffbh_u32_e32 v7, v2
	v_min_u32_e32 v7, 32, v7
	v_and_b32_e32 v0, 0xff, v40
	v_mov_b32_e32 v41, v33
	v_subrev_u32_e32 v26, 29, v7
	v_bfe_u32 v0, v0, 2, 5
	s_waitcnt vmcnt(0)
	v_lshlrev_b64 v[51:52], v26, v[40:41]
	v_sub_u32_e32 v7, 30, v7
	v_cmp_eq_u32_e32 vcc, 0, v0
	v_and_b32_e32 v26, 3, v51
	v_cndmask_b32_e32 v0, v0, v7, vcc
	v_and_b32_sdwa v7, sext(v40), s87 dst_sel:DWORD dst_unused:UNUSED_PAD src0_sel:WORD_0 src1_sel:DWORD
	v_cndmask_b32_e32 v2, v2, v26, vcc
	v_lshl_add_u32 v0, v0, 23, v7
	v_lshl_or_b32 v0, v2, 21, v0
	v_add_u32_e32 v0, 0x38000000, v0
                                        ; implicit-def: $vgpr2
                                        ; implicit-def: $vgpr40
.LBB6_20385:                            ;   in Loop: Header=BB6_18303 Depth=3
	s_andn2_saveexec_b64 s[36:37], s[36:37]
; %bb.20386:                            ;   in Loop: Header=BB6_18303 Depth=3
	v_cmp_lt_i16_e32 vcc, -1, v40
	v_mov_b32_e32 v0, 0xff800000
	v_mov_b32_e32 v7, 0x7f800000
	v_cndmask_b32_e32 v0, v0, v7, vcc
	v_cmp_eq_u32_e32 vcc, 0, v2
	v_mov_b32_e32 v2, 0x7f800001
	v_cndmask_b32_e32 v0, v2, v0, vcc
; %bb.20387:                            ;   in Loop: Header=BB6_18303 Depth=3
	s_or_b64 exec, exec, s[36:37]
.LBB6_20388:                            ;   in Loop: Header=BB6_18303 Depth=3
	s_or_b64 exec, exec, s[34:35]
.LBB6_20389:                            ;   in Loop: Header=BB6_18303 Depth=3
	s_or_b64 exec, exec, s[28:29]
	v_add_f32_e32 v2, v1, v0
	v_and_b32_e32 v51, 0x7f800000, v2
	s_waitcnt vmcnt(0)
	v_mov_b32_e32 v52, v33
	v_cmp_ne_u64_e32 vcc, s[76:77], v[51:52]
	v_and_b32_e32 v0, 0x7fffff, v2
	v_mov_b32_e32 v1, v33
                                        ; implicit-def: $vgpr51
	s_and_saveexec_b64 s[28:29], vcc
	s_xor_b64 s[34:35], exec, s[28:29]
	s_cbranch_execz .LBB6_20407
; %bb.20390:                            ;   in Loop: Header=BB6_18303 Depth=3
	v_and_b32_e32 v51, 0x7fffffff, v2
	v_mov_b32_e32 v52, v33
	v_cmp_gt_u64_e32 vcc, s[78:79], v[51:52]
	v_and_b32_sdwa v7, v2, s97 dst_sel:DWORD dst_unused:UNUSED_PAD src0_sel:BYTE_3 src1_sel:DWORD
                                        ; implicit-def: $vgpr51
	s_and_saveexec_b64 s[28:29], vcc
	s_xor_b64 s[36:37], exec, s[28:29]
	s_cbranch_execz .LBB6_20404
; %bb.20391:                            ;   in Loop: Header=BB6_18303 Depth=3
	v_cmp_ne_u32_e32 vcc, 0, v2
	v_mov_b32_e32 v51, 0
	s_and_saveexec_b64 s[38:39], vcc
	s_cbranch_execz .LBB6_20403
; %bb.20392:                            ;   in Loop: Header=BB6_18303 Depth=3
	v_bfe_u32 v26, v2, 23, 8
	v_cmp_gt_u32_e64 s[28:29], s47, v26
	v_sub_u32_e32 v2, 0x71, v26
	v_cmp_eq_u32_e32 vcc, 0, v26
	v_cndmask_b32_e64 v2, 0, v2, s[28:29]
	v_mov_b32_e32 v51, 0x70
	v_cndmask_b32_e32 v51, v2, v51, vcc
	v_or_b32_e32 v52, 0x800000, v0
	v_add_u32_e32 v2, 21, v51
	v_cndmask_b32_e32 v0, v52, v0, vcc
	v_lshlrev_b64 v[52:53], v2, -1
	v_add_u32_e32 v2, 20, v51
	v_bfi_b32 v52, v52, 0, v0
	v_lshlrev_b64 v[54:55], v2, 1
	v_lshrrev_b64 v[0:1], v51, v[0:1]
	v_bfi_b32 v53, v53, 0, 0
	v_cmp_eq_u64_e64 s[28:29], v[52:53], v[54:55]
	v_mov_b32_e32 v2, v1
	v_mov_b32_e32 v1, v0
	s_and_saveexec_b64 s[48:49], s[28:29]
; %bb.20393:                            ;   in Loop: Header=BB6_18303 Depth=3
	v_bfe_u32 v1, v0, 21, 1
	v_add_co_u32_e64 v1, s[28:29], v0, v1
	v_add_co_u32_e64 v1, s[28:29], -1, v1
; %bb.20394:                            ;   in Loop: Header=BB6_18303 Depth=3
	s_or_b64 exec, exec, s[48:49]
	v_add_u32_e32 v2, 0xffffff81, v26
	v_mov_b32_e32 v26, 0xffffff82
	v_cndmask_b32_e32 v2, v2, v26, vcc
	v_lshrrev_b32_e32 v26, 23, v0
	v_add3_u32 v51, v51, v2, v26
	v_add_u32_e32 v26, 14, v51
	v_and_b32_e32 v1, 0x1fffff, v1
	v_add_u32_e32 v0, v1, v0
	v_mov_b32_e32 v1, v33
	v_cmp_ne_u32_e32 vcc, 0, v26
                                        ; implicit-def: $vgpr2
	s_and_saveexec_b64 s[28:29], vcc
	s_xor_b64 s[28:29], exec, s[28:29]
; %bb.20395:                            ;   in Loop: Header=BB6_18303 Depth=3
	v_cmp_lt_u64_e32 vcc, s[88:89], v[0:1]
	v_add_u32_e32 v2, 15, v51
	v_cndmask_b32_e32 v2, v26, v2, vcc
	v_cndmask_b32_e64 v26, 0, 1, vcc
	v_lshrrev_b64 v[0:1], v26, v[0:1]
; %bb.20396:                            ;   in Loop: Header=BB6_18303 Depth=3
	s_andn2_saveexec_b64 s[28:29], s[28:29]
; %bb.20397:                            ;   in Loop: Header=BB6_18303 Depth=3
	v_bfe_u32 v2, v0, 23, 1
; %bb.20398:                            ;   in Loop: Header=BB6_18303 Depth=3
	s_or_b64 exec, exec, s[28:29]
	v_lshrrev_b64 v[0:1], 21, v[0:1]
	v_cmp_gt_i32_e32 vcc, 32, v2
	v_cndmask_b32_e32 v1, 0, v1, vcc
	v_cndmask_b32_e32 v0, 3, v0, vcc
	v_cmp_ne_u64_e32 vcc, 0, v[0:1]
	v_cmp_ne_u32_e64 s[28:29], 0, v2
	s_or_b64 s[28:29], s[28:29], vcc
                                        ; implicit-def: $vgpr51
	s_and_saveexec_b64 s[62:63], s[28:29]
	s_xor_b64 s[28:29], exec, s[62:63]
; %bb.20399:                            ;   in Loop: Header=BB6_18303 Depth=3
	v_min_i32_e32 v1, 31, v2
	v_lshl_or_b32 v1, v1, 2, v7
	v_and_or_b32 v51, v0, 3, v1
                                        ; implicit-def: $vgpr7
; %bb.20400:                            ;   in Loop: Header=BB6_18303 Depth=3
	s_andn2_saveexec_b64 s[28:29], s[28:29]
; %bb.20401:                            ;   in Loop: Header=BB6_18303 Depth=3
	v_mov_b32_e32 v51, v7
; %bb.20402:                            ;   in Loop: Header=BB6_18303 Depth=3
	s_or_b64 exec, exec, s[28:29]
.LBB6_20403:                            ;   in Loop: Header=BB6_18303 Depth=3
	s_or_b64 exec, exec, s[38:39]
                                        ; implicit-def: $vgpr7
.LBB6_20404:                            ;   in Loop: Header=BB6_18303 Depth=3
	s_andn2_saveexec_b64 s[28:29], s[36:37]
; %bb.20405:                            ;   in Loop: Header=BB6_18303 Depth=3
	v_or_b32_e32 v51, 0x7b, v7
; %bb.20406:                            ;   in Loop: Header=BB6_18303 Depth=3
	s_or_b64 exec, exec, s[28:29]
                                        ; implicit-def: $vgpr2
                                        ; implicit-def: $vgpr0_vgpr1
.LBB6_20407:                            ;   in Loop: Header=BB6_18303 Depth=3
	s_andn2_saveexec_b64 s[28:29], s[34:35]
	s_cbranch_execz .LBB6_20413
; %bb.20408:                            ;   in Loop: Header=BB6_18303 Depth=3
	v_cmp_ne_u64_e32 vcc, 0, v[0:1]
                                        ; implicit-def: $vgpr51
	s_and_saveexec_b64 s[62:63], vcc
	s_xor_b64 vcc, exec, s[62:63]
; %bb.20409:                            ;   in Loop: Header=BB6_18303 Depth=3
	v_or_b32_sdwa v51, v2, s44 dst_sel:DWORD dst_unused:UNUSED_PAD src0_sel:BYTE_3 src1_sel:DWORD
                                        ; implicit-def: $vgpr2
; %bb.20410:                            ;   in Loop: Header=BB6_18303 Depth=3
	s_andn2_saveexec_b64 s[34:35], vcc
; %bb.20411:                            ;   in Loop: Header=BB6_18303 Depth=3
	v_cmp_lt_i32_e32 vcc, -1, v2
	v_mov_b32_e32 v0, 0x7c
	v_cndmask_b32_e32 v51, -4, v0, vcc
; %bb.20412:                            ;   in Loop: Header=BB6_18303 Depth=3
	s_or_b64 exec, exec, s[34:35]
.LBB6_20413:                            ;   in Loop: Header=BB6_18303 Depth=3
	s_or_b64 exec, exec, s[28:29]
	buffer_load_dword v0, off, s[0:3], s33 offset:116 ; 4-byte Folded Reload
	buffer_load_dword v1, off, s[0:3], s33 offset:120 ; 4-byte Folded Reload
	s_waitcnt vmcnt(0)
	v_mov_b32_e32 v1, 0
	v_and_b32_e32 v7, 0xff, v0
	v_cmp_ne_u16_e32 vcc, 0, v7
	v_mov_b32_e32 v0, 0
	s_and_saveexec_b64 s[28:29], vcc
	s_cbranch_execz .LBB6_20421
; %bb.20414:                            ;   in Loop: Header=BB6_18303 Depth=3
	v_cmp_ne_u16_e32 vcc, s97, v7
	v_bfrev_b32_e32 v1, 1
	s_and_saveexec_b64 s[34:35], vcc
	s_cbranch_execz .LBB6_20420
; %bb.20415:                            ;   in Loop: Header=BB6_18303 Depth=3
	buffer_load_dword v1, off, s[0:3], s33 offset:116 ; 4-byte Folded Reload
	buffer_load_dword v2, off, s[0:3], s33 offset:120 ; 4-byte Folded Reload
	s_waitcnt vmcnt(0)
	v_and_b32_e32 v2, 3, v1
	v_and_b32_e32 v1, 0x7c, v1
	v_cmp_ne_u32_e32 vcc, s86, v1
                                        ; implicit-def: $vgpr1
	s_and_saveexec_b64 s[62:63], vcc
	s_xor_b64 s[36:37], exec, s[62:63]
	s_cbranch_execz .LBB6_20417
; %bb.20416:                            ;   in Loop: Header=BB6_18303 Depth=3
	buffer_load_dword v54, off, s[0:3], s33 offset:116 ; 4-byte Folded Reload
	buffer_load_dword v55, off, s[0:3], s33 offset:120 ; 4-byte Folded Reload
	v_bfe_u32 v1, v7, 2, 5
	v_ffbh_u32_e32 v7, v2
	v_min_u32_e32 v7, 32, v7
	s_waitcnt vmcnt(0)
	v_mov_b32_e32 v55, v33
	v_subrev_u32_e32 v26, 29, v7
	v_sub_u32_e32 v7, 30, v7
	v_cmp_eq_u32_e32 vcc, 0, v1
	v_cndmask_b32_e32 v1, v1, v7, vcc
	v_lshlrev_b32_e32 v7, 24, v54
	v_lshlrev_b64 v[52:53], v26, v[54:55]
	v_and_b32_e32 v7, 0x80000000, v7
	v_and_b32_e32 v26, 3, v52
	v_cndmask_b32_e32 v2, v2, v26, vcc
	v_lshl_add_u32 v1, v1, 23, v7
	v_lshl_or_b32 v1, v2, 21, v1
	v_add_u32_e32 v1, 0x38000000, v1
                                        ; implicit-def: $vgpr7
                                        ; implicit-def: $vgpr2
	buffer_store_dword v7, off, s[0:3], s33 offset:116 ; 4-byte Folded Spill
	s_nop 0
	buffer_store_dword v8, off, s[0:3], s33 offset:120 ; 4-byte Folded Spill
.LBB6_20417:                            ;   in Loop: Header=BB6_18303 Depth=3
	s_andn2_saveexec_b64 s[36:37], s[36:37]
	s_cbranch_execz .LBB6_20419
; %bb.20418:                            ;   in Loop: Header=BB6_18303 Depth=3
	buffer_load_dword v52, off, s[0:3], s33 offset:116 ; 4-byte Folded Reload
	buffer_load_dword v53, off, s[0:3], s33 offset:120 ; 4-byte Folded Reload
	v_mov_b32_e32 v1, -1
	v_mov_b32_e32 v7, 0x7f800000
	s_waitcnt vmcnt(1)
	v_cmp_gt_i16_sdwa vcc, sext(v52), v1 src0_sel:BYTE_0 src1_sel:DWORD
	v_mov_b32_e32 v1, 0xff800000
	v_cndmask_b32_e32 v1, v1, v7, vcc
	v_cmp_eq_u32_e32 vcc, 0, v2
	v_mov_b32_e32 v2, 0x7f800001
	v_cndmask_b32_e32 v1, v2, v1, vcc
.LBB6_20419:                            ;   in Loop: Header=BB6_18303 Depth=3
	s_or_b64 exec, exec, s[36:37]
.LBB6_20420:                            ;   in Loop: Header=BB6_18303 Depth=3
	s_or_b64 exec, exec, s[34:35]
.LBB6_20421:                            ;   in Loop: Header=BB6_18303 Depth=3
	s_or_b64 exec, exec, s[28:29]
	v_cmp_ne_u16_e32 vcc, 0, v6
	s_and_saveexec_b64 s[28:29], vcc
	s_cbranch_execz .LBB6_20429
; %bb.20422:                            ;   in Loop: Header=BB6_18303 Depth=3
	v_cmp_ne_u16_e32 vcc, s46, v6
	v_bfrev_b32_e32 v0, 1
	s_and_saveexec_b64 s[34:35], vcc
	s_cbranch_execz .LBB6_20428
; %bb.20423:                            ;   in Loop: Header=BB6_18303 Depth=3
	v_and_b32_e32 v0, 0x7c, v6
	v_and_b32_e32 v2, 3, v6
	v_cmp_ne_u32_e32 vcc, s86, v0
                                        ; implicit-def: $vgpr0
	s_and_saveexec_b64 s[62:63], vcc
	s_xor_b64 s[36:37], exec, s[62:63]
	s_cbranch_execz .LBB6_20425
; %bb.20424:                            ;   in Loop: Header=BB6_18303 Depth=3
	v_ffbh_u32_e32 v26, v2
	v_min_u32_e32 v26, 32, v26
	v_and_b32_e32 v0, 0xff, v6
	v_mov_b32_e32 v7, v33
	v_subrev_u32_e32 v52, 29, v26
	v_bfe_u32 v0, v0, 2, 5
	s_waitcnt vmcnt(0)
	v_lshlrev_b64 v[52:53], v52, v[6:7]
	v_sub_u32_e32 v7, 30, v26
	v_cmp_eq_u32_e32 vcc, 0, v0
	v_and_b32_e32 v26, 3, v52
	v_cndmask_b32_e32 v0, v0, v7, vcc
	v_and_b32_sdwa v6, sext(v6), s87 dst_sel:DWORD dst_unused:UNUSED_PAD src0_sel:WORD_0 src1_sel:DWORD
	v_cndmask_b32_e32 v2, v2, v26, vcc
	v_lshl_add_u32 v0, v0, 23, v6
	v_lshl_or_b32 v0, v2, 21, v0
	v_add_u32_e32 v0, 0x38000000, v0
                                        ; implicit-def: $vgpr2
                                        ; implicit-def: $vgpr6
.LBB6_20425:                            ;   in Loop: Header=BB6_18303 Depth=3
	s_andn2_saveexec_b64 s[36:37], s[36:37]
; %bb.20426:                            ;   in Loop: Header=BB6_18303 Depth=3
	v_cmp_lt_i16_e32 vcc, -1, v6
	v_mov_b32_e32 v0, 0xff800000
	v_mov_b32_e32 v6, 0x7f800000
	v_cndmask_b32_e32 v0, v0, v6, vcc
	v_cmp_eq_u32_e32 vcc, 0, v2
	v_mov_b32_e32 v2, 0x7f800001
	v_cndmask_b32_e32 v0, v2, v0, vcc
; %bb.20427:                            ;   in Loop: Header=BB6_18303 Depth=3
	s_or_b64 exec, exec, s[36:37]
.LBB6_20428:                            ;   in Loop: Header=BB6_18303 Depth=3
	s_or_b64 exec, exec, s[34:35]
.LBB6_20429:                            ;   in Loop: Header=BB6_18303 Depth=3
	s_or_b64 exec, exec, s[28:29]
	v_add_f32_e32 v2, v1, v0
	v_and_b32_e32 v6, 0x7f800000, v2
	v_mov_b32_e32 v7, v33
	v_cmp_ne_u64_e32 vcc, s[76:77], v[6:7]
	v_and_b32_e32 v0, 0x7fffff, v2
	v_mov_b32_e32 v1, v33
                                        ; implicit-def: $vgpr6
	s_and_saveexec_b64 s[28:29], vcc
	s_xor_b64 s[34:35], exec, s[28:29]
	s_cbranch_execz .LBB6_20447
; %bb.20430:                            ;   in Loop: Header=BB6_18303 Depth=3
	v_and_b32_e32 v6, 0x7fffffff, v2
	v_mov_b32_e32 v7, v33
	v_cmp_gt_u64_e32 vcc, s[78:79], v[6:7]
	v_and_b32_sdwa v7, v2, s97 dst_sel:DWORD dst_unused:UNUSED_PAD src0_sel:BYTE_3 src1_sel:DWORD
                                        ; implicit-def: $vgpr6
	s_and_saveexec_b64 s[28:29], vcc
	s_xor_b64 s[36:37], exec, s[28:29]
	s_cbranch_execz .LBB6_20444
; %bb.20431:                            ;   in Loop: Header=BB6_18303 Depth=3
	v_cmp_ne_u32_e32 vcc, 0, v2
	v_mov_b32_e32 v6, 0
	s_and_saveexec_b64 s[38:39], vcc
	s_cbranch_execz .LBB6_20443
; %bb.20432:                            ;   in Loop: Header=BB6_18303 Depth=3
	v_bfe_u32 v6, v2, 23, 8
	v_cmp_gt_u32_e64 s[28:29], s47, v6
	v_sub_u32_e32 v2, 0x71, v6
	v_cmp_eq_u32_e32 vcc, 0, v6
	v_cndmask_b32_e64 v2, 0, v2, s[28:29]
	v_mov_b32_e32 v26, 0x70
	v_cndmask_b32_e32 v26, v2, v26, vcc
	v_or_b32_e32 v52, 0x800000, v0
	v_add_u32_e32 v2, 21, v26
	v_cndmask_b32_e32 v0, v52, v0, vcc
	s_waitcnt vmcnt(0)
	v_lshlrev_b64 v[52:53], v2, -1
	v_add_u32_e32 v2, 20, v26
	v_bfi_b32 v52, v52, 0, v0
	v_lshlrev_b64 v[54:55], v2, 1
	v_lshrrev_b64 v[0:1], v26, v[0:1]
	v_bfi_b32 v53, v53, 0, 0
	v_cmp_eq_u64_e64 s[28:29], v[52:53], v[54:55]
	v_mov_b32_e32 v2, v1
	v_mov_b32_e32 v1, v0
	s_and_saveexec_b64 s[48:49], s[28:29]
; %bb.20433:                            ;   in Loop: Header=BB6_18303 Depth=3
	v_bfe_u32 v1, v0, 21, 1
	v_add_co_u32_e64 v1, s[28:29], v0, v1
	v_add_co_u32_e64 v1, s[28:29], -1, v1
; %bb.20434:                            ;   in Loop: Header=BB6_18303 Depth=3
	s_or_b64 exec, exec, s[48:49]
	v_add_u32_e32 v2, 0xffffff81, v6
	v_mov_b32_e32 v6, 0xffffff82
	v_cndmask_b32_e32 v2, v2, v6, vcc
	v_lshrrev_b32_e32 v6, 23, v0
	v_add3_u32 v26, v26, v2, v6
	v_add_u32_e32 v6, 14, v26
	v_and_b32_e32 v1, 0x1fffff, v1
	v_add_u32_e32 v0, v1, v0
	v_mov_b32_e32 v1, v33
	v_cmp_ne_u32_e32 vcc, 0, v6
                                        ; implicit-def: $vgpr2
	s_and_saveexec_b64 s[28:29], vcc
	s_xor_b64 s[28:29], exec, s[28:29]
; %bb.20435:                            ;   in Loop: Header=BB6_18303 Depth=3
	v_cmp_lt_u64_e32 vcc, s[88:89], v[0:1]
	v_add_u32_e32 v2, 15, v26
	v_cndmask_b32_e32 v2, v6, v2, vcc
	v_cndmask_b32_e64 v6, 0, 1, vcc
	v_lshrrev_b64 v[0:1], v6, v[0:1]
; %bb.20436:                            ;   in Loop: Header=BB6_18303 Depth=3
	s_andn2_saveexec_b64 s[28:29], s[28:29]
; %bb.20437:                            ;   in Loop: Header=BB6_18303 Depth=3
	v_bfe_u32 v2, v0, 23, 1
; %bb.20438:                            ;   in Loop: Header=BB6_18303 Depth=3
	s_or_b64 exec, exec, s[28:29]
	v_lshrrev_b64 v[0:1], 21, v[0:1]
	v_cmp_gt_i32_e32 vcc, 32, v2
	v_cndmask_b32_e32 v1, 0, v1, vcc
	v_cndmask_b32_e32 v0, 3, v0, vcc
	v_cmp_ne_u64_e32 vcc, 0, v[0:1]
	v_cmp_ne_u32_e64 s[28:29], 0, v2
	s_or_b64 s[28:29], s[28:29], vcc
                                        ; implicit-def: $vgpr6
	s_and_saveexec_b64 s[62:63], s[28:29]
	s_xor_b64 s[28:29], exec, s[62:63]
; %bb.20439:                            ;   in Loop: Header=BB6_18303 Depth=3
	v_min_i32_e32 v1, 31, v2
	v_lshl_or_b32 v1, v1, 2, v7
	v_and_or_b32 v6, v0, 3, v1
                                        ; implicit-def: $vgpr7
; %bb.20440:                            ;   in Loop: Header=BB6_18303 Depth=3
	s_andn2_saveexec_b64 s[28:29], s[28:29]
; %bb.20441:                            ;   in Loop: Header=BB6_18303 Depth=3
	v_mov_b32_e32 v6, v7
; %bb.20442:                            ;   in Loop: Header=BB6_18303 Depth=3
	s_or_b64 exec, exec, s[28:29]
.LBB6_20443:                            ;   in Loop: Header=BB6_18303 Depth=3
	s_or_b64 exec, exec, s[38:39]
                                        ; implicit-def: $vgpr7
.LBB6_20444:                            ;   in Loop: Header=BB6_18303 Depth=3
	s_andn2_saveexec_b64 s[28:29], s[36:37]
; %bb.20445:                            ;   in Loop: Header=BB6_18303 Depth=3
	v_or_b32_e32 v6, 0x7b, v7
; %bb.20446:                            ;   in Loop: Header=BB6_18303 Depth=3
	s_or_b64 exec, exec, s[28:29]
                                        ; implicit-def: $vgpr2
                                        ; implicit-def: $vgpr0_vgpr1
.LBB6_20447:                            ;   in Loop: Header=BB6_18303 Depth=3
	s_andn2_saveexec_b64 s[28:29], s[34:35]
	s_cbranch_execz .LBB6_20453
; %bb.20448:                            ;   in Loop: Header=BB6_18303 Depth=3
	v_cmp_ne_u64_e32 vcc, 0, v[0:1]
                                        ; implicit-def: $vgpr6
	s_and_saveexec_b64 s[62:63], vcc
	s_xor_b64 vcc, exec, s[62:63]
; %bb.20449:                            ;   in Loop: Header=BB6_18303 Depth=3
	v_or_b32_sdwa v6, v2, s44 dst_sel:DWORD dst_unused:UNUSED_PAD src0_sel:BYTE_3 src1_sel:DWORD
                                        ; implicit-def: $vgpr2
; %bb.20450:                            ;   in Loop: Header=BB6_18303 Depth=3
	s_andn2_saveexec_b64 s[34:35], vcc
; %bb.20451:                            ;   in Loop: Header=BB6_18303 Depth=3
	v_cmp_lt_i32_e32 vcc, -1, v2
	v_mov_b32_e32 v0, 0x7c
	v_cndmask_b32_e32 v6, -4, v0, vcc
; %bb.20452:                            ;   in Loop: Header=BB6_18303 Depth=3
	s_or_b64 exec, exec, s[34:35]
.LBB6_20453:                            ;   in Loop: Header=BB6_18303 Depth=3
	s_or_b64 exec, exec, s[28:29]
	buffer_load_dword v0, off, s[0:3], s33 offset:108 ; 4-byte Folded Reload
	buffer_load_dword v1, off, s[0:3], s33 offset:112 ; 4-byte Folded Reload
	s_waitcnt vmcnt(0)
	v_mov_b32_e32 v1, 0
	v_and_b32_e32 v7, 0xff, v0
	v_cmp_ne_u16_e32 vcc, 0, v7
	v_mov_b32_e32 v0, 0
	s_and_saveexec_b64 s[28:29], vcc
	s_cbranch_execz .LBB6_20461
; %bb.20454:                            ;   in Loop: Header=BB6_18303 Depth=3
	v_cmp_ne_u16_e32 vcc, s97, v7
	v_bfrev_b32_e32 v1, 1
	s_and_saveexec_b64 s[34:35], vcc
	s_cbranch_execz .LBB6_20460
; %bb.20455:                            ;   in Loop: Header=BB6_18303 Depth=3
	buffer_load_dword v1, off, s[0:3], s33 offset:108 ; 4-byte Folded Reload
	buffer_load_dword v2, off, s[0:3], s33 offset:112 ; 4-byte Folded Reload
	s_waitcnt vmcnt(0)
	v_and_b32_e32 v2, 3, v1
	v_and_b32_e32 v1, 0x7c, v1
	v_cmp_ne_u32_e32 vcc, s86, v1
                                        ; implicit-def: $vgpr1
	s_and_saveexec_b64 s[62:63], vcc
	s_xor_b64 s[36:37], exec, s[62:63]
	s_cbranch_execz .LBB6_20457
; %bb.20456:                            ;   in Loop: Header=BB6_18303 Depth=3
	buffer_load_dword v54, off, s[0:3], s33 offset:108 ; 4-byte Folded Reload
	buffer_load_dword v55, off, s[0:3], s33 offset:112 ; 4-byte Folded Reload
	v_bfe_u32 v1, v7, 2, 5
	v_ffbh_u32_e32 v7, v2
	v_min_u32_e32 v7, 32, v7
	s_waitcnt vmcnt(0)
	v_mov_b32_e32 v55, v33
	v_subrev_u32_e32 v26, 29, v7
	v_sub_u32_e32 v7, 30, v7
	v_cmp_eq_u32_e32 vcc, 0, v1
	v_cndmask_b32_e32 v1, v1, v7, vcc
	v_lshlrev_b32_e32 v7, 24, v54
	v_lshlrev_b64 v[52:53], v26, v[54:55]
	v_and_b32_e32 v7, 0x80000000, v7
	v_and_b32_e32 v26, 3, v52
	v_cndmask_b32_e32 v2, v2, v26, vcc
	v_lshl_add_u32 v1, v1, 23, v7
	v_lshl_or_b32 v1, v2, 21, v1
	v_add_u32_e32 v1, 0x38000000, v1
                                        ; implicit-def: $vgpr7
                                        ; implicit-def: $vgpr2
	buffer_store_dword v7, off, s[0:3], s33 offset:108 ; 4-byte Folded Spill
	s_nop 0
	buffer_store_dword v8, off, s[0:3], s33 offset:112 ; 4-byte Folded Spill
.LBB6_20457:                            ;   in Loop: Header=BB6_18303 Depth=3
	s_andn2_saveexec_b64 s[36:37], s[36:37]
	s_cbranch_execz .LBB6_20459
; %bb.20458:                            ;   in Loop: Header=BB6_18303 Depth=3
	buffer_load_dword v52, off, s[0:3], s33 offset:108 ; 4-byte Folded Reload
	buffer_load_dword v53, off, s[0:3], s33 offset:112 ; 4-byte Folded Reload
	v_mov_b32_e32 v1, -1
	v_mov_b32_e32 v7, 0x7f800000
	s_waitcnt vmcnt(1)
	v_cmp_gt_i16_sdwa vcc, sext(v52), v1 src0_sel:BYTE_0 src1_sel:DWORD
	v_mov_b32_e32 v1, 0xff800000
	v_cndmask_b32_e32 v1, v1, v7, vcc
	v_cmp_eq_u32_e32 vcc, 0, v2
	v_mov_b32_e32 v2, 0x7f800001
	v_cndmask_b32_e32 v1, v2, v1, vcc
.LBB6_20459:                            ;   in Loop: Header=BB6_18303 Depth=3
	s_or_b64 exec, exec, s[36:37]
.LBB6_20460:                            ;   in Loop: Header=BB6_18303 Depth=3
	s_or_b64 exec, exec, s[34:35]
.LBB6_20461:                            ;   in Loop: Header=BB6_18303 Depth=3
	s_or_b64 exec, exec, s[28:29]
	v_cmp_ne_u16_e32 vcc, 0, v25
	s_and_saveexec_b64 s[28:29], vcc
	s_cbranch_execz .LBB6_20469
; %bb.20462:                            ;   in Loop: Header=BB6_18303 Depth=3
	v_cmp_ne_u16_e32 vcc, s46, v25
	v_bfrev_b32_e32 v0, 1
	s_and_saveexec_b64 s[34:35], vcc
	s_cbranch_execz .LBB6_20468
; %bb.20463:                            ;   in Loop: Header=BB6_18303 Depth=3
	v_and_b32_e32 v0, 0x7c, v25
	v_and_b32_e32 v2, 3, v25
	v_cmp_ne_u32_e32 vcc, s86, v0
                                        ; implicit-def: $vgpr0
	s_and_saveexec_b64 s[62:63], vcc
	s_xor_b64 s[36:37], exec, s[62:63]
	s_cbranch_execz .LBB6_20465
; %bb.20464:                            ;   in Loop: Header=BB6_18303 Depth=3
	v_ffbh_u32_e32 v7, v2
	v_min_u32_e32 v7, 32, v7
	v_and_b32_e32 v0, 0xff, v25
	v_mov_b32_e32 v26, v33
	v_subrev_u32_e32 v52, 29, v7
	v_bfe_u32 v0, v0, 2, 5
	s_waitcnt vmcnt(0)
	v_lshlrev_b64 v[52:53], v52, v[25:26]
	v_sub_u32_e32 v7, 30, v7
	v_cmp_eq_u32_e32 vcc, 0, v0
	v_and_b32_e32 v26, 3, v52
	v_cndmask_b32_e32 v0, v0, v7, vcc
	v_and_b32_sdwa v7, sext(v25), s87 dst_sel:DWORD dst_unused:UNUSED_PAD src0_sel:WORD_0 src1_sel:DWORD
	v_cndmask_b32_e32 v2, v2, v26, vcc
	v_lshl_add_u32 v0, v0, 23, v7
	v_lshl_or_b32 v0, v2, 21, v0
	v_add_u32_e32 v0, 0x38000000, v0
                                        ; implicit-def: $vgpr2
                                        ; implicit-def: $vgpr25
.LBB6_20465:                            ;   in Loop: Header=BB6_18303 Depth=3
	s_andn2_saveexec_b64 s[36:37], s[36:37]
; %bb.20466:                            ;   in Loop: Header=BB6_18303 Depth=3
	v_cmp_lt_i16_e32 vcc, -1, v25
	v_mov_b32_e32 v0, 0xff800000
	v_mov_b32_e32 v7, 0x7f800000
	v_cndmask_b32_e32 v0, v0, v7, vcc
	v_cmp_eq_u32_e32 vcc, 0, v2
	v_mov_b32_e32 v2, 0x7f800001
	v_cndmask_b32_e32 v0, v2, v0, vcc
; %bb.20467:                            ;   in Loop: Header=BB6_18303 Depth=3
	s_or_b64 exec, exec, s[36:37]
.LBB6_20468:                            ;   in Loop: Header=BB6_18303 Depth=3
	s_or_b64 exec, exec, s[34:35]
.LBB6_20469:                            ;   in Loop: Header=BB6_18303 Depth=3
	s_or_b64 exec, exec, s[28:29]
	v_add_f32_e32 v2, v1, v0
	v_and_b32_e32 v25, 0x7f800000, v2
	v_mov_b32_e32 v26, v33
	v_cmp_ne_u64_e32 vcc, s[76:77], v[25:26]
	v_and_b32_e32 v0, 0x7fffff, v2
	v_mov_b32_e32 v1, v33
                                        ; implicit-def: $vgpr7
	s_and_saveexec_b64 s[28:29], vcc
	s_xor_b64 s[34:35], exec, s[28:29]
	s_cbranch_execz .LBB6_20487
; %bb.20470:                            ;   in Loop: Header=BB6_18303 Depth=3
	v_and_b32_e32 v25, 0x7fffffff, v2
	v_mov_b32_e32 v26, v33
	v_cmp_gt_u64_e32 vcc, s[78:79], v[25:26]
	v_and_b32_sdwa v25, v2, s97 dst_sel:DWORD dst_unused:UNUSED_PAD src0_sel:BYTE_3 src1_sel:DWORD
                                        ; implicit-def: $vgpr7
	s_and_saveexec_b64 s[28:29], vcc
	s_xor_b64 s[36:37], exec, s[28:29]
	s_cbranch_execz .LBB6_20484
; %bb.20471:                            ;   in Loop: Header=BB6_18303 Depth=3
	v_cmp_ne_u32_e32 vcc, 0, v2
	v_mov_b32_e32 v7, 0
	s_and_saveexec_b64 s[38:39], vcc
	s_cbranch_execz .LBB6_20483
; %bb.20472:                            ;   in Loop: Header=BB6_18303 Depth=3
	v_bfe_u32 v7, v2, 23, 8
	v_cmp_gt_u32_e64 s[28:29], s47, v7
	v_sub_u32_e32 v2, 0x71, v7
	v_cmp_eq_u32_e32 vcc, 0, v7
	v_cndmask_b32_e64 v2, 0, v2, s[28:29]
	v_mov_b32_e32 v26, 0x70
	v_cndmask_b32_e32 v26, v2, v26, vcc
	v_or_b32_e32 v52, 0x800000, v0
	v_add_u32_e32 v2, 21, v26
	v_cndmask_b32_e32 v0, v52, v0, vcc
	s_waitcnt vmcnt(0)
	v_lshlrev_b64 v[52:53], v2, -1
	v_add_u32_e32 v2, 20, v26
	v_bfi_b32 v52, v52, 0, v0
	v_lshlrev_b64 v[54:55], v2, 1
	v_lshrrev_b64 v[0:1], v26, v[0:1]
	v_bfi_b32 v53, v53, 0, 0
	v_cmp_eq_u64_e64 s[28:29], v[52:53], v[54:55]
	v_mov_b32_e32 v2, v1
	v_mov_b32_e32 v1, v0
	s_and_saveexec_b64 s[48:49], s[28:29]
; %bb.20473:                            ;   in Loop: Header=BB6_18303 Depth=3
	v_bfe_u32 v1, v0, 21, 1
	v_add_co_u32_e64 v1, s[28:29], v0, v1
	v_add_co_u32_e64 v1, s[28:29], -1, v1
; %bb.20474:                            ;   in Loop: Header=BB6_18303 Depth=3
	s_or_b64 exec, exec, s[48:49]
	v_add_u32_e32 v2, 0xffffff81, v7
	v_mov_b32_e32 v7, 0xffffff82
	v_cndmask_b32_e32 v2, v2, v7, vcc
	v_lshrrev_b32_e32 v7, 23, v0
	v_add3_u32 v26, v26, v2, v7
	v_add_u32_e32 v7, 14, v26
	v_and_b32_e32 v1, 0x1fffff, v1
	v_add_u32_e32 v0, v1, v0
	v_mov_b32_e32 v1, v33
	v_cmp_ne_u32_e32 vcc, 0, v7
                                        ; implicit-def: $vgpr2
	s_and_saveexec_b64 s[28:29], vcc
	s_xor_b64 s[28:29], exec, s[28:29]
; %bb.20475:                            ;   in Loop: Header=BB6_18303 Depth=3
	v_cmp_lt_u64_e32 vcc, s[88:89], v[0:1]
	v_add_u32_e32 v2, 15, v26
	v_cndmask_b32_e32 v2, v7, v2, vcc
	v_cndmask_b32_e64 v7, 0, 1, vcc
	v_lshrrev_b64 v[0:1], v7, v[0:1]
; %bb.20476:                            ;   in Loop: Header=BB6_18303 Depth=3
	s_andn2_saveexec_b64 s[28:29], s[28:29]
; %bb.20477:                            ;   in Loop: Header=BB6_18303 Depth=3
	v_bfe_u32 v2, v0, 23, 1
; %bb.20478:                            ;   in Loop: Header=BB6_18303 Depth=3
	s_or_b64 exec, exec, s[28:29]
	v_lshrrev_b64 v[0:1], 21, v[0:1]
	v_cmp_gt_i32_e32 vcc, 32, v2
	v_cndmask_b32_e32 v1, 0, v1, vcc
	v_cndmask_b32_e32 v0, 3, v0, vcc
	v_cmp_ne_u64_e32 vcc, 0, v[0:1]
	v_cmp_ne_u32_e64 s[28:29], 0, v2
	s_or_b64 s[28:29], s[28:29], vcc
                                        ; implicit-def: $vgpr7
	s_and_saveexec_b64 s[62:63], s[28:29]
	s_xor_b64 s[28:29], exec, s[62:63]
; %bb.20479:                            ;   in Loop: Header=BB6_18303 Depth=3
	v_min_i32_e32 v1, 31, v2
	v_lshl_or_b32 v1, v1, 2, v25
	v_and_or_b32 v7, v0, 3, v1
                                        ; implicit-def: $vgpr25
; %bb.20480:                            ;   in Loop: Header=BB6_18303 Depth=3
	s_andn2_saveexec_b64 s[28:29], s[28:29]
; %bb.20481:                            ;   in Loop: Header=BB6_18303 Depth=3
	v_mov_b32_e32 v7, v25
; %bb.20482:                            ;   in Loop: Header=BB6_18303 Depth=3
	s_or_b64 exec, exec, s[28:29]
.LBB6_20483:                            ;   in Loop: Header=BB6_18303 Depth=3
	s_or_b64 exec, exec, s[38:39]
                                        ; implicit-def: $vgpr25
.LBB6_20484:                            ;   in Loop: Header=BB6_18303 Depth=3
	s_andn2_saveexec_b64 s[28:29], s[36:37]
; %bb.20485:                            ;   in Loop: Header=BB6_18303 Depth=3
	v_or_b32_e32 v7, 0x7b, v25
; %bb.20486:                            ;   in Loop: Header=BB6_18303 Depth=3
	s_or_b64 exec, exec, s[28:29]
                                        ; implicit-def: $vgpr2
                                        ; implicit-def: $vgpr0_vgpr1
.LBB6_20487:                            ;   in Loop: Header=BB6_18303 Depth=3
	s_andn2_saveexec_b64 s[28:29], s[34:35]
	s_cbranch_execz .LBB6_20493
; %bb.20488:                            ;   in Loop: Header=BB6_18303 Depth=3
	v_cmp_ne_u64_e32 vcc, 0, v[0:1]
                                        ; implicit-def: $vgpr7
	s_and_saveexec_b64 s[62:63], vcc
	s_xor_b64 vcc, exec, s[62:63]
; %bb.20489:                            ;   in Loop: Header=BB6_18303 Depth=3
	v_or_b32_sdwa v7, v2, s44 dst_sel:DWORD dst_unused:UNUSED_PAD src0_sel:BYTE_3 src1_sel:DWORD
                                        ; implicit-def: $vgpr2
; %bb.20490:                            ;   in Loop: Header=BB6_18303 Depth=3
	s_andn2_saveexec_b64 s[34:35], vcc
; %bb.20491:                            ;   in Loop: Header=BB6_18303 Depth=3
	v_cmp_lt_i32_e32 vcc, -1, v2
	v_mov_b32_e32 v0, 0x7c
	v_cndmask_b32_e32 v7, -4, v0, vcc
; %bb.20492:                            ;   in Loop: Header=BB6_18303 Depth=3
	s_or_b64 exec, exec, s[34:35]
.LBB6_20493:                            ;   in Loop: Header=BB6_18303 Depth=3
	s_or_b64 exec, exec, s[28:29]
	buffer_load_dword v0, off, s[0:3], s33 offset:100 ; 4-byte Folded Reload
	buffer_load_dword v1, off, s[0:3], s33 offset:104 ; 4-byte Folded Reload
	s_waitcnt vmcnt(0)
	v_mov_b32_e32 v1, 0
	v_and_b32_e32 v25, 0xff, v0
	v_cmp_ne_u16_e32 vcc, 0, v25
	v_mov_b32_e32 v0, 0
	s_and_saveexec_b64 s[28:29], vcc
	s_cbranch_execz .LBB6_20501
; %bb.20494:                            ;   in Loop: Header=BB6_18303 Depth=3
	v_cmp_ne_u16_e32 vcc, s97, v25
	v_bfrev_b32_e32 v1, 1
	s_and_saveexec_b64 s[34:35], vcc
	s_cbranch_execz .LBB6_20500
; %bb.20495:                            ;   in Loop: Header=BB6_18303 Depth=3
	buffer_load_dword v1, off, s[0:3], s33 offset:100 ; 4-byte Folded Reload
	buffer_load_dword v2, off, s[0:3], s33 offset:104 ; 4-byte Folded Reload
	s_waitcnt vmcnt(0)
	v_and_b32_e32 v2, 3, v1
	v_and_b32_e32 v1, 0x7c, v1
	v_cmp_ne_u32_e32 vcc, s86, v1
                                        ; implicit-def: $vgpr1
	s_and_saveexec_b64 s[62:63], vcc
	s_xor_b64 s[36:37], exec, s[62:63]
	s_cbranch_execz .LBB6_20497
; %bb.20496:                            ;   in Loop: Header=BB6_18303 Depth=3
	buffer_load_dword v53, off, s[0:3], s33 offset:100 ; 4-byte Folded Reload
	buffer_load_dword v54, off, s[0:3], s33 offset:104 ; 4-byte Folded Reload
	v_bfe_u32 v1, v25, 2, 5
	v_ffbh_u32_e32 v25, v2
	v_min_u32_e32 v52, 32, v25
	s_waitcnt vmcnt(0)
	v_mov_b32_e32 v54, v33
	v_subrev_u32_e32 v25, 29, v52
	v_cmp_eq_u32_e32 vcc, 0, v1
	v_lshlrev_b64 v[25:26], v25, v[53:54]
	v_sub_u32_e32 v26, 30, v52
	v_and_b32_e32 v25, 3, v25
	v_cndmask_b32_e32 v2, v2, v25, vcc
	v_lshlrev_b32_e32 v25, 24, v53
	v_cndmask_b32_e32 v1, v1, v26, vcc
	v_and_b32_e32 v25, 0x80000000, v25
	v_lshl_add_u32 v1, v1, 23, v25
	v_lshl_or_b32 v1, v2, 21, v1
	v_add_u32_e32 v1, 0x38000000, v1
                                        ; implicit-def: $vgpr25
                                        ; implicit-def: $vgpr2
	buffer_store_dword v25, off, s[0:3], s33 offset:100 ; 4-byte Folded Spill
	s_nop 0
	buffer_store_dword v26, off, s[0:3], s33 offset:104 ; 4-byte Folded Spill
.LBB6_20497:                            ;   in Loop: Header=BB6_18303 Depth=3
	s_andn2_saveexec_b64 s[36:37], s[36:37]
	s_cbranch_execz .LBB6_20499
; %bb.20498:                            ;   in Loop: Header=BB6_18303 Depth=3
	buffer_load_dword v25, off, s[0:3], s33 offset:100 ; 4-byte Folded Reload
	buffer_load_dword v26, off, s[0:3], s33 offset:104 ; 4-byte Folded Reload
	v_mov_b32_e32 v1, -1
	s_waitcnt vmcnt(1)
	v_cmp_gt_i16_sdwa vcc, sext(v25), v1 src0_sel:BYTE_0 src1_sel:DWORD
	v_mov_b32_e32 v1, 0xff800000
	v_mov_b32_e32 v25, 0x7f800000
	v_cndmask_b32_e32 v1, v1, v25, vcc
	v_cmp_eq_u32_e32 vcc, 0, v2
	v_mov_b32_e32 v2, 0x7f800001
	v_cndmask_b32_e32 v1, v2, v1, vcc
.LBB6_20499:                            ;   in Loop: Header=BB6_18303 Depth=3
	s_or_b64 exec, exec, s[36:37]
.LBB6_20500:                            ;   in Loop: Header=BB6_18303 Depth=3
	s_or_b64 exec, exec, s[34:35]
.LBB6_20501:                            ;   in Loop: Header=BB6_18303 Depth=3
	s_or_b64 exec, exec, s[28:29]
	v_cmp_ne_u16_e32 vcc, 0, v24
	s_and_saveexec_b64 s[28:29], vcc
	s_cbranch_execz .LBB6_20509
; %bb.20502:                            ;   in Loop: Header=BB6_18303 Depth=3
	v_cmp_ne_u16_e32 vcc, s46, v24
	v_bfrev_b32_e32 v0, 1
	s_and_saveexec_b64 s[34:35], vcc
	s_cbranch_execz .LBB6_20508
; %bb.20503:                            ;   in Loop: Header=BB6_18303 Depth=3
	v_and_b32_e32 v0, 0x7c, v24
	v_and_b32_e32 v2, 3, v24
	v_cmp_ne_u32_e32 vcc, s86, v0
                                        ; implicit-def: $vgpr0
	s_and_saveexec_b64 s[62:63], vcc
	s_xor_b64 s[36:37], exec, s[62:63]
	s_cbranch_execz .LBB6_20505
; %bb.20504:                            ;   in Loop: Header=BB6_18303 Depth=3
	s_waitcnt vmcnt(0)
	v_ffbh_u32_e32 v26, v2
	v_min_u32_e32 v52, 32, v26
	v_and_b32_e32 v0, 0xff, v24
	v_mov_b32_e32 v25, v33
	v_subrev_u32_e32 v26, 29, v52
	v_bfe_u32 v0, v0, 2, 5
	v_lshlrev_b64 v[25:26], v26, v[24:25]
	v_sub_u32_e32 v26, 30, v52
	v_cmp_eq_u32_e32 vcc, 0, v0
	v_and_b32_e32 v25, 3, v25
	v_cndmask_b32_e32 v0, v0, v26, vcc
	v_and_b32_sdwa v24, sext(v24), s87 dst_sel:DWORD dst_unused:UNUSED_PAD src0_sel:WORD_0 src1_sel:DWORD
	v_cndmask_b32_e32 v2, v2, v25, vcc
	v_lshl_add_u32 v0, v0, 23, v24
	v_lshl_or_b32 v0, v2, 21, v0
	v_add_u32_e32 v0, 0x38000000, v0
                                        ; implicit-def: $vgpr2
                                        ; implicit-def: $vgpr24
.LBB6_20505:                            ;   in Loop: Header=BB6_18303 Depth=3
	s_andn2_saveexec_b64 s[36:37], s[36:37]
; %bb.20506:                            ;   in Loop: Header=BB6_18303 Depth=3
	v_cmp_lt_i16_e32 vcc, -1, v24
	v_mov_b32_e32 v0, 0xff800000
	v_mov_b32_e32 v24, 0x7f800000
	v_cndmask_b32_e32 v0, v0, v24, vcc
	v_cmp_eq_u32_e32 vcc, 0, v2
	v_mov_b32_e32 v2, 0x7f800001
	v_cndmask_b32_e32 v0, v2, v0, vcc
; %bb.20507:                            ;   in Loop: Header=BB6_18303 Depth=3
	s_or_b64 exec, exec, s[36:37]
.LBB6_20508:                            ;   in Loop: Header=BB6_18303 Depth=3
	s_or_b64 exec, exec, s[34:35]
.LBB6_20509:                            ;   in Loop: Header=BB6_18303 Depth=3
	s_or_b64 exec, exec, s[28:29]
	v_add_f32_e32 v2, v1, v0
	v_and_b32_e32 v24, 0x7f800000, v2
	v_mov_b32_e32 v25, v33
	v_cmp_ne_u64_e32 vcc, s[76:77], v[24:25]
	v_and_b32_e32 v0, 0x7fffff, v2
	v_mov_b32_e32 v1, v33
                                        ; implicit-def: $vgpr24
	s_and_saveexec_b64 s[28:29], vcc
	s_xor_b64 s[34:35], exec, s[28:29]
	s_cbranch_execz .LBB6_20527
; %bb.20510:                            ;   in Loop: Header=BB6_18303 Depth=3
	v_and_b32_e32 v24, 0x7fffffff, v2
	v_mov_b32_e32 v25, v33
	v_cmp_gt_u64_e32 vcc, s[78:79], v[24:25]
	v_and_b32_sdwa v25, v2, s97 dst_sel:DWORD dst_unused:UNUSED_PAD src0_sel:BYTE_3 src1_sel:DWORD
                                        ; implicit-def: $vgpr24
	s_and_saveexec_b64 s[28:29], vcc
	s_xor_b64 s[36:37], exec, s[28:29]
	s_cbranch_execz .LBB6_20524
; %bb.20511:                            ;   in Loop: Header=BB6_18303 Depth=3
	v_cmp_ne_u32_e32 vcc, 0, v2
	v_mov_b32_e32 v24, 0
	s_and_saveexec_b64 s[38:39], vcc
	s_cbranch_execz .LBB6_20523
; %bb.20512:                            ;   in Loop: Header=BB6_18303 Depth=3
	v_bfe_u32 v24, v2, 23, 8
	v_cmp_gt_u32_e64 s[28:29], s47, v24
	v_sub_u32_e32 v2, 0x71, v24
	v_cmp_eq_u32_e32 vcc, 0, v24
	v_cndmask_b32_e64 v2, 0, v2, s[28:29]
	s_waitcnt vmcnt(0)
	v_mov_b32_e32 v26, 0x70
	v_cndmask_b32_e32 v26, v2, v26, vcc
	v_or_b32_e32 v52, 0x800000, v0
	v_add_u32_e32 v2, 21, v26
	v_cndmask_b32_e32 v0, v52, v0, vcc
	v_lshlrev_b64 v[52:53], v2, -1
	v_add_u32_e32 v2, 20, v26
	v_bfi_b32 v52, v52, 0, v0
	v_lshlrev_b64 v[54:55], v2, 1
	v_lshrrev_b64 v[0:1], v26, v[0:1]
	v_bfi_b32 v53, v53, 0, 0
	v_cmp_eq_u64_e64 s[28:29], v[52:53], v[54:55]
	v_mov_b32_e32 v2, v1
	v_mov_b32_e32 v1, v0
	s_and_saveexec_b64 s[48:49], s[28:29]
; %bb.20513:                            ;   in Loop: Header=BB6_18303 Depth=3
	v_bfe_u32 v1, v0, 21, 1
	v_add_co_u32_e64 v1, s[28:29], v0, v1
	v_add_co_u32_e64 v1, s[28:29], -1, v1
; %bb.20514:                            ;   in Loop: Header=BB6_18303 Depth=3
	s_or_b64 exec, exec, s[48:49]
	v_add_u32_e32 v2, 0xffffff81, v24
	v_mov_b32_e32 v24, 0xffffff82
	v_cndmask_b32_e32 v2, v2, v24, vcc
	v_lshrrev_b32_e32 v24, 23, v0
	v_add3_u32 v26, v26, v2, v24
	v_add_u32_e32 v24, 14, v26
	v_and_b32_e32 v1, 0x1fffff, v1
	v_add_u32_e32 v0, v1, v0
	v_mov_b32_e32 v1, v33
	v_cmp_ne_u32_e32 vcc, 0, v24
                                        ; implicit-def: $vgpr2
	s_and_saveexec_b64 s[28:29], vcc
	s_xor_b64 s[28:29], exec, s[28:29]
; %bb.20515:                            ;   in Loop: Header=BB6_18303 Depth=3
	v_cmp_lt_u64_e32 vcc, s[88:89], v[0:1]
	v_add_u32_e32 v2, 15, v26
	v_cndmask_b32_e32 v2, v24, v2, vcc
	v_cndmask_b32_e64 v24, 0, 1, vcc
	v_lshrrev_b64 v[0:1], v24, v[0:1]
; %bb.20516:                            ;   in Loop: Header=BB6_18303 Depth=3
	s_andn2_saveexec_b64 s[28:29], s[28:29]
; %bb.20517:                            ;   in Loop: Header=BB6_18303 Depth=3
	v_bfe_u32 v2, v0, 23, 1
; %bb.20518:                            ;   in Loop: Header=BB6_18303 Depth=3
	s_or_b64 exec, exec, s[28:29]
	v_lshrrev_b64 v[0:1], 21, v[0:1]
	v_cmp_gt_i32_e32 vcc, 32, v2
	v_cndmask_b32_e32 v1, 0, v1, vcc
	v_cndmask_b32_e32 v0, 3, v0, vcc
	v_cmp_ne_u64_e32 vcc, 0, v[0:1]
	v_cmp_ne_u32_e64 s[28:29], 0, v2
	s_or_b64 s[28:29], s[28:29], vcc
                                        ; implicit-def: $vgpr24
	s_and_saveexec_b64 s[62:63], s[28:29]
	s_xor_b64 s[28:29], exec, s[62:63]
; %bb.20519:                            ;   in Loop: Header=BB6_18303 Depth=3
	v_min_i32_e32 v1, 31, v2
	v_lshl_or_b32 v1, v1, 2, v25
	v_and_or_b32 v24, v0, 3, v1
                                        ; implicit-def: $vgpr25
; %bb.20520:                            ;   in Loop: Header=BB6_18303 Depth=3
	s_andn2_saveexec_b64 s[28:29], s[28:29]
; %bb.20521:                            ;   in Loop: Header=BB6_18303 Depth=3
	v_mov_b32_e32 v24, v25
; %bb.20522:                            ;   in Loop: Header=BB6_18303 Depth=3
	s_or_b64 exec, exec, s[28:29]
.LBB6_20523:                            ;   in Loop: Header=BB6_18303 Depth=3
	s_or_b64 exec, exec, s[38:39]
                                        ; implicit-def: $vgpr25
.LBB6_20524:                            ;   in Loop: Header=BB6_18303 Depth=3
	s_andn2_saveexec_b64 s[28:29], s[36:37]
; %bb.20525:                            ;   in Loop: Header=BB6_18303 Depth=3
	v_or_b32_e32 v24, 0x7b, v25
; %bb.20526:                            ;   in Loop: Header=BB6_18303 Depth=3
	s_or_b64 exec, exec, s[28:29]
                                        ; implicit-def: $vgpr2
                                        ; implicit-def: $vgpr0_vgpr1
.LBB6_20527:                            ;   in Loop: Header=BB6_18303 Depth=3
	s_andn2_saveexec_b64 s[28:29], s[34:35]
	s_cbranch_execz .LBB6_20533
; %bb.20528:                            ;   in Loop: Header=BB6_18303 Depth=3
	v_cmp_ne_u64_e32 vcc, 0, v[0:1]
                                        ; implicit-def: $vgpr24
	s_and_saveexec_b64 s[62:63], vcc
	s_xor_b64 vcc, exec, s[62:63]
; %bb.20529:                            ;   in Loop: Header=BB6_18303 Depth=3
	v_or_b32_sdwa v24, v2, s44 dst_sel:DWORD dst_unused:UNUSED_PAD src0_sel:BYTE_3 src1_sel:DWORD
                                        ; implicit-def: $vgpr2
; %bb.20530:                            ;   in Loop: Header=BB6_18303 Depth=3
	s_andn2_saveexec_b64 s[34:35], vcc
; %bb.20531:                            ;   in Loop: Header=BB6_18303 Depth=3
	v_cmp_lt_i32_e32 vcc, -1, v2
	v_mov_b32_e32 v0, 0x7c
	v_cndmask_b32_e32 v24, -4, v0, vcc
; %bb.20532:                            ;   in Loop: Header=BB6_18303 Depth=3
	s_or_b64 exec, exec, s[34:35]
.LBB6_20533:                            ;   in Loop: Header=BB6_18303 Depth=3
	s_or_b64 exec, exec, s[28:29]
	buffer_load_dword v0, off, s[0:3], s33 offset:92 ; 4-byte Folded Reload
	buffer_load_dword v1, off, s[0:3], s33 offset:96 ; 4-byte Folded Reload
	s_waitcnt vmcnt(0)
	v_mov_b32_e32 v1, 0
	v_and_b32_e32 v25, 0xff, v0
	v_cmp_ne_u16_e32 vcc, 0, v25
	v_mov_b32_e32 v0, 0
	s_and_saveexec_b64 s[28:29], vcc
	s_cbranch_execz .LBB6_20541
; %bb.20534:                            ;   in Loop: Header=BB6_18303 Depth=3
	v_cmp_ne_u16_e32 vcc, s97, v25
	v_bfrev_b32_e32 v1, 1
	s_and_saveexec_b64 s[34:35], vcc
	s_cbranch_execz .LBB6_20540
; %bb.20535:                            ;   in Loop: Header=BB6_18303 Depth=3
	buffer_load_dword v1, off, s[0:3], s33 offset:92 ; 4-byte Folded Reload
	buffer_load_dword v2, off, s[0:3], s33 offset:96 ; 4-byte Folded Reload
	s_waitcnt vmcnt(0)
	v_and_b32_e32 v2, 3, v1
	v_and_b32_e32 v1, 0x7c, v1
	v_cmp_ne_u32_e32 vcc, s86, v1
                                        ; implicit-def: $vgpr1
	s_and_saveexec_b64 s[62:63], vcc
	s_xor_b64 s[36:37], exec, s[62:63]
	s_cbranch_execz .LBB6_20537
; %bb.20536:                            ;   in Loop: Header=BB6_18303 Depth=3
	buffer_load_dword v53, off, s[0:3], s33 offset:92 ; 4-byte Folded Reload
	buffer_load_dword v54, off, s[0:3], s33 offset:96 ; 4-byte Folded Reload
	v_bfe_u32 v1, v25, 2, 5
	v_ffbh_u32_e32 v25, v2
	v_min_u32_e32 v52, 32, v25
	s_waitcnt vmcnt(0)
	v_mov_b32_e32 v54, v33
	v_subrev_u32_e32 v25, 29, v52
	v_cmp_eq_u32_e32 vcc, 0, v1
	v_lshlrev_b64 v[25:26], v25, v[53:54]
	v_sub_u32_e32 v26, 30, v52
	v_and_b32_e32 v25, 3, v25
	v_cndmask_b32_e32 v2, v2, v25, vcc
	v_lshlrev_b32_e32 v25, 24, v53
	v_cndmask_b32_e32 v1, v1, v26, vcc
	v_and_b32_e32 v25, 0x80000000, v25
	v_lshl_add_u32 v1, v1, 23, v25
	v_lshl_or_b32 v1, v2, 21, v1
	v_add_u32_e32 v1, 0x38000000, v1
                                        ; implicit-def: $vgpr25
                                        ; implicit-def: $vgpr2
	buffer_store_dword v25, off, s[0:3], s33 offset:92 ; 4-byte Folded Spill
	s_nop 0
	buffer_store_dword v26, off, s[0:3], s33 offset:96 ; 4-byte Folded Spill
.LBB6_20537:                            ;   in Loop: Header=BB6_18303 Depth=3
	s_andn2_saveexec_b64 s[36:37], s[36:37]
	s_cbranch_execz .LBB6_20539
; %bb.20538:                            ;   in Loop: Header=BB6_18303 Depth=3
	buffer_load_dword v25, off, s[0:3], s33 offset:92 ; 4-byte Folded Reload
	buffer_load_dword v26, off, s[0:3], s33 offset:96 ; 4-byte Folded Reload
	v_mov_b32_e32 v1, -1
	s_waitcnt vmcnt(1)
	v_cmp_gt_i16_sdwa vcc, sext(v25), v1 src0_sel:BYTE_0 src1_sel:DWORD
	v_mov_b32_e32 v1, 0xff800000
	v_mov_b32_e32 v25, 0x7f800000
	v_cndmask_b32_e32 v1, v1, v25, vcc
	v_cmp_eq_u32_e32 vcc, 0, v2
	v_mov_b32_e32 v2, 0x7f800001
	v_cndmask_b32_e32 v1, v2, v1, vcc
.LBB6_20539:                            ;   in Loop: Header=BB6_18303 Depth=3
	s_or_b64 exec, exec, s[36:37]
.LBB6_20540:                            ;   in Loop: Header=BB6_18303 Depth=3
	s_or_b64 exec, exec, s[34:35]
.LBB6_20541:                            ;   in Loop: Header=BB6_18303 Depth=3
	s_or_b64 exec, exec, s[28:29]
	v_cmp_ne_u16_e32 vcc, 0, v45
	s_and_saveexec_b64 s[28:29], vcc
	s_cbranch_execz .LBB6_20549
; %bb.20542:                            ;   in Loop: Header=BB6_18303 Depth=3
	v_cmp_ne_u16_e32 vcc, s46, v45
	v_bfrev_b32_e32 v0, 1
	s_and_saveexec_b64 s[34:35], vcc
	s_cbranch_execz .LBB6_20548
; %bb.20543:                            ;   in Loop: Header=BB6_18303 Depth=3
	v_and_b32_e32 v0, 0x7c, v45
	v_and_b32_e32 v2, 3, v45
	v_cmp_ne_u32_e32 vcc, s86, v0
                                        ; implicit-def: $vgpr0
	s_and_saveexec_b64 s[62:63], vcc
	s_xor_b64 s[36:37], exec, s[62:63]
	s_cbranch_execz .LBB6_20545
; %bb.20544:                            ;   in Loop: Header=BB6_18303 Depth=3
	v_ffbh_u32_e32 v25, v2
	v_min_u32_e32 v52, 32, v25
	v_mov_b32_e32 v46, v33
	v_subrev_u32_e32 v25, 29, v52
	v_and_b32_e32 v0, 0xff, v45
	s_waitcnt vmcnt(0)
	v_lshlrev_b64 v[25:26], v25, v[45:46]
	v_bfe_u32 v0, v0, 2, 5
	v_sub_u32_e32 v26, 30, v52
	v_and_b32_e32 v25, 3, v25
	v_cmp_eq_u32_e32 vcc, 0, v0
	v_cndmask_b32_e32 v0, v0, v26, vcc
	v_cndmask_b32_e32 v2, v2, v25, vcc
	v_and_b32_sdwa v25, sext(v45), s87 dst_sel:DWORD dst_unused:UNUSED_PAD src0_sel:WORD_0 src1_sel:DWORD
	v_lshl_add_u32 v0, v0, 23, v25
	v_lshl_or_b32 v0, v2, 21, v0
	v_add_u32_e32 v0, 0x38000000, v0
                                        ; implicit-def: $vgpr2
                                        ; implicit-def: $vgpr45
.LBB6_20545:                            ;   in Loop: Header=BB6_18303 Depth=3
	s_andn2_saveexec_b64 s[36:37], s[36:37]
; %bb.20546:                            ;   in Loop: Header=BB6_18303 Depth=3
	v_cmp_lt_i16_e32 vcc, -1, v45
	v_mov_b32_e32 v0, 0xff800000
	v_mov_b32_e32 v25, 0x7f800000
	v_cndmask_b32_e32 v0, v0, v25, vcc
	v_cmp_eq_u32_e32 vcc, 0, v2
	v_mov_b32_e32 v2, 0x7f800001
	v_cndmask_b32_e32 v0, v2, v0, vcc
; %bb.20547:                            ;   in Loop: Header=BB6_18303 Depth=3
	s_or_b64 exec, exec, s[36:37]
.LBB6_20548:                            ;   in Loop: Header=BB6_18303 Depth=3
	s_or_b64 exec, exec, s[34:35]
.LBB6_20549:                            ;   in Loop: Header=BB6_18303 Depth=3
	s_or_b64 exec, exec, s[28:29]
	v_add_f32_e32 v2, v1, v0
	v_and_b32_e32 v25, 0x7f800000, v2
	s_waitcnt vmcnt(0)
	v_mov_b32_e32 v26, v33
	v_cmp_ne_u64_e32 vcc, s[76:77], v[25:26]
	v_and_b32_e32 v0, 0x7fffff, v2
	v_mov_b32_e32 v1, v33
                                        ; implicit-def: $vgpr25
	s_and_saveexec_b64 s[28:29], vcc
	s_xor_b64 s[34:35], exec, s[28:29]
	s_cbranch_execz .LBB6_20567
; %bb.20550:                            ;   in Loop: Header=BB6_18303 Depth=3
	v_and_b32_e32 v25, 0x7fffffff, v2
	v_mov_b32_e32 v26, v33
	v_cmp_gt_u64_e32 vcc, s[78:79], v[25:26]
	v_and_b32_sdwa v26, v2, s97 dst_sel:DWORD dst_unused:UNUSED_PAD src0_sel:BYTE_3 src1_sel:DWORD
                                        ; implicit-def: $vgpr25
	s_and_saveexec_b64 s[28:29], vcc
	s_xor_b64 s[36:37], exec, s[28:29]
	s_cbranch_execz .LBB6_20564
; %bb.20551:                            ;   in Loop: Header=BB6_18303 Depth=3
	v_cmp_ne_u32_e32 vcc, 0, v2
	v_mov_b32_e32 v25, 0
	s_and_saveexec_b64 s[38:39], vcc
	s_cbranch_execz .LBB6_20563
; %bb.20552:                            ;   in Loop: Header=BB6_18303 Depth=3
	v_bfe_u32 v25, v2, 23, 8
	v_cmp_gt_u32_e64 s[28:29], s47, v25
	v_sub_u32_e32 v2, 0x71, v25
	v_cmp_eq_u32_e32 vcc, 0, v25
	v_cndmask_b32_e64 v2, 0, v2, s[28:29]
	v_mov_b32_e32 v52, 0x70
	v_cndmask_b32_e32 v52, v2, v52, vcc
	v_or_b32_e32 v53, 0x800000, v0
	v_add_u32_e32 v2, 21, v52
	v_cndmask_b32_e32 v0, v53, v0, vcc
	v_lshlrev_b64 v[53:54], v2, -1
	v_add_u32_e32 v2, 20, v52
	v_bfi_b32 v53, v53, 0, v0
	v_lshlrev_b64 v[40:41], v2, 1
	v_lshrrev_b64 v[0:1], v52, v[0:1]
	v_bfi_b32 v54, v54, 0, 0
	v_cmp_eq_u64_e64 s[28:29], v[53:54], v[40:41]
	v_mov_b32_e32 v2, v1
	v_mov_b32_e32 v1, v0
	s_and_saveexec_b64 s[48:49], s[28:29]
; %bb.20553:                            ;   in Loop: Header=BB6_18303 Depth=3
	v_bfe_u32 v1, v0, 21, 1
	v_add_co_u32_e64 v1, s[28:29], v0, v1
	v_add_co_u32_e64 v1, s[28:29], -1, v1
; %bb.20554:                            ;   in Loop: Header=BB6_18303 Depth=3
	s_or_b64 exec, exec, s[48:49]
	v_add_u32_e32 v2, 0xffffff81, v25
	v_mov_b32_e32 v25, 0xffffff82
	v_cndmask_b32_e32 v2, v2, v25, vcc
	v_lshrrev_b32_e32 v25, 23, v0
	v_add3_u32 v52, v52, v2, v25
	v_add_u32_e32 v25, 14, v52
	v_and_b32_e32 v1, 0x1fffff, v1
	v_add_u32_e32 v0, v1, v0
	v_mov_b32_e32 v1, v33
	v_cmp_ne_u32_e32 vcc, 0, v25
                                        ; implicit-def: $vgpr2
	s_and_saveexec_b64 s[28:29], vcc
	s_xor_b64 s[28:29], exec, s[28:29]
; %bb.20555:                            ;   in Loop: Header=BB6_18303 Depth=3
	v_cmp_lt_u64_e32 vcc, s[88:89], v[0:1]
	v_add_u32_e32 v2, 15, v52
	v_cndmask_b32_e32 v2, v25, v2, vcc
	v_cndmask_b32_e64 v25, 0, 1, vcc
	v_lshrrev_b64 v[0:1], v25, v[0:1]
; %bb.20556:                            ;   in Loop: Header=BB6_18303 Depth=3
	s_andn2_saveexec_b64 s[28:29], s[28:29]
; %bb.20557:                            ;   in Loop: Header=BB6_18303 Depth=3
	v_bfe_u32 v2, v0, 23, 1
; %bb.20558:                            ;   in Loop: Header=BB6_18303 Depth=3
	s_or_b64 exec, exec, s[28:29]
	v_lshrrev_b64 v[0:1], 21, v[0:1]
	v_cmp_gt_i32_e32 vcc, 32, v2
	v_cndmask_b32_e32 v1, 0, v1, vcc
	v_cndmask_b32_e32 v0, 3, v0, vcc
	v_cmp_ne_u64_e32 vcc, 0, v[0:1]
	v_cmp_ne_u32_e64 s[28:29], 0, v2
	s_or_b64 s[28:29], s[28:29], vcc
                                        ; implicit-def: $vgpr25
	s_and_saveexec_b64 s[62:63], s[28:29]
	s_xor_b64 s[28:29], exec, s[62:63]
; %bb.20559:                            ;   in Loop: Header=BB6_18303 Depth=3
	v_min_i32_e32 v1, 31, v2
	v_lshl_or_b32 v1, v1, 2, v26
	v_and_or_b32 v25, v0, 3, v1
                                        ; implicit-def: $vgpr26
; %bb.20560:                            ;   in Loop: Header=BB6_18303 Depth=3
	s_andn2_saveexec_b64 s[28:29], s[28:29]
; %bb.20561:                            ;   in Loop: Header=BB6_18303 Depth=3
	v_mov_b32_e32 v25, v26
; %bb.20562:                            ;   in Loop: Header=BB6_18303 Depth=3
	s_or_b64 exec, exec, s[28:29]
.LBB6_20563:                            ;   in Loop: Header=BB6_18303 Depth=3
	s_or_b64 exec, exec, s[38:39]
                                        ; implicit-def: $vgpr26
.LBB6_20564:                            ;   in Loop: Header=BB6_18303 Depth=3
	s_andn2_saveexec_b64 s[28:29], s[36:37]
; %bb.20565:                            ;   in Loop: Header=BB6_18303 Depth=3
	v_or_b32_e32 v25, 0x7b, v26
; %bb.20566:                            ;   in Loop: Header=BB6_18303 Depth=3
	s_or_b64 exec, exec, s[28:29]
                                        ; implicit-def: $vgpr2
                                        ; implicit-def: $vgpr0_vgpr1
.LBB6_20567:                            ;   in Loop: Header=BB6_18303 Depth=3
	s_andn2_saveexec_b64 s[28:29], s[34:35]
	s_cbranch_execz .LBB6_20573
; %bb.20568:                            ;   in Loop: Header=BB6_18303 Depth=3
	v_cmp_ne_u64_e32 vcc, 0, v[0:1]
                                        ; implicit-def: $vgpr25
	s_and_saveexec_b64 s[62:63], vcc
	s_xor_b64 vcc, exec, s[62:63]
; %bb.20569:                            ;   in Loop: Header=BB6_18303 Depth=3
	v_or_b32_sdwa v25, v2, s44 dst_sel:DWORD dst_unused:UNUSED_PAD src0_sel:BYTE_3 src1_sel:DWORD
                                        ; implicit-def: $vgpr2
; %bb.20570:                            ;   in Loop: Header=BB6_18303 Depth=3
	s_andn2_saveexec_b64 s[34:35], vcc
; %bb.20571:                            ;   in Loop: Header=BB6_18303 Depth=3
	v_cmp_lt_i32_e32 vcc, -1, v2
	v_mov_b32_e32 v0, 0x7c
	v_cndmask_b32_e32 v25, -4, v0, vcc
; %bb.20572:                            ;   in Loop: Header=BB6_18303 Depth=3
	s_or_b64 exec, exec, s[34:35]
.LBB6_20573:                            ;   in Loop: Header=BB6_18303 Depth=3
	s_or_b64 exec, exec, s[28:29]
	buffer_load_dword v0, off, s[0:3], s33 offset:84 ; 4-byte Folded Reload
	buffer_load_dword v1, off, s[0:3], s33 offset:88 ; 4-byte Folded Reload
	s_waitcnt vmcnt(0)
	v_mov_b32_e32 v1, 0
	v_and_b32_e32 v26, 0xff, v0
	v_cmp_ne_u16_e32 vcc, 0, v26
	v_mov_b32_e32 v0, 0
	s_and_saveexec_b64 s[28:29], vcc
	s_cbranch_execz .LBB6_20581
; %bb.20574:                            ;   in Loop: Header=BB6_18303 Depth=3
	v_cmp_ne_u16_e32 vcc, s97, v26
	v_bfrev_b32_e32 v1, 1
	s_and_saveexec_b64 s[34:35], vcc
	s_cbranch_execz .LBB6_20580
; %bb.20575:                            ;   in Loop: Header=BB6_18303 Depth=3
	buffer_load_dword v1, off, s[0:3], s33 offset:84 ; 4-byte Folded Reload
	buffer_load_dword v2, off, s[0:3], s33 offset:88 ; 4-byte Folded Reload
	s_waitcnt vmcnt(0)
	v_and_b32_e32 v2, 3, v1
	v_and_b32_e32 v1, 0x7c, v1
	v_cmp_ne_u32_e32 vcc, s86, v1
                                        ; implicit-def: $vgpr1
	s_and_saveexec_b64 s[62:63], vcc
	s_xor_b64 s[36:37], exec, s[62:63]
	s_cbranch_execz .LBB6_20577
; %bb.20576:                            ;   in Loop: Header=BB6_18303 Depth=3
	buffer_load_dword v54, off, s[0:3], s33 offset:84 ; 4-byte Folded Reload
	buffer_load_dword v55, off, s[0:3], s33 offset:88 ; 4-byte Folded Reload
	v_bfe_u32 v1, v26, 2, 5
	v_ffbh_u32_e32 v26, v2
	v_min_u32_e32 v26, 32, v26
	s_waitcnt vmcnt(0)
	v_mov_b32_e32 v55, v33
	v_subrev_u32_e32 v52, 29, v26
	v_sub_u32_e32 v26, 30, v26
	v_cmp_eq_u32_e32 vcc, 0, v1
	v_cndmask_b32_e32 v1, v1, v26, vcc
	v_lshlrev_b32_e32 v26, 24, v54
	v_lshlrev_b64 v[52:53], v52, v[54:55]
	v_and_b32_e32 v26, 0x80000000, v26
	v_and_b32_e32 v52, 3, v52
	v_cndmask_b32_e32 v2, v2, v52, vcc
	v_lshl_add_u32 v1, v1, 23, v26
	v_lshl_or_b32 v1, v2, 21, v1
	v_add_u32_e32 v1, 0x38000000, v1
                                        ; implicit-def: $vgpr26
                                        ; implicit-def: $vgpr2
	buffer_store_dword v26, off, s[0:3], s33 offset:84 ; 4-byte Folded Spill
	s_nop 0
	buffer_store_dword v27, off, s[0:3], s33 offset:88 ; 4-byte Folded Spill
.LBB6_20577:                            ;   in Loop: Header=BB6_18303 Depth=3
	s_andn2_saveexec_b64 s[36:37], s[36:37]
	s_cbranch_execz .LBB6_20579
; %bb.20578:                            ;   in Loop: Header=BB6_18303 Depth=3
	buffer_load_dword v52, off, s[0:3], s33 offset:84 ; 4-byte Folded Reload
	buffer_load_dword v53, off, s[0:3], s33 offset:88 ; 4-byte Folded Reload
	v_mov_b32_e32 v1, -1
	v_mov_b32_e32 v26, 0x7f800000
	s_waitcnt vmcnt(1)
	v_cmp_gt_i16_sdwa vcc, sext(v52), v1 src0_sel:BYTE_0 src1_sel:DWORD
	v_mov_b32_e32 v1, 0xff800000
	v_cndmask_b32_e32 v1, v1, v26, vcc
	v_cmp_eq_u32_e32 vcc, 0, v2
	v_mov_b32_e32 v2, 0x7f800001
	v_cndmask_b32_e32 v1, v2, v1, vcc
.LBB6_20579:                            ;   in Loop: Header=BB6_18303 Depth=3
	s_or_b64 exec, exec, s[36:37]
.LBB6_20580:                            ;   in Loop: Header=BB6_18303 Depth=3
	s_or_b64 exec, exec, s[34:35]
.LBB6_20581:                            ;   in Loop: Header=BB6_18303 Depth=3
	s_or_b64 exec, exec, s[28:29]
	buffer_load_dword v52, off, s[0:3], s33 offset:288 ; 4-byte Folded Reload
	buffer_load_dword v53, off, s[0:3], s33 offset:292 ; 4-byte Folded Reload
	s_waitcnt vmcnt(1)
	v_mov_b32_e32 v26, v52
	v_cmp_ne_u16_e32 vcc, 0, v26
	s_and_saveexec_b64 s[28:29], vcc
	s_cbranch_execz .LBB6_20589
; %bb.20582:                            ;   in Loop: Header=BB6_18303 Depth=3
	v_cmp_ne_u16_e32 vcc, s46, v26
	v_bfrev_b32_e32 v0, 1
	s_and_saveexec_b64 s[34:35], vcc
	s_cbranch_execz .LBB6_20588
; %bb.20583:                            ;   in Loop: Header=BB6_18303 Depth=3
	v_and_b32_e32 v0, 0x7c, v26
	v_and_b32_e32 v2, 3, v26
	v_cmp_ne_u32_e32 vcc, s86, v0
                                        ; implicit-def: $vgpr0
	s_and_saveexec_b64 s[62:63], vcc
	s_xor_b64 s[36:37], exec, s[62:63]
	s_cbranch_execz .LBB6_20585
; %bb.20584:                            ;   in Loop: Header=BB6_18303 Depth=3
	buffer_load_dword v54, off, s[0:3], s33 offset:288 ; 4-byte Folded Reload
	buffer_load_dword v55, off, s[0:3], s33 offset:292 ; 4-byte Folded Reload
	v_ffbh_u32_e32 v26, v2
	v_min_u32_e32 v26, 32, v26
	s_waitcnt vmcnt(0)
	v_mov_b32_e32 v55, v33
	v_subrev_u32_e32 v52, 29, v26
	v_sub_u32_e32 v26, 30, v26
	v_and_b32_e32 v0, 0xff, v54
	v_bfe_u32 v0, v0, 2, 5
	v_lshlrev_b64 v[52:53], v52, v[54:55]
	v_cmp_eq_u32_e32 vcc, 0, v0
	v_and_b32_e32 v52, 3, v52
	v_cndmask_b32_e32 v0, v0, v26, vcc
	v_and_b32_sdwa v26, sext(v54), s87 dst_sel:DWORD dst_unused:UNUSED_PAD src0_sel:WORD_0 src1_sel:DWORD
	v_cndmask_b32_e32 v2, v2, v52, vcc
	v_lshl_add_u32 v0, v0, 23, v26
	v_lshl_or_b32 v0, v2, 21, v0
	v_add_u32_e32 v0, 0x38000000, v0
                                        ; implicit-def: $vgpr26
                                        ; implicit-def: $vgpr2
	buffer_store_dword v26, off, s[0:3], s33 offset:288 ; 4-byte Folded Spill
	s_nop 0
	buffer_store_dword v27, off, s[0:3], s33 offset:292 ; 4-byte Folded Spill
.LBB6_20585:                            ;   in Loop: Header=BB6_18303 Depth=3
	s_andn2_saveexec_b64 s[36:37], s[36:37]
	s_cbranch_execz .LBB6_20587
; %bb.20586:                            ;   in Loop: Header=BB6_18303 Depth=3
	buffer_load_dword v52, off, s[0:3], s33 offset:288 ; 4-byte Folded Reload
	buffer_load_dword v53, off, s[0:3], s33 offset:292 ; 4-byte Folded Reload
	v_mov_b32_e32 v0, 0xff800000
	v_mov_b32_e32 v26, 0x7f800000
	s_waitcnt vmcnt(1)
	v_cmp_lt_i16_e32 vcc, -1, v52
	v_cndmask_b32_e32 v0, v0, v26, vcc
	v_cmp_eq_u32_e32 vcc, 0, v2
	v_mov_b32_e32 v2, 0x7f800001
	v_cndmask_b32_e32 v0, v2, v0, vcc
.LBB6_20587:                            ;   in Loop: Header=BB6_18303 Depth=3
	s_or_b64 exec, exec, s[36:37]
.LBB6_20588:                            ;   in Loop: Header=BB6_18303 Depth=3
	s_or_b64 exec, exec, s[34:35]
.LBB6_20589:                            ;   in Loop: Header=BB6_18303 Depth=3
	s_or_b64 exec, exec, s[28:29]
	v_add_f32_e32 v52, v1, v0
	v_and_b32_e32 v1, 0x7f800000, v52
	v_mov_b32_e32 v2, v33
	v_cmp_ne_u64_e32 vcc, s[76:77], v[1:2]
	v_and_b32_e32 v0, 0x7fffff, v52
	v_mov_b32_e32 v1, v33
                                        ; implicit-def: $vgpr2
	s_and_saveexec_b64 s[28:29], vcc
	s_xor_b64 s[34:35], exec, s[28:29]
	s_cbranch_execz .LBB6_20607
; %bb.20590:                            ;   in Loop: Header=BB6_18303 Depth=3
	s_waitcnt vmcnt(0)
	v_and_b32_e32 v53, 0x7fffffff, v52
	v_mov_b32_e32 v54, v33
	v_cmp_gt_u64_e32 vcc, s[78:79], v[53:54]
	v_and_b32_sdwa v26, v52, s97 dst_sel:DWORD dst_unused:UNUSED_PAD src0_sel:BYTE_3 src1_sel:DWORD
                                        ; implicit-def: $vgpr2
	s_and_saveexec_b64 s[28:29], vcc
	s_xor_b64 s[36:37], exec, s[28:29]
	s_cbranch_execz .LBB6_20604
; %bb.20591:                            ;   in Loop: Header=BB6_18303 Depth=3
	v_cmp_ne_u32_e32 vcc, 0, v52
	v_mov_b32_e32 v2, 0
	s_and_saveexec_b64 s[38:39], vcc
	s_cbranch_execz .LBB6_20603
; %bb.20592:                            ;   in Loop: Header=BB6_18303 Depth=3
	v_bfe_u32 v52, v52, 23, 8
	v_cmp_gt_u32_e64 s[28:29], s47, v52
	v_sub_u32_e32 v2, 0x71, v52
	v_cmp_eq_u32_e32 vcc, 0, v52
	v_cndmask_b32_e64 v2, 0, v2, s[28:29]
	v_mov_b32_e32 v53, 0x70
	v_cndmask_b32_e32 v53, v2, v53, vcc
	v_or_b32_e32 v54, 0x800000, v0
	v_add_u32_e32 v2, 21, v53
	v_cndmask_b32_e32 v0, v54, v0, vcc
	v_lshlrev_b64 v[54:55], v2, -1
	v_add_u32_e32 v2, 20, v53
	v_bfi_b32 v54, v54, 0, v0
	v_lshlrev_b64 v[40:41], v2, 1
	v_lshrrev_b64 v[0:1], v53, v[0:1]
	v_bfi_b32 v55, v55, 0, 0
	v_cmp_eq_u64_e64 s[28:29], v[54:55], v[40:41]
	v_mov_b32_e32 v2, v1
	v_mov_b32_e32 v1, v0
	s_and_saveexec_b64 s[48:49], s[28:29]
; %bb.20593:                            ;   in Loop: Header=BB6_18303 Depth=3
	v_bfe_u32 v1, v0, 21, 1
	v_add_co_u32_e64 v1, s[28:29], v0, v1
	v_add_co_u32_e64 v1, s[28:29], -1, v1
; %bb.20594:                            ;   in Loop: Header=BB6_18303 Depth=3
	s_or_b64 exec, exec, s[48:49]
	v_add_u32_e32 v2, 0xffffff81, v52
	v_mov_b32_e32 v52, 0xffffff82
	v_cndmask_b32_e32 v2, v2, v52, vcc
	v_lshrrev_b32_e32 v52, 23, v0
	v_add3_u32 v53, v53, v2, v52
	v_add_u32_e32 v2, 14, v53
	v_and_b32_e32 v1, 0x1fffff, v1
	v_add_u32_e32 v0, v1, v0
	v_mov_b32_e32 v1, v33
	v_cmp_ne_u32_e32 vcc, 0, v2
                                        ; implicit-def: $vgpr52
	s_and_saveexec_b64 s[28:29], vcc
	s_xor_b64 s[28:29], exec, s[28:29]
; %bb.20595:                            ;   in Loop: Header=BB6_18303 Depth=3
	v_cmp_lt_u64_e32 vcc, s[88:89], v[0:1]
	v_add_u32_e32 v52, 15, v53
	v_cndmask_b32_e32 v52, v2, v52, vcc
	v_cndmask_b32_e64 v2, 0, 1, vcc
	v_lshrrev_b64 v[0:1], v2, v[0:1]
; %bb.20596:                            ;   in Loop: Header=BB6_18303 Depth=3
	s_andn2_saveexec_b64 s[28:29], s[28:29]
; %bb.20597:                            ;   in Loop: Header=BB6_18303 Depth=3
	v_bfe_u32 v52, v0, 23, 1
; %bb.20598:                            ;   in Loop: Header=BB6_18303 Depth=3
	s_or_b64 exec, exec, s[28:29]
	v_lshrrev_b64 v[0:1], 21, v[0:1]
	v_cmp_gt_i32_e32 vcc, 32, v52
	v_cndmask_b32_e32 v1, 0, v1, vcc
	v_cndmask_b32_e32 v0, 3, v0, vcc
	v_cmp_ne_u64_e32 vcc, 0, v[0:1]
	v_cmp_ne_u32_e64 s[28:29], 0, v52
	s_or_b64 s[28:29], s[28:29], vcc
                                        ; implicit-def: $vgpr2
	s_and_saveexec_b64 s[62:63], s[28:29]
	s_xor_b64 s[28:29], exec, s[62:63]
; %bb.20599:                            ;   in Loop: Header=BB6_18303 Depth=3
	v_min_i32_e32 v1, 31, v52
	v_lshl_or_b32 v1, v1, 2, v26
	v_and_or_b32 v2, v0, 3, v1
                                        ; implicit-def: $vgpr26
; %bb.20600:                            ;   in Loop: Header=BB6_18303 Depth=3
	s_andn2_saveexec_b64 s[28:29], s[28:29]
; %bb.20601:                            ;   in Loop: Header=BB6_18303 Depth=3
	v_mov_b32_e32 v2, v26
; %bb.20602:                            ;   in Loop: Header=BB6_18303 Depth=3
	s_or_b64 exec, exec, s[28:29]
.LBB6_20603:                            ;   in Loop: Header=BB6_18303 Depth=3
	s_or_b64 exec, exec, s[38:39]
                                        ; implicit-def: $vgpr26
.LBB6_20604:                            ;   in Loop: Header=BB6_18303 Depth=3
	s_andn2_saveexec_b64 s[28:29], s[36:37]
; %bb.20605:                            ;   in Loop: Header=BB6_18303 Depth=3
	v_or_b32_e32 v2, 0x7b, v26
; %bb.20606:                            ;   in Loop: Header=BB6_18303 Depth=3
	s_or_b64 exec, exec, s[28:29]
                                        ; implicit-def: $vgpr52
                                        ; implicit-def: $vgpr0_vgpr1
.LBB6_20607:                            ;   in Loop: Header=BB6_18303 Depth=3
	s_andn2_saveexec_b64 s[28:29], s[34:35]
	s_cbranch_execz .LBB6_18302
; %bb.20608:                            ;   in Loop: Header=BB6_18303 Depth=3
	v_cmp_ne_u64_e32 vcc, 0, v[0:1]
                                        ; implicit-def: $vgpr2
	s_and_saveexec_b64 s[62:63], vcc
	s_xor_b64 vcc, exec, s[62:63]
; %bb.20609:                            ;   in Loop: Header=BB6_18303 Depth=3
	v_or_b32_sdwa v2, v52, s44 dst_sel:DWORD dst_unused:UNUSED_PAD src0_sel:BYTE_3 src1_sel:DWORD
                                        ; implicit-def: $vgpr52
; %bb.20610:                            ;   in Loop: Header=BB6_18303 Depth=3
	s_andn2_saveexec_b64 s[34:35], vcc
	s_cbranch_execz .LBB6_18301
; %bb.20611:                            ;   in Loop: Header=BB6_18303 Depth=3
	v_cmp_lt_i32_e32 vcc, -1, v52
	v_mov_b32_e32 v0, 0x7c
	v_cndmask_b32_e32 v2, -4, v0, vcc
	s_branch .LBB6_18301
.LBB6_20612:                            ;   in Loop: Header=BB6_13101 Depth=2
	s_or_b64 exec, exec, s[30:31]
	buffer_load_dword v5, off, s[0:3], s33 offset:296 ; 4-byte Folded Reload
	buffer_load_dword v3, off, s[0:3], s33 offset:300 ; 4-byte Folded Reload
	;; [unrolled: 1-line block ×5, first 2 shown]
.LBB6_20613:                            ;   in Loop: Header=BB6_13101 Depth=2
	s_or_b64 exec, exec, s[40:41]
	s_waitcnt vmcnt(0)
	v_lshlrev_b32_e32 v0, 11, v1
	v_cmp_ne_u32_e32 vcc, v3, v0
	s_and_b64 exec, exec, vcc
	s_cbranch_execz .LBB6_20697
; %bb.20614:                            ;   in Loop: Header=BB6_13101 Depth=2
	v_lshlrev_b32_e32 v1, 6, v4
	v_sub_u32_e32 v1, v2, v1
	v_lshlrev_b32_e32 v2, 6, v34
	v_sub_u32_e32 v1, v1, v2
	v_add_u32_e32 v0, v0, v1
	v_sub_u32_e32 v12, v3, v0
	v_cmp_lt_i32_e32 vcc, 0, v12
	s_and_b64 exec, exec, vcc
	s_cbranch_execz .LBB6_20697
; %bb.20615:                            ;   in Loop: Header=BB6_13101 Depth=2
	s_trap 2
	ds_read_b128 v[1:4], v0
	v_add_u32_e32 v5, v0, v5
	v_ashrrev_i32_e32 v6, 31, v5
	s_mov_b64 s[30:31], 0
	s_waitcnt lgkmcnt(0)
	v_add_co_u32_e32 v0, vcc, v1, v5
	v_addc_co_u32_e32 v1, vcc, v2, v6, vcc
	v_add_co_u32_e32 v2, vcc, v3, v5
	v_addc_co_u32_e32 v3, vcc, v4, v6, vcc
	v_mov_b32_e32 v5, v1
	v_mov_b32_e32 v7, v3
	;; [unrolled: 1-line block ×4, first 2 shown]
.LBB6_20616:                            ;   Parent Loop BB6_47 Depth=1
                                        ;     Parent Loop BB6_13101 Depth=2
                                        ; =>    This Loop Header: Depth=3
                                        ;         Child Loop BB6_20695 Depth 4
	s_trap 2
	ds_read_b64 v[8:9], v0
	v_mov_b32_e32 v10, 0
	s_waitcnt lgkmcnt(0)
	v_cmp_eq_u32_sdwa s[40:41], v8, v33 src0_sel:BYTE_0 src1_sel:DWORD
	v_readfirstlane_b32 s28, v8
	v_readfirstlane_b32 s29, v9
	v_mov_b32_e32 v9, 0
	s_and_b64 vcc, exec, s[40:41]
	s_cbranch_vccnz .LBB6_20622
; %bb.20617:                            ;   in Loop: Header=BB6_20616 Depth=3
	s_bfe_i32 s63, s28, 0x80000
	s_and_b32 s40, 0xffff, s63
	s_cmpk_eq_u32 s40, 0xff80
	v_bfrev_b32_e32 v10, 1
	s_cbranch_scc1 .LBB6_20622
; %bb.20618:                            ;   in Loop: Header=BB6_20616 Depth=3
	s_and_b32 s62, s28, 3
	s_and_b32 vcc_lo, s28, 0x7c
	s_mov_b64 s[40:41], -1
	s_cmpk_lg_i32 vcc_lo, 0x7c
	s_sext_i32_i16 s63, s63
                                        ; implicit-def: $sgpr34
	s_cbranch_scc0 .LBB6_20620
; %bb.20619:                            ;   in Loop: Header=BB6_20616 Depth=3
	s_flbit_i32_b32 s41, s62
	s_min_u32 s41, s41, 32
	s_sub_i32 vcc_lo, s41, 29
	s_bfe_u32 s40, s28, 0x50002
	s_lshl_b64 s[28:29], s[28:29], vcc_lo
	s_sub_i32 s29, 30, s41
	s_and_b32 s28, s28, 3
	s_cmp_eq_u32 s40, 0
	s_cselect_b32 s29, s29, s40
	s_cselect_b32 s28, s28, s62
	s_and_b32 s40, s63, 0x80000000
	s_lshl_b32 s29, s29, 23
	s_add_i32 s29, s29, s40
	s_lshl_b32 s28, s28, 21
	s_or_b32 s28, s29, s28
	s_add_i32 s34, s28, 0x38000000
	s_mov_b64 s[40:41], 0
.LBB6_20620:                            ;   in Loop: Header=BB6_20616 Depth=3
	s_andn2_b64 vcc, exec, s[40:41]
	v_mov_b32_e32 v10, s34
	s_cbranch_vccnz .LBB6_20622
; %bb.20621:                            ;   in Loop: Header=BB6_20616 Depth=3
	s_cmp_eq_u32 s62, 0
	s_cselect_b64 vcc, -1, 0
	s_cmp_gt_i32 s63, -1
	s_cselect_b64 s[28:29], -1, 0
	v_mov_b32_e32 v8, 0xff800000
	v_mov_b32_e32 v10, 0x7f800000
	v_cndmask_b32_e64 v8, v8, v10, s[28:29]
	v_mov_b32_e32 v10, 0x7f800001
	v_cndmask_b32_e32 v10, v10, v8, vcc
.LBB6_20622:                            ;   in Loop: Header=BB6_20616 Depth=3
	flat_load_sbyte v8, v[4:5] glc slc
	s_waitcnt vmcnt(0) lgkmcnt(0)
	v_cmp_ne_u16_e32 vcc, 0, v8
	s_and_saveexec_b64 s[28:29], vcc
	s_cbranch_execz .LBB6_20630
; %bb.20623:                            ;   in Loop: Header=BB6_20616 Depth=3
	v_cmp_ne_u16_e32 vcc, s46, v8
	v_bfrev_b32_e32 v9, 1
	s_and_saveexec_b64 s[40:41], vcc
	s_cbranch_execz .LBB6_20629
; %bb.20624:                            ;   in Loop: Header=BB6_20616 Depth=3
	v_and_b32_e32 v9, 0x7c, v8
	v_and_b32_e32 v11, 3, v8
	v_cmp_ne_u32_e32 vcc, s86, v9
                                        ; implicit-def: $vgpr9
	s_and_saveexec_b64 s[62:63], vcc
	s_xor_b64 s[34:35], exec, s[62:63]
	s_cbranch_execz .LBB6_20626
; %bb.20625:                            ;   in Loop: Header=BB6_20616 Depth=3
	v_and_b32_e32 v13, 0xff, v8
	v_bfe_u32 v15, v13, 2, 5
	v_ffbh_u32_e32 v13, v11
	v_min_u32_e32 v16, 32, v13
	v_mov_b32_e32 v9, v33
	v_subrev_u32_e32 v13, 29, v16
	v_lshlrev_b64 v[13:14], v13, v[8:9]
	v_sub_u32_e32 v9, 30, v16
	v_cmp_eq_u32_e32 vcc, 0, v15
	v_and_b32_e32 v13, 3, v13
	v_cndmask_b32_e32 v9, v15, v9, vcc
	v_and_b32_sdwa v8, sext(v8), s87 dst_sel:DWORD dst_unused:UNUSED_PAD src0_sel:WORD_0 src1_sel:DWORD
	v_cndmask_b32_e32 v11, v11, v13, vcc
	v_lshl_add_u32 v8, v9, 23, v8
	v_lshl_or_b32 v8, v11, 21, v8
	v_add_u32_e32 v9, 0x38000000, v8
                                        ; implicit-def: $vgpr11
                                        ; implicit-def: $vgpr8
.LBB6_20626:                            ;   in Loop: Header=BB6_20616 Depth=3
	s_andn2_saveexec_b64 s[34:35], s[34:35]
; %bb.20627:                            ;   in Loop: Header=BB6_20616 Depth=3
	v_cmp_lt_i16_e32 vcc, -1, v8
	v_mov_b32_e32 v8, 0xff800000
	v_mov_b32_e32 v9, 0x7f800000
	v_cndmask_b32_e32 v8, v8, v9, vcc
	v_cmp_eq_u32_e32 vcc, 0, v11
	v_mov_b32_e32 v9, 0x7f800001
	v_cndmask_b32_e32 v9, v9, v8, vcc
; %bb.20628:                            ;   in Loop: Header=BB6_20616 Depth=3
	s_or_b64 exec, exec, s[34:35]
.LBB6_20629:                            ;   in Loop: Header=BB6_20616 Depth=3
	s_or_b64 exec, exec, s[40:41]
.LBB6_20630:                            ;   in Loop: Header=BB6_20616 Depth=3
	s_or_b64 exec, exec, s[28:29]
	v_mul_f32_e32 v13, v10, v9
	v_and_b32_e32 v10, 0x7f800000, v13
	v_mov_b32_e32 v11, v33
	v_cmp_ne_u64_e32 vcc, s[76:77], v[10:11]
	v_and_b32_e32 v9, 0x7fffff, v13
	v_mov_b32_e32 v10, v33
                                        ; implicit-def: $vgpr8
	s_and_saveexec_b64 s[28:29], vcc
	s_xor_b64 s[40:41], exec, s[28:29]
	s_cbranch_execz .LBB6_20648
; %bb.20631:                            ;   in Loop: Header=BB6_20616 Depth=3
	v_and_b32_e32 v14, 0x7fffffff, v13
	v_mov_b32_e32 v15, v33
	v_cmp_gt_u64_e32 vcc, s[78:79], v[14:15]
	v_and_b32_sdwa v11, v13, s97 dst_sel:DWORD dst_unused:UNUSED_PAD src0_sel:BYTE_3 src1_sel:DWORD
                                        ; implicit-def: $vgpr8
	s_and_saveexec_b64 s[28:29], vcc
	s_xor_b64 s[34:35], exec, s[28:29]
	s_cbranch_execz .LBB6_20645
; %bb.20632:                            ;   in Loop: Header=BB6_20616 Depth=3
	v_cmp_ne_u32_e32 vcc, 0, v13
	v_mov_b32_e32 v8, 0
	s_and_saveexec_b64 s[36:37], vcc
	s_cbranch_execz .LBB6_20644
; %bb.20633:                            ;   in Loop: Header=BB6_20616 Depth=3
	v_bfe_u32 v13, v13, 23, 8
	v_cmp_gt_u32_e64 s[28:29], s47, v13
	v_sub_u32_e32 v8, 0x71, v13
	v_cmp_eq_u32_e32 vcc, 0, v13
	v_cndmask_b32_e64 v8, 0, v8, s[28:29]
	v_mov_b32_e32 v14, 0x70
	v_cndmask_b32_e32 v14, v8, v14, vcc
	v_or_b32_e32 v15, 0x800000, v9
	v_add_u32_e32 v8, 21, v14
	v_cndmask_b32_e32 v9, v15, v9, vcc
	v_lshlrev_b64 v[15:16], v8, -1
	v_add_u32_e32 v8, 20, v14
	v_bfi_b32 v15, v15, 0, v9
	v_lshlrev_b64 v[17:18], v8, 1
	v_lshrrev_b64 v[8:9], v14, v[9:10]
	v_bfi_b32 v16, v16, 0, 0
	v_cmp_eq_u64_e64 s[28:29], v[15:16], v[17:18]
	v_mov_b32_e32 v10, v9
	v_mov_b32_e32 v9, v8
	s_and_saveexec_b64 s[38:39], s[28:29]
; %bb.20634:                            ;   in Loop: Header=BB6_20616 Depth=3
	v_bfe_u32 v9, v8, 21, 1
	v_add_co_u32_e64 v9, s[28:29], v8, v9
	v_add_co_u32_e64 v9, s[28:29], -1, v9
; %bb.20635:                            ;   in Loop: Header=BB6_20616 Depth=3
	s_or_b64 exec, exec, s[38:39]
	v_add_u32_e32 v10, 0xffffff81, v13
	v_mov_b32_e32 v13, 0xffffff82
	v_cndmask_b32_e32 v10, v10, v13, vcc
	v_lshrrev_b32_e32 v13, 23, v8
	v_add3_u32 v14, v14, v10, v13
	v_add_u32_e32 v10, 14, v14
	v_and_b32_e32 v9, 0x1fffff, v9
	v_add_u32_e32 v8, v9, v8
	v_mov_b32_e32 v9, v33
	v_cmp_ne_u32_e32 vcc, 0, v10
                                        ; implicit-def: $vgpr13
	s_and_saveexec_b64 s[28:29], vcc
	s_xor_b64 s[28:29], exec, s[28:29]
; %bb.20636:                            ;   in Loop: Header=BB6_20616 Depth=3
	v_cmp_lt_u64_e32 vcc, s[88:89], v[8:9]
	v_add_u32_e32 v13, 15, v14
	v_cndmask_b32_e32 v13, v10, v13, vcc
	v_cndmask_b32_e64 v10, 0, 1, vcc
	v_lshrrev_b64 v[8:9], v10, v[8:9]
; %bb.20637:                            ;   in Loop: Header=BB6_20616 Depth=3
	s_andn2_saveexec_b64 s[28:29], s[28:29]
; %bb.20638:                            ;   in Loop: Header=BB6_20616 Depth=3
	v_bfe_u32 v13, v8, 23, 1
; %bb.20639:                            ;   in Loop: Header=BB6_20616 Depth=3
	s_or_b64 exec, exec, s[28:29]
	v_lshrrev_b64 v[8:9], 21, v[8:9]
	v_cmp_gt_i32_e32 vcc, 32, v13
	v_cndmask_b32_e32 v10, 0, v9, vcc
	v_cndmask_b32_e32 v9, 3, v8, vcc
	v_cmp_ne_u64_e32 vcc, 0, v[9:10]
	v_cmp_ne_u32_e64 s[28:29], 0, v13
	s_or_b64 s[28:29], s[28:29], vcc
                                        ; implicit-def: $vgpr8
	s_and_saveexec_b64 s[62:63], s[28:29]
	s_xor_b64 s[28:29], exec, s[62:63]
; %bb.20640:                            ;   in Loop: Header=BB6_20616 Depth=3
	v_min_i32_e32 v8, 31, v13
	v_lshl_or_b32 v8, v8, 2, v11
	v_and_or_b32 v8, v9, 3, v8
                                        ; implicit-def: $vgpr11
; %bb.20641:                            ;   in Loop: Header=BB6_20616 Depth=3
	s_andn2_saveexec_b64 s[28:29], s[28:29]
; %bb.20642:                            ;   in Loop: Header=BB6_20616 Depth=3
	v_mov_b32_e32 v8, v11
; %bb.20643:                            ;   in Loop: Header=BB6_20616 Depth=3
	s_or_b64 exec, exec, s[28:29]
.LBB6_20644:                            ;   in Loop: Header=BB6_20616 Depth=3
	s_or_b64 exec, exec, s[36:37]
                                        ; implicit-def: $vgpr11
.LBB6_20645:                            ;   in Loop: Header=BB6_20616 Depth=3
	s_andn2_saveexec_b64 s[28:29], s[34:35]
; %bb.20646:                            ;   in Loop: Header=BB6_20616 Depth=3
	v_or_b32_e32 v8, 0x7b, v11
; %bb.20647:                            ;   in Loop: Header=BB6_20616 Depth=3
	s_or_b64 exec, exec, s[28:29]
                                        ; implicit-def: $vgpr13
                                        ; implicit-def: $vgpr9_vgpr10
.LBB6_20648:                            ;   in Loop: Header=BB6_20616 Depth=3
	s_andn2_saveexec_b64 s[28:29], s[40:41]
	s_cbranch_execz .LBB6_20654
; %bb.20649:                            ;   in Loop: Header=BB6_20616 Depth=3
	v_cmp_ne_u64_e32 vcc, 0, v[9:10]
                                        ; implicit-def: $vgpr8
	s_and_saveexec_b64 s[40:41], vcc
	s_xor_b64 s[40:41], exec, s[40:41]
; %bb.20650:                            ;   in Loop: Header=BB6_20616 Depth=3
	v_or_b32_sdwa v8, v13, s44 dst_sel:DWORD dst_unused:UNUSED_PAD src0_sel:BYTE_3 src1_sel:DWORD
                                        ; implicit-def: $vgpr13
; %bb.20651:                            ;   in Loop: Header=BB6_20616 Depth=3
	s_andn2_saveexec_b64 s[40:41], s[40:41]
; %bb.20652:                            ;   in Loop: Header=BB6_20616 Depth=3
	v_cmp_lt_i32_e32 vcc, -1, v13
	v_mov_b32_e32 v8, 0x7c
	v_cndmask_b32_e32 v8, -4, v8, vcc
; %bb.20653:                            ;   in Loop: Header=BB6_20616 Depth=3
	s_or_b64 exec, exec, s[40:41]
.LBB6_20654:                            ;   in Loop: Header=BB6_20616 Depth=3
	s_or_b64 exec, exec, s[28:29]
	flat_load_sbyte v10, v[6:7] glc slc
	v_and_b32_e32 v14, 0xff, v8
	v_cmp_ne_u16_e32 vcc, 0, v14
	v_mov_b32_e32 v11, 0
	v_mov_b32_e32 v9, 0
	s_and_saveexec_b64 s[28:29], vcc
	s_cbranch_execz .LBB6_20662
; %bb.20655:                            ;   in Loop: Header=BB6_20616 Depth=3
	v_cmp_ne_u16_e32 vcc, s97, v14
	v_bfrev_b32_e32 v9, 1
	s_and_saveexec_b64 s[40:41], vcc
	s_cbranch_execz .LBB6_20661
; %bb.20656:                            ;   in Loop: Header=BB6_20616 Depth=3
	v_and_b32_e32 v9, 0x7c, v8
	v_and_b32_e32 v13, 3, v8
	v_cmp_ne_u32_e32 vcc, s86, v9
                                        ; implicit-def: $vgpr9
	s_and_saveexec_b64 s[62:63], vcc
	s_xor_b64 s[34:35], exec, s[62:63]
	s_cbranch_execz .LBB6_20658
; %bb.20657:                            ;   in Loop: Header=BB6_20616 Depth=3
	v_bfe_u32 v16, v14, 2, 5
	v_ffbh_u32_e32 v14, v13
	v_min_u32_e32 v17, 32, v14
	v_mov_b32_e32 v9, v33
	v_subrev_u32_e32 v14, 29, v17
	v_lshlrev_b64 v[14:15], v14, v[8:9]
	v_sub_u32_e32 v9, 30, v17
	v_cmp_eq_u32_e32 vcc, 0, v16
	v_lshlrev_b32_e32 v8, 24, v8
	v_and_b32_e32 v14, 3, v14
	v_cndmask_b32_e32 v9, v16, v9, vcc
	v_and_b32_e32 v8, 0x80000000, v8
	v_cndmask_b32_e32 v13, v13, v14, vcc
	v_lshl_add_u32 v8, v9, 23, v8
	v_lshl_or_b32 v8, v13, 21, v8
	v_add_u32_e32 v9, 0x38000000, v8
                                        ; implicit-def: $vgpr13
                                        ; implicit-def: $vgpr8
.LBB6_20658:                            ;   in Loop: Header=BB6_20616 Depth=3
	s_andn2_saveexec_b64 s[34:35], s[34:35]
; %bb.20659:                            ;   in Loop: Header=BB6_20616 Depth=3
	v_mov_b32_e32 v9, -1
	v_cmp_gt_i16_sdwa vcc, sext(v8), v9 src0_sel:BYTE_0 src1_sel:DWORD
	v_mov_b32_e32 v8, 0xff800000
	v_mov_b32_e32 v9, 0x7f800000
	v_cndmask_b32_e32 v8, v8, v9, vcc
	v_cmp_eq_u32_e32 vcc, 0, v13
	v_mov_b32_e32 v9, 0x7f800001
	v_cndmask_b32_e32 v9, v9, v8, vcc
; %bb.20660:                            ;   in Loop: Header=BB6_20616 Depth=3
	s_or_b64 exec, exec, s[34:35]
.LBB6_20661:                            ;   in Loop: Header=BB6_20616 Depth=3
	s_or_b64 exec, exec, s[40:41]
.LBB6_20662:                            ;   in Loop: Header=BB6_20616 Depth=3
	s_or_b64 exec, exec, s[28:29]
	s_waitcnt vmcnt(0) lgkmcnt(0)
	v_cmp_ne_u16_e32 vcc, 0, v10
	s_and_saveexec_b64 s[28:29], vcc
	s_cbranch_execz .LBB6_20670
; %bb.20663:                            ;   in Loop: Header=BB6_20616 Depth=3
	v_cmp_ne_u16_e32 vcc, s46, v10
	v_bfrev_b32_e32 v11, 1
	s_and_saveexec_b64 s[40:41], vcc
	s_cbranch_execz .LBB6_20669
; %bb.20664:                            ;   in Loop: Header=BB6_20616 Depth=3
	v_and_b32_e32 v11, 0x7c, v10
	v_and_b32_e32 v8, 3, v10
	v_cmp_ne_u32_e32 vcc, s86, v11
                                        ; implicit-def: $vgpr11
	s_and_saveexec_b64 s[62:63], vcc
	s_xor_b64 s[34:35], exec, s[62:63]
	s_cbranch_execz .LBB6_20666
; %bb.20665:                            ;   in Loop: Header=BB6_20616 Depth=3
	v_ffbh_u32_e32 v15, v8
	v_and_b32_e32 v11, 0xff, v10
	v_min_u32_e32 v15, 32, v15
	v_bfe_u32 v13, v11, 2, 5
	v_mov_b32_e32 v11, v33
	v_subrev_u32_e32 v16, 29, v15
	v_and_b32_sdwa v14, sext(v10), s87 dst_sel:DWORD dst_unused:UNUSED_PAD src0_sel:WORD_0 src1_sel:DWORD
	v_lshlrev_b64 v[10:11], v16, v[10:11]
	v_sub_u32_e32 v11, 30, v15
	v_cmp_eq_u32_e32 vcc, 0, v13
	v_and_b32_e32 v10, 3, v10
	v_cndmask_b32_e32 v11, v13, v11, vcc
	v_cndmask_b32_e32 v8, v8, v10, vcc
	v_lshl_add_u32 v10, v11, 23, v14
	v_lshl_or_b32 v8, v8, 21, v10
	v_add_u32_e32 v11, 0x38000000, v8
                                        ; implicit-def: $vgpr10
                                        ; implicit-def: $vgpr8
.LBB6_20666:                            ;   in Loop: Header=BB6_20616 Depth=3
	s_andn2_saveexec_b64 s[34:35], s[34:35]
; %bb.20667:                            ;   in Loop: Header=BB6_20616 Depth=3
	v_cmp_lt_i16_e32 vcc, -1, v10
	v_mov_b32_e32 v10, 0xff800000
	v_mov_b32_e32 v11, 0x7f800000
	v_cndmask_b32_e32 v10, v10, v11, vcc
	v_cmp_eq_u32_e32 vcc, 0, v8
	v_mov_b32_e32 v8, 0x7f800001
	v_cndmask_b32_e32 v11, v8, v10, vcc
; %bb.20668:                            ;   in Loop: Header=BB6_20616 Depth=3
	s_or_b64 exec, exec, s[34:35]
.LBB6_20669:                            ;   in Loop: Header=BB6_20616 Depth=3
	s_or_b64 exec, exec, s[40:41]
.LBB6_20670:                            ;   in Loop: Header=BB6_20616 Depth=3
	s_or_b64 exec, exec, s[28:29]
	v_add_f32_e32 v13, v9, v11
	v_and_b32_e32 v9, 0x7f800000, v13
	v_mov_b32_e32 v10, v33
	v_cmp_ne_u64_e32 vcc, s[76:77], v[9:10]
	v_and_b32_e32 v8, 0x7fffff, v13
	v_mov_b32_e32 v9, v33
                                        ; implicit-def: $vgpr10
	s_and_saveexec_b64 s[28:29], vcc
	s_xor_b64 s[40:41], exec, s[28:29]
	s_cbranch_execz .LBB6_20688
; %bb.20671:                            ;   in Loop: Header=BB6_20616 Depth=3
	v_and_b32_e32 v10, 0x7fffffff, v13
	v_mov_b32_e32 v11, v33
	v_cmp_gt_u64_e32 vcc, s[78:79], v[10:11]
	v_and_b32_sdwa v11, v13, s97 dst_sel:DWORD dst_unused:UNUSED_PAD src0_sel:BYTE_3 src1_sel:DWORD
                                        ; implicit-def: $vgpr10
	s_and_saveexec_b64 s[28:29], vcc
	s_xor_b64 s[34:35], exec, s[28:29]
	s_cbranch_execz .LBB6_20685
; %bb.20672:                            ;   in Loop: Header=BB6_20616 Depth=3
	v_cmp_ne_u32_e32 vcc, 0, v13
	v_mov_b32_e32 v10, 0
	s_and_saveexec_b64 s[36:37], vcc
	s_cbranch_execz .LBB6_20684
; %bb.20673:                            ;   in Loop: Header=BB6_20616 Depth=3
	v_bfe_u32 v13, v13, 23, 8
	v_cmp_gt_u32_e64 s[28:29], s47, v13
	v_sub_u32_e32 v10, 0x71, v13
	v_cmp_eq_u32_e32 vcc, 0, v13
	v_cndmask_b32_e64 v10, 0, v10, s[28:29]
	v_mov_b32_e32 v14, 0x70
	v_cndmask_b32_e32 v14, v10, v14, vcc
	v_or_b32_e32 v15, 0x800000, v8
	v_add_u32_e32 v10, 21, v14
	v_cndmask_b32_e32 v8, v15, v8, vcc
	v_lshlrev_b64 v[15:16], v10, -1
	v_add_u32_e32 v10, 20, v14
	v_bfi_b32 v15, v15, 0, v8
	v_lshlrev_b64 v[17:18], v10, 1
	v_lshrrev_b64 v[8:9], v14, v[8:9]
	v_bfi_b32 v16, v16, 0, 0
	v_cmp_eq_u64_e64 s[28:29], v[15:16], v[17:18]
	v_mov_b32_e32 v10, v9
	v_mov_b32_e32 v9, v8
	s_and_saveexec_b64 s[38:39], s[28:29]
; %bb.20674:                            ;   in Loop: Header=BB6_20616 Depth=3
	v_bfe_u32 v9, v8, 21, 1
	v_add_co_u32_e64 v9, s[28:29], v8, v9
	v_add_co_u32_e64 v9, s[28:29], -1, v9
; %bb.20675:                            ;   in Loop: Header=BB6_20616 Depth=3
	s_or_b64 exec, exec, s[38:39]
	v_add_u32_e32 v10, 0xffffff81, v13
	v_mov_b32_e32 v13, 0xffffff82
	v_cndmask_b32_e32 v10, v10, v13, vcc
	v_lshrrev_b32_e32 v13, 23, v8
	v_add3_u32 v14, v14, v10, v13
	v_add_u32_e32 v10, 14, v14
	v_and_b32_e32 v9, 0x1fffff, v9
	v_add_u32_e32 v8, v9, v8
	v_mov_b32_e32 v9, v33
	v_cmp_ne_u32_e32 vcc, 0, v10
                                        ; implicit-def: $vgpr13
	s_and_saveexec_b64 s[28:29], vcc
	s_xor_b64 s[28:29], exec, s[28:29]
; %bb.20676:                            ;   in Loop: Header=BB6_20616 Depth=3
	v_cmp_lt_u64_e32 vcc, s[88:89], v[8:9]
	v_add_u32_e32 v13, 15, v14
	v_cndmask_b32_e32 v13, v10, v13, vcc
	v_cndmask_b32_e64 v10, 0, 1, vcc
	v_lshrrev_b64 v[8:9], v10, v[8:9]
; %bb.20677:                            ;   in Loop: Header=BB6_20616 Depth=3
	s_andn2_saveexec_b64 s[28:29], s[28:29]
; %bb.20678:                            ;   in Loop: Header=BB6_20616 Depth=3
	v_bfe_u32 v13, v8, 23, 1
; %bb.20679:                            ;   in Loop: Header=BB6_20616 Depth=3
	s_or_b64 exec, exec, s[28:29]
	v_lshrrev_b64 v[8:9], 21, v[8:9]
	v_cmp_gt_i32_e32 vcc, 32, v13
	v_cndmask_b32_e32 v9, 0, v9, vcc
	v_cndmask_b32_e32 v8, 3, v8, vcc
	v_cmp_ne_u64_e32 vcc, 0, v[8:9]
	v_cmp_ne_u32_e64 s[28:29], 0, v13
	s_or_b64 s[28:29], s[28:29], vcc
                                        ; implicit-def: $vgpr10
	s_and_saveexec_b64 s[62:63], s[28:29]
	s_xor_b64 s[28:29], exec, s[62:63]
; %bb.20680:                            ;   in Loop: Header=BB6_20616 Depth=3
	v_min_i32_e32 v9, 31, v13
	v_lshl_or_b32 v9, v9, 2, v11
	v_and_or_b32 v10, v8, 3, v9
                                        ; implicit-def: $vgpr11
; %bb.20681:                            ;   in Loop: Header=BB6_20616 Depth=3
	s_andn2_saveexec_b64 s[28:29], s[28:29]
; %bb.20682:                            ;   in Loop: Header=BB6_20616 Depth=3
	v_mov_b32_e32 v10, v11
; %bb.20683:                            ;   in Loop: Header=BB6_20616 Depth=3
	s_or_b64 exec, exec, s[28:29]
.LBB6_20684:                            ;   in Loop: Header=BB6_20616 Depth=3
	s_or_b64 exec, exec, s[36:37]
                                        ; implicit-def: $vgpr11
.LBB6_20685:                            ;   in Loop: Header=BB6_20616 Depth=3
	s_andn2_saveexec_b64 s[28:29], s[34:35]
; %bb.20686:                            ;   in Loop: Header=BB6_20616 Depth=3
	v_or_b32_e32 v10, 0x7b, v11
; %bb.20687:                            ;   in Loop: Header=BB6_20616 Depth=3
	s_or_b64 exec, exec, s[28:29]
                                        ; implicit-def: $vgpr13
                                        ; implicit-def: $vgpr8_vgpr9
.LBB6_20688:                            ;   in Loop: Header=BB6_20616 Depth=3
	s_andn2_saveexec_b64 s[28:29], s[40:41]
	s_cbranch_execz .LBB6_20694
; %bb.20689:                            ;   in Loop: Header=BB6_20616 Depth=3
	v_cmp_ne_u64_e32 vcc, 0, v[8:9]
                                        ; implicit-def: $vgpr10
	s_and_saveexec_b64 s[40:41], vcc
	s_xor_b64 s[40:41], exec, s[40:41]
; %bb.20690:                            ;   in Loop: Header=BB6_20616 Depth=3
	v_or_b32_sdwa v10, v13, s44 dst_sel:DWORD dst_unused:UNUSED_PAD src0_sel:BYTE_3 src1_sel:DWORD
                                        ; implicit-def: $vgpr13
; %bb.20691:                            ;   in Loop: Header=BB6_20616 Depth=3
	s_andn2_saveexec_b64 s[40:41], s[40:41]
; %bb.20692:                            ;   in Loop: Header=BB6_20616 Depth=3
	v_cmp_lt_i32_e32 vcc, -1, v13
	v_mov_b32_e32 v8, 0x7c
	v_cndmask_b32_e32 v10, -4, v8, vcc
; %bb.20693:                            ;   in Loop: Header=BB6_20616 Depth=3
	s_or_b64 exec, exec, s[40:41]
.LBB6_20694:                            ;   in Loop: Header=BB6_20616 Depth=3
	s_or_b64 exec, exec, s[28:29]
	s_mov_b64 s[36:37], 0
	s_mov_b64 s[34:35], -1
.LBB6_20695:                            ;   Parent Loop BB6_47 Depth=1
                                        ;     Parent Loop BB6_13101 Depth=2
                                        ;       Parent Loop BB6_20616 Depth=3
                                        ; =>      This Inner Loop Header: Depth=4
	s_cmp_eq_u32 s36, 1
	s_cselect_b64 vcc, -1, 0
	v_cndmask_b32_e32 v9, v1, v3, vcc
	v_cndmask_b32_e32 v8, v0, v2, vcc
	flat_store_byte v[8:9], v10 glc slc
	v_add_co_u32_e64 v8, s[28:29], 64, v8
	s_cmp_eq_u32 s36, 0
	v_addc_co_u32_e64 v9, s[28:29], 0, v9, s[28:29]
	s_cselect_b64 s[28:29], -1, 0
	s_and_b64 s[40:41], exec, s[34:35]
	s_mov_b64 s[36:37], 1
	s_mov_b64 s[34:35], 0
	v_cndmask_b32_e32 v3, v3, v9, vcc
	v_cndmask_b32_e32 v2, v2, v8, vcc
	v_cndmask_b32_e64 v1, v1, v9, s[28:29]
	v_cndmask_b32_e64 v0, v0, v8, s[28:29]
	s_mov_b64 vcc, s[40:41]
	s_cbranch_vccnz .LBB6_20695
; %bb.20696:                            ;   in Loop: Header=BB6_20616 Depth=3
	buffer_load_dword v8, off, s[0:3], s33 offset:468 ; 4-byte Folded Reload
	buffer_load_dword v9, off, s[0:3], s33 offset:472 ; 4-byte Folded Reload
	;; [unrolled: 1-line block ×3, first 2 shown]
	s_waitcnt vmcnt(0)
	v_add_co_u32_e32 v4, vcc, v4, v8
	v_addc_co_u32_e32 v5, vcc, v5, v9, vcc
	v_add_co_u32_e32 v6, vcc, v6, v8
	v_addc_co_u32_e32 v7, vcc, v7, v9, vcc
	buffer_load_dword v9, off, s[0:3], s33 offset:460 ; 4-byte Folded Reload
	buffer_load_dword v8, off, s[0:3], s33 offset:404 ; 4-byte Folded Reload
	s_waitcnt vmcnt(0)
	v_add_co_u32_e32 v0, vcc, v0, v9
	v_addc_co_u32_e32 v1, vcc, v1, v10, vcc
	v_sub_u32_e32 v12, v12, v8
	v_cmp_gt_i32_e32 vcc, 1, v12
	s_or_b64 s[30:31], vcc, s[30:31]
	v_add_co_u32_e32 v2, vcc, v2, v9
	v_addc_co_u32_e32 v3, vcc, v3, v10, vcc
	s_andn2_b64 exec, exec, s[30:31]
	s_cbranch_execnz .LBB6_20616
.LBB6_20697:                            ;   in Loop: Header=BB6_13101 Depth=2
	s_or_b64 exec, exec, s[42:43]
	buffer_load_dword v9, off, s[0:3], s33 offset:560 ; 4-byte Folded Reload
	buffer_load_dword v10, off, s[0:3], s33 offset:532 ; 4-byte Folded Reload
	;; [unrolled: 1-line block ×4, first 2 shown]
; %bb.28857:                            ;   in Loop: Header=BB6_13101 Depth=2
	s_getpc_b64 s[98:99]
.Lpost_getpc37:
	s_add_u32 s98, s98, (.LBB6_28216-.Lpost_getpc37)&4294967295
	s_addc_u32 s99, s99, (.LBB6_28216-.Lpost_getpc37)>>32
	s_setpc_b64 s[98:99]
.LBB6_20698:                            ;   in Loop: Header=BB6_13101 Depth=2
	s_mov_b64 s[40:41], -1
	s_and_saveexec_b64 s[28:29], s[24:25]
	s_cbranch_execz .LBB6_20700
; %bb.20699:                            ;   in Loop: Header=BB6_13101 Depth=2
	ds_read_b32 v0, v0 offset:720
	s_waitcnt lgkmcnt(0)
	v_and_b32_e32 v0, 15, v0
	v_cmp_eq_u32_e32 vcc, 0, v0
	s_orn2_b64 s[40:41], vcc, exec
.LBB6_20700:                            ;   in Loop: Header=BB6_13101 Depth=2
	s_or_b64 exec, exec, s[28:29]
	s_and_saveexec_b64 s[28:29], s[14:15]
	s_cbranch_execz .LBB6_20702
; %bb.20701:                            ;   in Loop: Header=BB6_13101 Depth=2
	ds_read_b32 v0, v0 offset:784
	s_waitcnt lgkmcnt(0)
	v_and_b32_e32 v0, 15, v0
	v_cmp_eq_u32_e32 vcc, 0, v0
	s_and_b64 s[42:43], s[40:41], vcc
	s_andn2_b64 s[40:41], s[40:41], exec
	s_and_b64 s[42:43], s[42:43], exec
	s_or_b64 s[40:41], s[40:41], s[42:43]
.LBB6_20702:                            ;   in Loop: Header=BB6_13101 Depth=2
	s_or_b64 exec, exec, s[28:29]
	buffer_load_dword v5, off, s[0:3], s33 offset:452 ; 4-byte Folded Reload
	buffer_load_dword v2, off, s[0:3], s33 offset:480 ; 4-byte Folded Reload
	s_xor_b64 s[40:41], s[40:41], -1
	v_cndmask_b32_e64 v0, 0, 1, s[40:41]
	s_mov_b64 s[28:29], -1
	s_waitcnt vmcnt(0)
	v_mov_b32_e32 v3, 0
	v_cmp_ne_u32_e32 vcc, 0, v0
	s_cbranch_vccz .LBB6_20704
; %bb.20703:                            ;   in Loop: Header=BB6_13101 Depth=2
	s_and_saveexec_b64 s[40:41], s[28:29]
	s_cbranch_execz .LBB6_28859
; %bb.28929:                            ;   in Loop: Header=BB6_13101 Depth=2
	s_getpc_b64 s[98:99]
.Lpost_getpc73:
	s_add_u32 s98, s98, (.LBB6_25819-.Lpost_getpc73)&4294967295
	s_addc_u32 s99, s99, (.LBB6_25819-.Lpost_getpc73)>>32
	s_setpc_b64 s[98:99]
.LBB6_28859:                            ;   in Loop: Header=BB6_13101 Depth=2
	s_getpc_b64 s[98:99]
.Lpost_getpc38:
	s_add_u32 s98, s98, (.LBB6_28215-.Lpost_getpc38)&4294967295
	s_addc_u32 s99, s99, (.LBB6_28215-.Lpost_getpc38)>>32
	s_setpc_b64 s[98:99]
.LBB6_20704:                            ;   in Loop: Header=BB6_13101 Depth=2
	buffer_load_dword v1, off, s[0:3], s33 offset:452 ; 4-byte Folded Reload
	s_waitcnt vmcnt(0)
	v_ashrrev_i32_e32 v0, 31, v1
	v_lshrrev_b32_e32 v0, 20, v0
	v_add_u32_e32 v0, v1, v0
	v_ashrrev_i32_e32 v1, 12, v0
	buffer_load_dword v0, off, s[0:3], s33 offset:524 ; 4-byte Folded Reload
	s_waitcnt vmcnt(0)
	v_sub_u32_e32 v4, v1, v0
	v_cmp_lt_i32_e32 vcc, 0, v4
	s_and_saveexec_b64 s[42:43], vcc
	s_cbranch_execz .LBB6_24812
; %bb.20705:                            ;   in Loop: Header=BB6_13101 Depth=2
	buffer_store_dword v1, off, s[0:3], s33 offset:448 ; 4-byte Folded Spill
	s_trap 2
	ds_read_b64 v[0:1], v0
	buffer_load_dword v2, off, s[0:3], s33 offset:680 ; 4-byte Folded Reload
	buffer_load_dword v5, off, s[0:3], s33 offset:516 ; 4-byte Folded Reload
	;; [unrolled: 1-line block ×3, first 2 shown]
	s_waitcnt lgkmcnt(0)
	v_readfirstlane_b32 s40, v0
	s_bfe_i32 s62, s40, 0x80000
	s_and_b32 s41, s40, 3
	s_bfe_u32 s28, s40, 0x50002
	s_and_b32 s29, s40, 0x7c
	s_cmpk_eq_i32 s29, 0x7c
	s_flbit_i32_b32 s29, s41
	s_waitcnt vmcnt(1)
	v_add_co_u32_e32 v26, vcc, v5, v2
	s_waitcnt vmcnt(0)
	v_addc_co_u32_e32 v27, vcc, 0, v6, vcc
	buffer_load_dword v5, off, s[0:3], s33 offset:508 ; 4-byte Folded Reload
	buffer_load_dword v6, off, s[0:3], s33 offset:512 ; 4-byte Folded Reload
	v_add_co_u32_e32 v58, vcc, v0, v2
	v_addc_co_u32_e32 v59, vcc, 0, v1, vcc
	s_waitcnt vmcnt(1)
	v_add_co_u32_e32 v60, vcc, v5, v2
	s_waitcnt vmcnt(0)
	v_addc_co_u32_e32 v61, vcc, 0, v6, vcc
	s_cselect_b64 vcc, -1, 0
	s_min_u32 s29, s29, 32
	s_sub_i32 s63, s29, 29
	v_lshlrev_b64 v[0:1], s63, v[0:1]
	s_sub_i32 s29, 30, s29
	s_cmp_eq_u32 s28, 0
	v_and_b32_e32 v0, 3, v0
	s_cselect_b32 s63, s29, s28
	v_mov_b32_e32 v1, s41
	s_cselect_b64 s[28:29], -1, 0
	v_cndmask_b32_e64 v0, v1, v0, s[28:29]
	s_lshl_b32 s28, s40, 24
	s_and_b32 s28, s28, 0x80000000
	s_lshl_b32 s29, s63, 23
	s_add_i32 s29, s29, s28
	v_lshlrev_b32_e32 v0, 21, v0
	s_cmp_eq_u32 s41, 0
	s_sext_i32_i8 s40, s40
	v_or_b32_e32 v0, s29, v0
	s_cselect_b64 s[28:29], -1, 0
	s_cmp_gt_i32 s40, -1
	s_cselect_b64 s[40:41], -1, 0
	v_mov_b32_e32 v1, 0xff800000
	v_mov_b32_e32 v2, 0x7f800000
	v_cndmask_b32_e64 v1, v1, v2, s[40:41]
	v_mov_b32_e32 v2, 0x7f800001
	v_add_u32_e32 v0, 0x38000000, v0
	v_cndmask_b32_e64 v1, v2, v1, s[28:29]
	v_cndmask_b32_e32 v0, v0, v1, vcc
	s_mov_b64 s[40:41], 0
	s_and_b32 s48, s62, 0xff
	buffer_store_dword v0, off, s[0:3], s33 offset:400 ; 4-byte Folded Spill
	s_branch .LBB6_20708
.LBB6_20706:                            ;   in Loop: Header=BB6_20708 Depth=3
	s_or_b64 exec, exec, s[30:31]
.LBB6_20707:                            ;   in Loop: Header=BB6_20708 Depth=3
	s_or_b64 exec, exec, s[28:29]
	v_lshl_or_b32 v0, v43, 8, v42
	v_lshl_or_b32 v1, v54, 8, v19
	v_lshlrev_b32_e32 v7, 16, v44
	v_lshlrev_b32_e32 v10, 24, v12
	;; [unrolled: 1-line block ×4, first 2 shown]
	v_or3_b32 v11, v0, v7, v10
	v_or3_b32 v10, v1, v12, v16
	v_lshl_or_b32 v0, v53, 8, v13
	v_lshlrev_b32_e32 v1, 16, v45
	v_lshlrev_b32_e32 v7, 24, v47
	v_or3_b32 v12, v0, v1, v7
	v_lshl_or_b32 v0, v56, 8, v48
	v_lshlrev_b32_e32 v1, 24, v14
	v_lshlrev_b32_e32 v7, 16, v57
	v_or3_b32 v13, v0, v7, v1
	buffer_load_dword v0, off, s[0:3], s33 offset:340 ; 4-byte Folded Reload
	buffer_load_dword v1, off, s[0:3], s33 offset:352 ; 4-byte Folded Reload
	v_lshlrev_b32_e32 v7, 24, v34
	v_lshl_or_b32 v6, v51, 8, v6
	v_lshlrev_b32_e32 v5, 24, v5
	s_waitcnt vmcnt(0)
	v_lshl_or_b32 v0, v1, 8, v0
	buffer_load_dword v1, off, s[0:3], s33 offset:364 ; 4-byte Folded Reload
	buffer_load_dword v14, off, s[0:3], s33 offset:356 ; 4-byte Folded Reload
	;; [unrolled: 1-line block ×3, first 2 shown]
	s_waitcnt vmcnt(2)
	v_lshlrev_b32_e32 v1, 16, v1
	v_or3_b32 v37, v0, v1, v7
	buffer_load_dword v0, off, s[0:3], s33 offset:376 ; 4-byte Folded Reload
	buffer_load_dword v1, off, s[0:3], s33 offset:388 ; 4-byte Folded Reload
	s_waitcnt vmcnt(2)
	v_lshl_or_b32 v14, v16, 8, v14
	v_lshlrev_b32_e32 v7, 24, v49
	s_waitcnt vmcnt(1)
	v_lshlrev_b32_e32 v0, 16, v0
	s_waitcnt vmcnt(0)
	v_lshlrev_b32_e32 v1, 24, v1
	v_or3_b32 v36, v14, v0, v1
	v_lshl_or_b32 v0, v30, 8, v38
	v_lshlrev_b32_e32 v1, 16, v39
	v_or3_b32 v38, v0, v1, v7
	v_lshlrev_b32_e32 v0, 24, v18
	v_lshlrev_b32_e32 v1, 16, v52
	v_or3_b32 v39, v6, v1, v0
	buffer_load_dword v0, off, s[0:3], s33 offset:188 ; 4-byte Folded Reload
	buffer_load_dword v1, off, s[0:3], s33 offset:212 ; 4-byte Folded Reload
	buffer_load_dword v6, off, s[0:3], s33 offset:288 ; 4-byte Folded Reload
	s_waitcnt vmcnt(1)
	v_lshl_or_b32 v0, v1, 8, v0
	buffer_load_dword v1, off, s[0:3], s33 offset:236 ; 4-byte Folded Reload
	s_waitcnt vmcnt(1)
	v_lshlrev_b32_e32 v6, 24, v6
	s_waitcnt vmcnt(0)
	v_lshlrev_b32_e32 v1, 16, v1
	v_or3_b32 v17, v0, v1, v6
	buffer_load_dword v0, off, s[0:3], s33 offset:84 ; 4-byte Folded Reload
	buffer_load_dword v1, off, s[0:3], s33 offset:92 ; 4-byte Folded Reload
	buffer_load_dword v6, off, s[0:3], s33 offset:132 ; 4-byte Folded Reload
	s_waitcnt vmcnt(1)
	v_lshl_or_b32 v0, v1, 8, v0
	buffer_load_dword v1, off, s[0:3], s33 offset:108 ; 4-byte Folded Reload
	s_waitcnt vmcnt(1)
	v_lshlrev_b32_e32 v6, 24, v6
	s_waitcnt vmcnt(0)
	;; [unrolled: 11-line block ×3, first 2 shown]
	v_lshlrev_b32_e32 v1, 16, v1
	v_or3_b32 v18, v0, v1, v6
	buffer_load_dword v0, off, s[0:3], s33 offset:384 ; 4-byte Folded Reload
	buffer_load_dword v1, off, s[0:3], s33 offset:380 ; 4-byte Folded Reload
	;; [unrolled: 1-line block ×3, first 2 shown]
	s_waitcnt vmcnt(2)
	v_lshlrev_b32_e32 v0, 24, v0
	s_waitcnt vmcnt(1)
	v_lshlrev_b32_e32 v1, 16, v1
	s_waitcnt vmcnt(0)
	v_lshl_or_b32 v6, v6, 8, v32
	v_or3_b32 v19, v6, v1, v0
	v_lshl_or_b32 v0, v50, 8, v31
	v_lshlrev_b32_e32 v1, 16, v40
	v_lshlrev_b32_e32 v6, 24, v8
	v_or3_b32 v7, v0, v1, v6
	v_lshl_or_b32 v0, v35, 8, v15
	v_lshlrev_b32_e32 v1, 16, v20
	v_lshlrev_b32_e32 v6, 24, v21
	v_or3_b32 v6, v0, v1, v6
	v_lshl_or_b32 v0, v28, 8, v9
	v_lshlrev_b32_e32 v1, 16, v46
	v_or3_b32 v8, v0, v1, v5
	v_lshlrev_b32_e32 v0, 24, v2
	v_lshlrev_b32_e32 v1, 16, v3
	v_lshl_or_b32 v2, v25, 8, v24
	v_or3_b32 v9, v2, v1, v0
	global_store_dwordx4 v[60:61], v[16:19], off glc slc
	global_store_dwordx4 v[60:61], v[36:39], off offset:1024 glc slc
	global_store_dwordx4 v[60:61], v[10:13], off offset:2048 glc slc
	;; [unrolled: 1-line block ×3, first 2 shown]
	buffer_load_dword v1, off, s[0:3], s33 offset:408 ; 4-byte Folded Reload
	buffer_load_dword v0, off, s[0:3], s33 offset:284 ; 4-byte Folded Reload
	s_waitcnt vmcnt(1)
	v_add_co_u32_e32 v26, vcc, v26, v1
	v_addc_co_u32_e32 v27, vcc, 0, v27, vcc
	v_add_co_u32_e32 v58, vcc, v58, v1
	v_addc_co_u32_e32 v59, vcc, 0, v59, vcc
	s_waitcnt vmcnt(0)
	v_sub_u32_e32 v4, v4, v0
	v_cmp_gt_i32_e32 vcc, 1, v4
	s_or_b64 s[40:41], vcc, s[40:41]
	v_add_co_u32_e32 v60, vcc, v60, v1
	v_addc_co_u32_e32 v61, vcc, 0, v61, vcc
	s_andn2_b64 exec, exec, s[40:41]
	s_cbranch_execz .LBB6_24811
.LBB6_20708:                            ;   Parent Loop BB6_47 Depth=1
                                        ;     Parent Loop BB6_13101 Depth=2
                                        ; =>    This Inner Loop Header: Depth=3
	s_cmpk_lt_i32 s48, 0x80
	s_cbranch_scc1 .LBB6_20712
; %bb.20709:                            ;   in Loop: Header=BB6_20708 Depth=3
	s_and_b32 s62, 0xffff, s48
	s_mov_b64 s[28:29], -1
	s_cmpk_eq_i32 s62, 0x80
	s_cbranch_scc0 .LBB6_20711
; %bb.20710:                            ;   in Loop: Header=BB6_20708 Depth=3
	s_mov_b64 s[28:29], 0
.LBB6_20711:                            ;   in Loop: Header=BB6_20708 Depth=3
	s_brev_b32 s62, 1
	s_branch .LBB6_20714
.LBB6_20712:                            ;   in Loop: Header=BB6_20708 Depth=3
	s_mov_b64 s[28:29], 0
	s_brev_b32 s62, 1
	s_cbranch_execz .LBB6_20714
; %bb.20713:                            ;   in Loop: Header=BB6_20708 Depth=3
	s_and_b32 s28, 0xffff, s48
	s_cmp_lg_u32 s28, 0
	s_mov_b32 s62, 0
	s_cselect_b64 s[28:29], -1, 0
.LBB6_20714:                            ;   in Loop: Header=BB6_20708 Depth=3
	s_andn2_b64 vcc, exec, s[28:29]
	v_mov_b32_e32 v12, s62
	s_cbranch_vccnz .LBB6_20716
; %bb.20715:                            ;   in Loop: Header=BB6_20708 Depth=3
	buffer_load_dword v12, off, s[0:3], s33 offset:400 ; 4-byte Folded Reload
.LBB6_20716:                            ;   in Loop: Header=BB6_20708 Depth=3
	global_load_dwordx4 v[8:11], v[26:27], off glc slc
	v_mov_b32_e32 v0, 0
	s_waitcnt vmcnt(0)
	v_cmp_ne_u16_sdwa s[62:63], v8, v33 src0_sel:BYTE_0 src1_sel:DWORD
	s_and_saveexec_b64 s[28:29], s[62:63]
	s_cbranch_execz .LBB6_20724
; %bb.20717:                            ;   in Loop: Header=BB6_20708 Depth=3
	v_cmp_ne_u16_sdwa s[62:63], sext(v8), s46 src0_sel:BYTE_0 src1_sel:DWORD
	v_bfrev_b32_e32 v0, 1
	s_and_saveexec_b64 s[30:31], s[62:63]
	s_cbranch_execz .LBB6_20723
; %bb.20718:                            ;   in Loop: Header=BB6_20708 Depth=3
	v_and_b32_e32 v0, 0x7c, v8
	v_and_b32_e32 v1, 3, v8
	v_cmp_ne_u32_e32 vcc, s86, v0
                                        ; implicit-def: $vgpr0
	s_and_saveexec_b64 s[62:63], vcc
	s_xor_b64 s[34:35], exec, s[62:63]
	s_cbranch_execz .LBB6_20720
; %bb.20719:                            ;   in Loop: Header=BB6_20708 Depth=3
	v_ffbh_u32_e32 v2, v1
	v_min_u32_e32 v5, 32, v2
	v_subrev_u32_e32 v2, 29, v5
	v_lshlrev_b64 v[2:3], v2, v[8:9]
	v_bfe_u32 v0, v8, 2, 5
	v_and_b32_e32 v2, 3, v2
	v_cmp_eq_u32_e32 vcc, 0, v0
	v_sub_u32_e32 v3, 30, v5
	v_cndmask_b32_e32 v1, v1, v2, vcc
	v_lshlrev_b32_e32 v2, 24, v8
	v_cndmask_b32_e32 v0, v0, v3, vcc
	v_and_b32_e32 v2, 0x80000000, v2
	v_lshl_add_u32 v0, v0, 23, v2
	v_lshl_or_b32 v0, v1, 21, v0
	v_add_u32_e32 v0, 0x38000000, v0
                                        ; implicit-def: $vgpr1
.LBB6_20720:                            ;   in Loop: Header=BB6_20708 Depth=3
	s_andn2_saveexec_b64 s[34:35], s[34:35]
; %bb.20721:                            ;   in Loop: Header=BB6_20708 Depth=3
	v_mov_b32_e32 v0, -1
	v_cmp_gt_i16_sdwa vcc, sext(v8), v0 src0_sel:BYTE_0 src1_sel:DWORD
	v_mov_b32_e32 v0, 0xff800000
	v_mov_b32_e32 v2, 0x7f800000
	v_cndmask_b32_e32 v0, v0, v2, vcc
	v_cmp_eq_u32_e32 vcc, 0, v1
	v_mov_b32_e32 v1, 0x7f800001
	v_cndmask_b32_e32 v0, v1, v0, vcc
; %bb.20722:                            ;   in Loop: Header=BB6_20708 Depth=3
	s_or_b64 exec, exec, s[34:35]
.LBB6_20723:                            ;   in Loop: Header=BB6_20708 Depth=3
	s_or_b64 exec, exec, s[30:31]
.LBB6_20724:                            ;   in Loop: Header=BB6_20708 Depth=3
	s_or_b64 exec, exec, s[28:29]
	v_mul_f32_e32 v2, v12, v0
	v_and_b32_e32 v5, 0x7f800000, v2
	v_mov_b32_e32 v6, v33
	v_cmp_ne_u64_e32 vcc, s[76:77], v[5:6]
	v_and_b32_e32 v0, 0x7fffff, v2
	v_mov_b32_e32 v1, v33
                                        ; implicit-def: $vgpr29
	s_and_saveexec_b64 s[28:29], vcc
	s_xor_b64 s[30:31], exec, s[28:29]
	s_cbranch_execz .LBB6_20738
; %bb.20725:                            ;   in Loop: Header=BB6_20708 Depth=3
	v_and_b32_e32 v5, 0x7fffffff, v2
	v_mov_b32_e32 v6, v33
	v_cmp_gt_u64_e32 vcc, s[78:79], v[5:6]
	v_and_b32_sdwa v3, v2, s97 dst_sel:DWORD dst_unused:UNUSED_PAD src0_sel:BYTE_3 src1_sel:DWORD
                                        ; implicit-def: $vgpr29
	s_and_saveexec_b64 s[28:29], vcc
	s_xor_b64 s[34:35], exec, s[28:29]
	s_cbranch_execz .LBB6_20735
; %bb.20726:                            ;   in Loop: Header=BB6_20708 Depth=3
	v_mov_b32_e32 v29, 0
	v_cmp_ne_u32_e32 vcc, 0, v2
	s_and_saveexec_b64 s[36:37], vcc
	s_cbranch_execz .LBB6_20734
; %bb.20727:                            ;   in Loop: Header=BB6_20708 Depth=3
	v_bfe_u32 v5, v2, 23, 8
	v_cmp_gt_u32_e64 s[28:29], s47, v5
	v_sub_u32_e32 v2, 0x71, v5
	v_cmp_eq_u32_e32 vcc, 0, v5
	v_cndmask_b32_e64 v2, 0, v2, s[28:29]
	v_mov_b32_e32 v6, 0x70
	v_cndmask_b32_e32 v6, v2, v6, vcc
	v_add_u32_e32 v2, 21, v6
	v_or_b32_e32 v7, 0x800000, v0
	v_lshlrev_b64 v[13:14], v2, -1
	v_cndmask_b32_e32 v0, v7, v0, vcc
	v_add_u32_e32 v2, 20, v6
	v_bfi_b32 v13, v13, 0, v0
	v_lshlrev_b64 v[15:16], v2, 1
	v_lshrrev_b64 v[0:1], v6, v[0:1]
	v_bfi_b32 v14, v14, 0, 0
	v_cmp_eq_u64_e64 s[28:29], v[13:14], v[15:16]
	v_mov_b32_e32 v2, v1
	v_mov_b32_e32 v1, v0
	s_and_saveexec_b64 s[38:39], s[28:29]
; %bb.20728:                            ;   in Loop: Header=BB6_20708 Depth=3
	v_bfe_u32 v1, v0, 21, 1
	v_add_co_u32_e64 v1, s[28:29], v0, v1
	v_add_co_u32_e64 v1, s[28:29], -1, v1
; %bb.20729:                            ;   in Loop: Header=BB6_20708 Depth=3
	s_or_b64 exec, exec, s[38:39]
	v_add_u32_e32 v2, 0xffffff81, v5
	v_mov_b32_e32 v5, 0xffffff82
	v_cndmask_b32_e32 v2, v2, v5, vcc
	v_lshrrev_b32_e32 v5, 23, v0
	v_add3_u32 v6, v6, v2, v5
	v_add_u32_e32 v5, 14, v6
	v_and_b32_e32 v1, 0x1fffff, v1
	v_add_u32_e32 v0, v1, v0
	v_mov_b32_e32 v1, v33
	v_cmp_ne_u32_e32 vcc, 0, v5
                                        ; implicit-def: $vgpr2
	s_and_saveexec_b64 s[28:29], vcc
	s_xor_b64 s[28:29], exec, s[28:29]
; %bb.20730:                            ;   in Loop: Header=BB6_20708 Depth=3
	v_cmp_lt_u64_e32 vcc, s[88:89], v[0:1]
	v_add_u32_e32 v2, 15, v6
	v_cndmask_b32_e32 v2, v5, v2, vcc
	v_cndmask_b32_e64 v5, 0, 1, vcc
	v_lshrrev_b64 v[0:1], v5, v[0:1]
; %bb.20731:                            ;   in Loop: Header=BB6_20708 Depth=3
	s_andn2_saveexec_b64 s[28:29], s[28:29]
; %bb.20732:                            ;   in Loop: Header=BB6_20708 Depth=3
	v_bfe_u32 v2, v0, 23, 1
; %bb.20733:                            ;   in Loop: Header=BB6_20708 Depth=3
	s_or_b64 exec, exec, s[28:29]
	v_lshrrev_b64 v[0:1], 21, v[0:1]
	v_cmp_gt_i32_e32 vcc, 32, v2
	v_cndmask_b32_e32 v1, 0, v1, vcc
	v_cndmask_b32_e32 v0, 3, v0, vcc
	v_cmp_eq_u64_e64 s[28:29], 0, v[0:1]
	v_min_i32_e32 v1, 31, v2
	v_lshlrev_b32_e32 v1, 2, v1
	v_cmp_eq_u32_e32 vcc, 0, v2
	v_and_b32_e32 v1, 0xfc, v1
	v_and_or_b32 v0, v0, 3, v1
	s_and_b64 s[28:29], vcc, s[28:29]
	v_cndmask_b32_e64 v0, v0, 0, s[28:29]
	v_or_b32_e32 v29, v0, v3
.LBB6_20734:                            ;   in Loop: Header=BB6_20708 Depth=3
	s_or_b64 exec, exec, s[36:37]
                                        ; implicit-def: $vgpr3
.LBB6_20735:                            ;   in Loop: Header=BB6_20708 Depth=3
	s_andn2_saveexec_b64 s[28:29], s[34:35]
; %bb.20736:                            ;   in Loop: Header=BB6_20708 Depth=3
	v_or_b32_e32 v29, 0x7b, v3
; %bb.20737:                            ;   in Loop: Header=BB6_20708 Depth=3
	s_or_b64 exec, exec, s[28:29]
                                        ; implicit-def: $vgpr2
                                        ; implicit-def: $vgpr0_vgpr1
.LBB6_20738:                            ;   in Loop: Header=BB6_20708 Depth=3
	s_andn2_saveexec_b64 s[28:29], s[30:31]
	s_cbranch_execz .LBB6_20744
; %bb.20739:                            ;   in Loop: Header=BB6_20708 Depth=3
	v_cmp_ne_u64_e32 vcc, 0, v[0:1]
                                        ; implicit-def: $vgpr29
	s_and_saveexec_b64 s[62:63], vcc
	s_xor_b64 vcc, exec, s[62:63]
; %bb.20740:                            ;   in Loop: Header=BB6_20708 Depth=3
	v_or_b32_sdwa v29, v2, s44 dst_sel:DWORD dst_unused:UNUSED_PAD src0_sel:BYTE_3 src1_sel:DWORD
                                        ; implicit-def: $vgpr2
; %bb.20741:                            ;   in Loop: Header=BB6_20708 Depth=3
	s_andn2_saveexec_b64 s[30:31], vcc
; %bb.20742:                            ;   in Loop: Header=BB6_20708 Depth=3
	v_cmp_lt_i32_e32 vcc, -1, v2
	v_bfrev_b32_e32 v0, 0.5
	v_mov_b32_e32 v1, 0x7c
	v_cndmask_b32_e32 v29, v0, v1, vcc
; %bb.20743:                            ;   in Loop: Header=BB6_20708 Depth=3
	s_or_b64 exec, exec, s[30:31]
.LBB6_20744:                            ;   in Loop: Header=BB6_20708 Depth=3
	s_or_b64 exec, exec, s[28:29]
	v_lshrrev_b16_e32 v0, 8, v8
	v_cmp_ne_u16_e32 vcc, 0, v0
	v_mov_b32_e32 v1, 0
	s_and_saveexec_b64 s[28:29], vcc
	s_cbranch_execz .LBB6_20752
; %bb.20745:                            ;   in Loop: Header=BB6_20708 Depth=3
	v_cmp_ne_u16_e32 vcc, s97, v0
	v_bfrev_b32_e32 v1, 1
	s_and_saveexec_b64 s[30:31], vcc
	s_cbranch_execz .LBB6_20751
; %bb.20746:                            ;   in Loop: Header=BB6_20708 Depth=3
	v_and_b32_e32 v1, 0x7c, v0
	v_and_b32_e32 v2, 3, v0
	v_cmp_ne_u32_e32 vcc, s86, v1
                                        ; implicit-def: $vgpr1
	s_and_saveexec_b64 s[62:63], vcc
	s_xor_b64 s[34:35], exec, s[62:63]
	s_cbranch_execz .LBB6_20748
; %bb.20747:                            ;   in Loop: Header=BB6_20708 Depth=3
	v_ffbh_u32_e32 v5, v2
	v_min_u32_e32 v5, 32, v5
	v_mov_b32_e32 v1, v33
	v_subrev_u32_e32 v6, 29, v5
	v_bfe_u32 v3, v0, 2, 5
	v_lshlrev_b64 v[0:1], v6, v[0:1]
	v_cmp_eq_u32_e32 vcc, 0, v3
	v_and_b32_e32 v0, 3, v0
	v_sub_u32_e32 v1, 30, v5
	v_cndmask_b32_e32 v0, v2, v0, vcc
	v_lshlrev_b32_e32 v2, 16, v8
	v_cndmask_b32_e32 v1, v3, v1, vcc
	v_and_b32_e32 v2, 0x80000000, v2
	v_lshl_add_u32 v1, v1, 23, v2
	v_lshl_or_b32 v0, v0, 21, v1
	v_add_u32_e32 v1, 0x38000000, v0
                                        ; implicit-def: $vgpr2
.LBB6_20748:                            ;   in Loop: Header=BB6_20708 Depth=3
	s_andn2_saveexec_b64 s[34:35], s[34:35]
; %bb.20749:                            ;   in Loop: Header=BB6_20708 Depth=3
	v_cmp_lt_i16_e32 vcc, -1, v8
	v_mov_b32_e32 v0, 0xff800000
	v_mov_b32_e32 v1, 0x7f800000
	v_cndmask_b32_e32 v0, v0, v1, vcc
	v_cmp_eq_u32_e32 vcc, 0, v2
	v_mov_b32_e32 v1, 0x7f800001
	v_cndmask_b32_e32 v1, v1, v0, vcc
; %bb.20750:                            ;   in Loop: Header=BB6_20708 Depth=3
	s_or_b64 exec, exec, s[34:35]
.LBB6_20751:                            ;   in Loop: Header=BB6_20708 Depth=3
	s_or_b64 exec, exec, s[30:31]
.LBB6_20752:                            ;   in Loop: Header=BB6_20708 Depth=3
	s_or_b64 exec, exec, s[28:29]
	v_mul_f32_e32 v2, v12, v1
	v_and_b32_e32 v5, 0x7f800000, v2
	v_mov_b32_e32 v6, v33
	v_cmp_ne_u64_e32 vcc, s[76:77], v[5:6]
	v_and_b32_e32 v0, 0x7fffff, v2
	v_mov_b32_e32 v1, v33
                                        ; implicit-def: $vgpr49
	s_and_saveexec_b64 s[28:29], vcc
	s_xor_b64 s[30:31], exec, s[28:29]
	s_cbranch_execz .LBB6_20766
; %bb.20753:                            ;   in Loop: Header=BB6_20708 Depth=3
	v_and_b32_e32 v5, 0x7fffffff, v2
	v_mov_b32_e32 v6, v33
	v_cmp_gt_u64_e32 vcc, s[78:79], v[5:6]
	v_and_b32_sdwa v3, v2, s97 dst_sel:DWORD dst_unused:UNUSED_PAD src0_sel:BYTE_3 src1_sel:DWORD
                                        ; implicit-def: $vgpr49
	s_and_saveexec_b64 s[28:29], vcc
	s_xor_b64 s[34:35], exec, s[28:29]
	s_cbranch_execz .LBB6_20763
; %bb.20754:                            ;   in Loop: Header=BB6_20708 Depth=3
	v_mov_b32_e32 v49, 0
	v_cmp_ne_u32_e32 vcc, 0, v2
	s_and_saveexec_b64 s[36:37], vcc
	s_cbranch_execz .LBB6_20762
; %bb.20755:                            ;   in Loop: Header=BB6_20708 Depth=3
	v_bfe_u32 v5, v2, 23, 8
	v_cmp_gt_u32_e64 s[28:29], s47, v5
	v_sub_u32_e32 v2, 0x71, v5
	v_cmp_eq_u32_e32 vcc, 0, v5
	v_cndmask_b32_e64 v2, 0, v2, s[28:29]
	v_mov_b32_e32 v6, 0x70
	v_cndmask_b32_e32 v6, v2, v6, vcc
	v_add_u32_e32 v2, 21, v6
	v_or_b32_e32 v7, 0x800000, v0
	v_lshlrev_b64 v[13:14], v2, -1
	v_cndmask_b32_e32 v0, v7, v0, vcc
	v_add_u32_e32 v2, 20, v6
	v_bfi_b32 v13, v13, 0, v0
	v_lshlrev_b64 v[15:16], v2, 1
	v_lshrrev_b64 v[0:1], v6, v[0:1]
	v_bfi_b32 v14, v14, 0, 0
	v_cmp_eq_u64_e64 s[28:29], v[13:14], v[15:16]
	v_mov_b32_e32 v2, v1
	v_mov_b32_e32 v1, v0
	s_and_saveexec_b64 s[38:39], s[28:29]
; %bb.20756:                            ;   in Loop: Header=BB6_20708 Depth=3
	v_bfe_u32 v1, v0, 21, 1
	v_add_co_u32_e64 v1, s[28:29], v0, v1
	v_add_co_u32_e64 v1, s[28:29], -1, v1
; %bb.20757:                            ;   in Loop: Header=BB6_20708 Depth=3
	s_or_b64 exec, exec, s[38:39]
	v_add_u32_e32 v2, 0xffffff81, v5
	v_mov_b32_e32 v5, 0xffffff82
	v_cndmask_b32_e32 v2, v2, v5, vcc
	v_lshrrev_b32_e32 v5, 23, v0
	v_add3_u32 v6, v6, v2, v5
	v_add_u32_e32 v5, 14, v6
	v_and_b32_e32 v1, 0x1fffff, v1
	v_add_u32_e32 v0, v1, v0
	v_mov_b32_e32 v1, v33
	v_cmp_ne_u32_e32 vcc, 0, v5
                                        ; implicit-def: $vgpr2
	s_and_saveexec_b64 s[28:29], vcc
	s_xor_b64 s[28:29], exec, s[28:29]
; %bb.20758:                            ;   in Loop: Header=BB6_20708 Depth=3
	v_cmp_lt_u64_e32 vcc, s[88:89], v[0:1]
	v_add_u32_e32 v2, 15, v6
	v_cndmask_b32_e32 v2, v5, v2, vcc
	v_cndmask_b32_e64 v5, 0, 1, vcc
	v_lshrrev_b64 v[0:1], v5, v[0:1]
; %bb.20759:                            ;   in Loop: Header=BB6_20708 Depth=3
	s_andn2_saveexec_b64 s[28:29], s[28:29]
; %bb.20760:                            ;   in Loop: Header=BB6_20708 Depth=3
	v_bfe_u32 v2, v0, 23, 1
; %bb.20761:                            ;   in Loop: Header=BB6_20708 Depth=3
	s_or_b64 exec, exec, s[28:29]
	v_lshrrev_b64 v[0:1], 21, v[0:1]
	v_cmp_gt_i32_e32 vcc, 32, v2
	v_cndmask_b32_e32 v1, 0, v1, vcc
	v_cndmask_b32_e32 v0, 3, v0, vcc
	v_cmp_eq_u64_e64 s[28:29], 0, v[0:1]
	v_min_i32_e32 v1, 31, v2
	v_lshlrev_b32_e32 v1, 2, v1
	v_cmp_eq_u32_e32 vcc, 0, v2
	v_and_b32_e32 v1, 0xfc, v1
	v_and_or_b32 v0, v0, 3, v1
	s_and_b64 s[28:29], vcc, s[28:29]
	v_cndmask_b32_e64 v0, v0, 0, s[28:29]
	v_or_b32_e32 v49, v0, v3
.LBB6_20762:                            ;   in Loop: Header=BB6_20708 Depth=3
	s_or_b64 exec, exec, s[36:37]
                                        ; implicit-def: $vgpr3
.LBB6_20763:                            ;   in Loop: Header=BB6_20708 Depth=3
	s_andn2_saveexec_b64 s[28:29], s[34:35]
; %bb.20764:                            ;   in Loop: Header=BB6_20708 Depth=3
	v_or_b32_e32 v49, 0x7b, v3
; %bb.20765:                            ;   in Loop: Header=BB6_20708 Depth=3
	s_or_b64 exec, exec, s[28:29]
                                        ; implicit-def: $vgpr2
                                        ; implicit-def: $vgpr0_vgpr1
.LBB6_20766:                            ;   in Loop: Header=BB6_20708 Depth=3
	s_andn2_saveexec_b64 s[28:29], s[30:31]
	s_cbranch_execz .LBB6_20772
; %bb.20767:                            ;   in Loop: Header=BB6_20708 Depth=3
	v_cmp_ne_u64_e32 vcc, 0, v[0:1]
                                        ; implicit-def: $vgpr49
	s_and_saveexec_b64 s[62:63], vcc
	s_xor_b64 vcc, exec, s[62:63]
; %bb.20768:                            ;   in Loop: Header=BB6_20708 Depth=3
	v_or_b32_sdwa v49, v2, s44 dst_sel:DWORD dst_unused:UNUSED_PAD src0_sel:BYTE_3 src1_sel:DWORD
                                        ; implicit-def: $vgpr2
; %bb.20769:                            ;   in Loop: Header=BB6_20708 Depth=3
	s_andn2_saveexec_b64 s[30:31], vcc
; %bb.20770:                            ;   in Loop: Header=BB6_20708 Depth=3
	v_cmp_lt_i32_e32 vcc, -1, v2
	v_bfrev_b32_e32 v0, 0.5
	v_mov_b32_e32 v1, 0x7c
	v_cndmask_b32_e32 v49, v0, v1, vcc
; %bb.20771:                            ;   in Loop: Header=BB6_20708 Depth=3
	s_or_b64 exec, exec, s[30:31]
.LBB6_20772:                            ;   in Loop: Header=BB6_20708 Depth=3
	s_or_b64 exec, exec, s[28:29]
	v_lshrrev_b32_e32 v0, 16, v8
	v_cmp_ne_u16_sdwa s[62:63], v0, v33 src0_sel:BYTE_0 src1_sel:DWORD
	v_mov_b32_e32 v1, 0
	s_and_saveexec_b64 s[28:29], s[62:63]
	s_cbranch_execz .LBB6_20780
; %bb.20773:                            ;   in Loop: Header=BB6_20708 Depth=3
	v_cmp_ne_u16_sdwa s[62:63], v0, s97 src0_sel:BYTE_0 src1_sel:DWORD
	v_bfrev_b32_e32 v1, 1
	s_and_saveexec_b64 s[30:31], s[62:63]
	s_cbranch_execz .LBB6_20779
; %bb.20774:                            ;   in Loop: Header=BB6_20708 Depth=3
	v_and_b32_e32 v1, 0x7c0000, v8
	v_bfe_u32 v2, v8, 16, 2
	v_cmp_ne_u32_e32 vcc, s45, v1
                                        ; implicit-def: $vgpr1
	s_and_saveexec_b64 s[62:63], vcc
	s_xor_b64 s[34:35], exec, s[62:63]
	s_cbranch_execz .LBB6_20776
; %bb.20775:                            ;   in Loop: Header=BB6_20708 Depth=3
	v_ffbh_u32_e32 v1, v2
	v_min_u32_e32 v5, 32, v1
	v_subrev_u32_e32 v1, 29, v5
	v_lshlrev_b64 v[0:1], v1, v[0:1]
	v_bfe_u32 v3, v8, 18, 5
	v_and_b32_e32 v0, 3, v0
	v_cmp_eq_u32_e32 vcc, 0, v3
	v_sub_u32_e32 v1, 30, v5
	v_cndmask_b32_e32 v0, v2, v0, vcc
	v_lshlrev_b32_e32 v2, 8, v8
	v_cndmask_b32_e32 v1, v3, v1, vcc
	v_and_b32_e32 v2, 0x80000000, v2
	v_lshl_add_u32 v1, v1, 23, v2
	v_lshl_or_b32 v0, v0, 21, v1
	v_add_u32_e32 v1, 0x38000000, v0
                                        ; implicit-def: $vgpr2
                                        ; implicit-def: $vgpr0
.LBB6_20776:                            ;   in Loop: Header=BB6_20708 Depth=3
	s_andn2_saveexec_b64 s[34:35], s[34:35]
; %bb.20777:                            ;   in Loop: Header=BB6_20708 Depth=3
	v_mov_b32_e32 v1, -1
	v_cmp_gt_i16_sdwa vcc, sext(v0), v1 src0_sel:BYTE_0 src1_sel:DWORD
	v_mov_b32_e32 v0, 0xff800000
	v_mov_b32_e32 v1, 0x7f800000
	v_cndmask_b32_e32 v0, v0, v1, vcc
	v_cmp_eq_u32_e32 vcc, 0, v2
	v_mov_b32_e32 v1, 0x7f800001
	v_cndmask_b32_e32 v1, v1, v0, vcc
; %bb.20778:                            ;   in Loop: Header=BB6_20708 Depth=3
	s_or_b64 exec, exec, s[34:35]
.LBB6_20779:                            ;   in Loop: Header=BB6_20708 Depth=3
	s_or_b64 exec, exec, s[30:31]
.LBB6_20780:                            ;   in Loop: Header=BB6_20708 Depth=3
	s_or_b64 exec, exec, s[28:29]
	v_mul_f32_e32 v2, v12, v1
	v_and_b32_e32 v5, 0x7f800000, v2
	v_mov_b32_e32 v6, v33
	v_cmp_ne_u64_e32 vcc, s[76:77], v[5:6]
	v_and_b32_e32 v0, 0x7fffff, v2
	v_mov_b32_e32 v1, v33
                                        ; implicit-def: $vgpr54
	s_and_saveexec_b64 s[28:29], vcc
	s_xor_b64 s[30:31], exec, s[28:29]
	s_cbranch_execz .LBB6_20794
; %bb.20781:                            ;   in Loop: Header=BB6_20708 Depth=3
	v_and_b32_e32 v5, 0x7fffffff, v2
	v_mov_b32_e32 v6, v33
	v_cmp_gt_u64_e32 vcc, s[78:79], v[5:6]
	v_and_b32_sdwa v3, v2, s97 dst_sel:DWORD dst_unused:UNUSED_PAD src0_sel:BYTE_3 src1_sel:DWORD
                                        ; implicit-def: $vgpr54
	s_and_saveexec_b64 s[28:29], vcc
	s_xor_b64 s[34:35], exec, s[28:29]
	s_cbranch_execz .LBB6_20791
; %bb.20782:                            ;   in Loop: Header=BB6_20708 Depth=3
	v_mov_b32_e32 v54, 0
	v_cmp_ne_u32_e32 vcc, 0, v2
	s_and_saveexec_b64 s[36:37], vcc
	s_cbranch_execz .LBB6_20790
; %bb.20783:                            ;   in Loop: Header=BB6_20708 Depth=3
	v_bfe_u32 v5, v2, 23, 8
	v_cmp_gt_u32_e64 s[28:29], s47, v5
	v_sub_u32_e32 v2, 0x71, v5
	v_cmp_eq_u32_e32 vcc, 0, v5
	v_cndmask_b32_e64 v2, 0, v2, s[28:29]
	v_mov_b32_e32 v6, 0x70
	v_cndmask_b32_e32 v6, v2, v6, vcc
	v_add_u32_e32 v2, 21, v6
	v_or_b32_e32 v7, 0x800000, v0
	v_lshlrev_b64 v[13:14], v2, -1
	v_cndmask_b32_e32 v0, v7, v0, vcc
	v_add_u32_e32 v2, 20, v6
	v_bfi_b32 v13, v13, 0, v0
	v_lshlrev_b64 v[15:16], v2, 1
	v_lshrrev_b64 v[0:1], v6, v[0:1]
	v_bfi_b32 v14, v14, 0, 0
	v_cmp_eq_u64_e64 s[28:29], v[13:14], v[15:16]
	v_mov_b32_e32 v2, v1
	v_mov_b32_e32 v1, v0
	s_and_saveexec_b64 s[38:39], s[28:29]
; %bb.20784:                            ;   in Loop: Header=BB6_20708 Depth=3
	v_bfe_u32 v1, v0, 21, 1
	v_add_co_u32_e64 v1, s[28:29], v0, v1
	v_add_co_u32_e64 v1, s[28:29], -1, v1
; %bb.20785:                            ;   in Loop: Header=BB6_20708 Depth=3
	s_or_b64 exec, exec, s[38:39]
	v_add_u32_e32 v2, 0xffffff81, v5
	v_mov_b32_e32 v5, 0xffffff82
	v_cndmask_b32_e32 v2, v2, v5, vcc
	v_lshrrev_b32_e32 v5, 23, v0
	v_add3_u32 v6, v6, v2, v5
	v_add_u32_e32 v5, 14, v6
	v_and_b32_e32 v1, 0x1fffff, v1
	v_add_u32_e32 v0, v1, v0
	v_mov_b32_e32 v1, v33
	v_cmp_ne_u32_e32 vcc, 0, v5
                                        ; implicit-def: $vgpr2
	s_and_saveexec_b64 s[28:29], vcc
	s_xor_b64 s[28:29], exec, s[28:29]
; %bb.20786:                            ;   in Loop: Header=BB6_20708 Depth=3
	v_cmp_lt_u64_e32 vcc, s[88:89], v[0:1]
	v_add_u32_e32 v2, 15, v6
	v_cndmask_b32_e32 v2, v5, v2, vcc
	v_cndmask_b32_e64 v5, 0, 1, vcc
	v_lshrrev_b64 v[0:1], v5, v[0:1]
; %bb.20787:                            ;   in Loop: Header=BB6_20708 Depth=3
	s_andn2_saveexec_b64 s[28:29], s[28:29]
; %bb.20788:                            ;   in Loop: Header=BB6_20708 Depth=3
	v_bfe_u32 v2, v0, 23, 1
; %bb.20789:                            ;   in Loop: Header=BB6_20708 Depth=3
	s_or_b64 exec, exec, s[28:29]
	v_lshrrev_b64 v[0:1], 21, v[0:1]
	v_cmp_gt_i32_e32 vcc, 32, v2
	v_cndmask_b32_e32 v1, 0, v1, vcc
	v_cndmask_b32_e32 v0, 3, v0, vcc
	v_cmp_eq_u64_e64 s[28:29], 0, v[0:1]
	v_min_i32_e32 v1, 31, v2
	v_lshlrev_b32_e32 v1, 2, v1
	v_cmp_eq_u32_e32 vcc, 0, v2
	v_and_b32_e32 v1, 0xfc, v1
	v_and_or_b32 v0, v0, 3, v1
	s_and_b64 s[28:29], vcc, s[28:29]
	v_cndmask_b32_e64 v0, v0, 0, s[28:29]
	v_or_b32_e32 v54, v0, v3
.LBB6_20790:                            ;   in Loop: Header=BB6_20708 Depth=3
	s_or_b64 exec, exec, s[36:37]
                                        ; implicit-def: $vgpr3
.LBB6_20791:                            ;   in Loop: Header=BB6_20708 Depth=3
	s_andn2_saveexec_b64 s[28:29], s[34:35]
; %bb.20792:                            ;   in Loop: Header=BB6_20708 Depth=3
	v_or_b32_e32 v54, 0x7b, v3
; %bb.20793:                            ;   in Loop: Header=BB6_20708 Depth=3
	s_or_b64 exec, exec, s[28:29]
                                        ; implicit-def: $vgpr2
                                        ; implicit-def: $vgpr0_vgpr1
.LBB6_20794:                            ;   in Loop: Header=BB6_20708 Depth=3
	s_andn2_saveexec_b64 s[28:29], s[30:31]
	s_cbranch_execz .LBB6_20800
; %bb.20795:                            ;   in Loop: Header=BB6_20708 Depth=3
	v_cmp_ne_u64_e32 vcc, 0, v[0:1]
                                        ; implicit-def: $vgpr54
	s_and_saveexec_b64 s[62:63], vcc
	s_xor_b64 vcc, exec, s[62:63]
; %bb.20796:                            ;   in Loop: Header=BB6_20708 Depth=3
	v_or_b32_sdwa v54, v2, s44 dst_sel:DWORD dst_unused:UNUSED_PAD src0_sel:BYTE_3 src1_sel:DWORD
                                        ; implicit-def: $vgpr2
; %bb.20797:                            ;   in Loop: Header=BB6_20708 Depth=3
	s_andn2_saveexec_b64 s[30:31], vcc
; %bb.20798:                            ;   in Loop: Header=BB6_20708 Depth=3
	v_cmp_lt_i32_e32 vcc, -1, v2
	v_bfrev_b32_e32 v0, 0.5
	v_mov_b32_e32 v1, 0x7c
	v_cndmask_b32_e32 v54, v0, v1, vcc
; %bb.20799:                            ;   in Loop: Header=BB6_20708 Depth=3
	s_or_b64 exec, exec, s[30:31]
.LBB6_20800:                            ;   in Loop: Header=BB6_20708 Depth=3
	s_or_b64 exec, exec, s[28:29]
	v_cmp_lt_u32_e32 vcc, s57, v8
	v_mov_b32_e32 v1, 0
	s_and_saveexec_b64 s[28:29], vcc
	s_cbranch_execz .LBB6_20808
; %bb.20801:                            ;   in Loop: Header=BB6_20708 Depth=3
	v_lshrrev_b32_e32 v0, 24, v8
	v_cmp_ne_u32_e32 vcc, s97, v0
	v_bfrev_b32_e32 v1, 1
	s_and_saveexec_b64 s[30:31], vcc
	s_cbranch_execz .LBB6_20807
; %bb.20802:                            ;   in Loop: Header=BB6_20708 Depth=3
	v_and_b32_e32 v1, 0x7c000000, v8
	v_bfe_u32 v2, v8, 24, 2
	v_cmp_ne_u32_e32 vcc, s68, v1
                                        ; implicit-def: $vgpr1
	s_and_saveexec_b64 s[62:63], vcc
	s_xor_b64 s[34:35], exec, s[62:63]
	s_cbranch_execz .LBB6_20804
; %bb.20803:                            ;   in Loop: Header=BB6_20708 Depth=3
	v_ffbh_u32_e32 v1, v2
	v_min_u32_e32 v5, 32, v1
	v_subrev_u32_e32 v1, 29, v5
	v_lshlrev_b64 v[0:1], v1, v[0:1]
	v_bfe_u32 v3, v8, 26, 5
	v_sub_u32_e32 v1, 30, v5
	v_and_b32_e32 v0, 3, v0
	v_cmp_eq_u32_e32 vcc, 0, v3
	v_cndmask_b32_e32 v1, v3, v1, vcc
	v_cndmask_b32_e32 v0, v2, v0, vcc
	v_and_b32_e32 v2, 0x80000000, v8
	v_lshl_add_u32 v1, v1, 23, v2
	v_lshl_or_b32 v0, v0, 21, v1
	v_add_u32_e32 v1, 0x38000000, v0
                                        ; implicit-def: $vgpr2
.LBB6_20804:                            ;   in Loop: Header=BB6_20708 Depth=3
	s_andn2_saveexec_b64 s[34:35], s[34:35]
; %bb.20805:                            ;   in Loop: Header=BB6_20708 Depth=3
	v_cmp_lt_i32_e32 vcc, -1, v8
	v_mov_b32_e32 v0, 0xff800000
	v_mov_b32_e32 v1, 0x7f800000
	v_cndmask_b32_e32 v0, v0, v1, vcc
	v_cmp_eq_u32_e32 vcc, 0, v2
	v_mov_b32_e32 v1, 0x7f800001
	v_cndmask_b32_e32 v1, v1, v0, vcc
; %bb.20806:                            ;   in Loop: Header=BB6_20708 Depth=3
	s_or_b64 exec, exec, s[34:35]
.LBB6_20807:                            ;   in Loop: Header=BB6_20708 Depth=3
	s_or_b64 exec, exec, s[30:31]
.LBB6_20808:                            ;   in Loop: Header=BB6_20708 Depth=3
	s_or_b64 exec, exec, s[28:29]
	v_mul_f32_e32 v2, v12, v1
	v_and_b32_e32 v5, 0x7f800000, v2
	v_mov_b32_e32 v6, v33
	v_cmp_ne_u64_e32 vcc, s[76:77], v[5:6]
	v_and_b32_e32 v0, 0x7fffff, v2
	v_mov_b32_e32 v1, v33
                                        ; implicit-def: $vgpr55
	s_and_saveexec_b64 s[28:29], vcc
	s_xor_b64 s[30:31], exec, s[28:29]
	s_cbranch_execz .LBB6_20822
; %bb.20809:                            ;   in Loop: Header=BB6_20708 Depth=3
	v_and_b32_e32 v5, 0x7fffffff, v2
	v_mov_b32_e32 v6, v33
	v_cmp_gt_u64_e32 vcc, s[78:79], v[5:6]
	v_and_b32_sdwa v3, v2, s97 dst_sel:DWORD dst_unused:UNUSED_PAD src0_sel:BYTE_3 src1_sel:DWORD
                                        ; implicit-def: $vgpr55
	s_and_saveexec_b64 s[28:29], vcc
	s_xor_b64 s[34:35], exec, s[28:29]
	s_cbranch_execz .LBB6_20819
; %bb.20810:                            ;   in Loop: Header=BB6_20708 Depth=3
	v_mov_b32_e32 v55, 0
	v_cmp_ne_u32_e32 vcc, 0, v2
	s_and_saveexec_b64 s[36:37], vcc
	s_cbranch_execz .LBB6_20818
; %bb.20811:                            ;   in Loop: Header=BB6_20708 Depth=3
	v_bfe_u32 v5, v2, 23, 8
	v_cmp_gt_u32_e64 s[28:29], s47, v5
	v_sub_u32_e32 v2, 0x71, v5
	v_cmp_eq_u32_e32 vcc, 0, v5
	v_cndmask_b32_e64 v2, 0, v2, s[28:29]
	v_mov_b32_e32 v6, 0x70
	v_cndmask_b32_e32 v6, v2, v6, vcc
	v_add_u32_e32 v2, 21, v6
	v_or_b32_e32 v7, 0x800000, v0
	v_lshlrev_b64 v[13:14], v2, -1
	v_cndmask_b32_e32 v0, v7, v0, vcc
	v_add_u32_e32 v2, 20, v6
	v_bfi_b32 v13, v13, 0, v0
	v_lshlrev_b64 v[15:16], v2, 1
	v_lshrrev_b64 v[0:1], v6, v[0:1]
	v_bfi_b32 v14, v14, 0, 0
	v_cmp_eq_u64_e64 s[28:29], v[13:14], v[15:16]
	v_mov_b32_e32 v2, v1
	v_mov_b32_e32 v1, v0
	s_and_saveexec_b64 s[38:39], s[28:29]
; %bb.20812:                            ;   in Loop: Header=BB6_20708 Depth=3
	v_bfe_u32 v1, v0, 21, 1
	v_add_co_u32_e64 v1, s[28:29], v0, v1
	v_add_co_u32_e64 v1, s[28:29], -1, v1
; %bb.20813:                            ;   in Loop: Header=BB6_20708 Depth=3
	s_or_b64 exec, exec, s[38:39]
	v_add_u32_e32 v2, 0xffffff81, v5
	v_mov_b32_e32 v5, 0xffffff82
	v_cndmask_b32_e32 v2, v2, v5, vcc
	v_lshrrev_b32_e32 v5, 23, v0
	v_add3_u32 v6, v6, v2, v5
	v_add_u32_e32 v5, 14, v6
	v_and_b32_e32 v1, 0x1fffff, v1
	v_add_u32_e32 v0, v1, v0
	v_mov_b32_e32 v1, v33
	v_cmp_ne_u32_e32 vcc, 0, v5
                                        ; implicit-def: $vgpr2
	s_and_saveexec_b64 s[28:29], vcc
	s_xor_b64 s[28:29], exec, s[28:29]
; %bb.20814:                            ;   in Loop: Header=BB6_20708 Depth=3
	v_cmp_lt_u64_e32 vcc, s[88:89], v[0:1]
	v_add_u32_e32 v2, 15, v6
	v_cndmask_b32_e32 v2, v5, v2, vcc
	v_cndmask_b32_e64 v5, 0, 1, vcc
	v_lshrrev_b64 v[0:1], v5, v[0:1]
; %bb.20815:                            ;   in Loop: Header=BB6_20708 Depth=3
	s_andn2_saveexec_b64 s[28:29], s[28:29]
; %bb.20816:                            ;   in Loop: Header=BB6_20708 Depth=3
	v_bfe_u32 v2, v0, 23, 1
; %bb.20817:                            ;   in Loop: Header=BB6_20708 Depth=3
	s_or_b64 exec, exec, s[28:29]
	v_lshrrev_b64 v[0:1], 21, v[0:1]
	v_cmp_gt_i32_e32 vcc, 32, v2
	v_cndmask_b32_e32 v1, 0, v1, vcc
	v_cndmask_b32_e32 v0, 3, v0, vcc
	v_cmp_eq_u64_e64 s[28:29], 0, v[0:1]
	v_min_i32_e32 v1, 31, v2
	v_lshlrev_b32_e32 v1, 2, v1
	v_cmp_eq_u32_e32 vcc, 0, v2
	v_and_b32_e32 v1, 0xfc, v1
	v_and_or_b32 v0, v0, 3, v1
	s_and_b64 s[28:29], vcc, s[28:29]
	v_cndmask_b32_e64 v0, v0, 0, s[28:29]
	v_or_b32_e32 v55, v0, v3
.LBB6_20818:                            ;   in Loop: Header=BB6_20708 Depth=3
	s_or_b64 exec, exec, s[36:37]
                                        ; implicit-def: $vgpr3
.LBB6_20819:                            ;   in Loop: Header=BB6_20708 Depth=3
	s_andn2_saveexec_b64 s[28:29], s[34:35]
; %bb.20820:                            ;   in Loop: Header=BB6_20708 Depth=3
	v_or_b32_e32 v55, 0x7b, v3
; %bb.20821:                            ;   in Loop: Header=BB6_20708 Depth=3
	s_or_b64 exec, exec, s[28:29]
                                        ; implicit-def: $vgpr2
                                        ; implicit-def: $vgpr0_vgpr1
.LBB6_20822:                            ;   in Loop: Header=BB6_20708 Depth=3
	s_andn2_saveexec_b64 s[28:29], s[30:31]
	s_cbranch_execz .LBB6_20828
; %bb.20823:                            ;   in Loop: Header=BB6_20708 Depth=3
	v_cmp_ne_u64_e32 vcc, 0, v[0:1]
                                        ; implicit-def: $vgpr55
	s_and_saveexec_b64 s[62:63], vcc
	s_xor_b64 vcc, exec, s[62:63]
; %bb.20824:                            ;   in Loop: Header=BB6_20708 Depth=3
	v_or_b32_sdwa v55, v2, s44 dst_sel:DWORD dst_unused:UNUSED_PAD src0_sel:BYTE_3 src1_sel:DWORD
                                        ; implicit-def: $vgpr2
; %bb.20825:                            ;   in Loop: Header=BB6_20708 Depth=3
	s_andn2_saveexec_b64 s[30:31], vcc
; %bb.20826:                            ;   in Loop: Header=BB6_20708 Depth=3
	v_cmp_lt_i32_e32 vcc, -1, v2
	v_bfrev_b32_e32 v0, 0.5
	v_mov_b32_e32 v1, 0x7c
	v_cndmask_b32_e32 v55, v0, v1, vcc
; %bb.20827:                            ;   in Loop: Header=BB6_20708 Depth=3
	s_or_b64 exec, exec, s[30:31]
.LBB6_20828:                            ;   in Loop: Header=BB6_20708 Depth=3
	s_or_b64 exec, exec, s[28:29]
	v_mov_b32_e32 v0, v9
	v_mov_b32_e32 v1, v33
	v_cmp_ne_u16_sdwa s[62:63], v9, v33 src0_sel:BYTE_0 src1_sel:DWORD
	v_mov_b32_e32 v2, 0
	s_and_saveexec_b64 s[28:29], s[62:63]
	s_cbranch_execz .LBB6_20836
; %bb.20829:                            ;   in Loop: Header=BB6_20708 Depth=3
	v_cmp_ne_u16_sdwa s[62:63], v9, s97 src0_sel:BYTE_0 src1_sel:DWORD
	v_bfrev_b32_e32 v2, 1
	s_and_saveexec_b64 s[30:31], s[62:63]
	s_cbranch_execz .LBB6_20835
; %bb.20830:                            ;   in Loop: Header=BB6_20708 Depth=3
	v_and_b32_e32 v2, 0x7c, v9
	v_and_b32_e32 v3, 3, v9
	v_cmp_ne_u32_e32 vcc, s86, v2
                                        ; implicit-def: $vgpr2
	s_and_saveexec_b64 s[62:63], vcc
	s_xor_b64 s[34:35], exec, s[62:63]
	s_cbranch_execz .LBB6_20832
; %bb.20831:                            ;   in Loop: Header=BB6_20708 Depth=3
	v_ffbh_u32_e32 v2, v3
	v_min_u32_e32 v6, 32, v2
	v_subrev_u32_e32 v2, 29, v6
	v_lshlrev_b64 v[1:2], v2, v[0:1]
	v_bfe_u32 v5, v9, 2, 5
	v_and_b32_e32 v1, 3, v1
	v_cmp_eq_u32_e32 vcc, 0, v5
	v_sub_u32_e32 v2, 30, v6
	v_cndmask_b32_e32 v1, v3, v1, vcc
	v_lshlrev_b32_e32 v3, 24, v9
	v_cndmask_b32_e32 v2, v5, v2, vcc
	v_and_b32_e32 v3, 0x80000000, v3
	v_lshl_add_u32 v2, v2, 23, v3
	v_lshl_or_b32 v1, v1, 21, v2
	v_add_u32_e32 v2, 0x38000000, v1
                                        ; implicit-def: $vgpr3
.LBB6_20832:                            ;   in Loop: Header=BB6_20708 Depth=3
	s_andn2_saveexec_b64 s[34:35], s[34:35]
; %bb.20833:                            ;   in Loop: Header=BB6_20708 Depth=3
	v_mov_b32_e32 v1, -1
	v_cmp_gt_i16_sdwa vcc, sext(v9), v1 src0_sel:BYTE_0 src1_sel:DWORD
	v_mov_b32_e32 v1, 0xff800000
	v_mov_b32_e32 v2, 0x7f800000
	v_cndmask_b32_e32 v1, v1, v2, vcc
	v_cmp_eq_u32_e32 vcc, 0, v3
	v_mov_b32_e32 v2, 0x7f800001
	v_cndmask_b32_e32 v2, v2, v1, vcc
; %bb.20834:                            ;   in Loop: Header=BB6_20708 Depth=3
	s_or_b64 exec, exec, s[34:35]
.LBB6_20835:                            ;   in Loop: Header=BB6_20708 Depth=3
	s_or_b64 exec, exec, s[30:31]
.LBB6_20836:                            ;   in Loop: Header=BB6_20708 Depth=3
	s_or_b64 exec, exec, s[28:29]
	v_mul_f32_e32 v3, v12, v2
	v_and_b32_e32 v5, 0x7f800000, v3
	v_mov_b32_e32 v6, v33
	v_cmp_ne_u64_e32 vcc, s[76:77], v[5:6]
	v_and_b32_e32 v1, 0x7fffff, v3
	v_mov_b32_e32 v2, v33
                                        ; implicit-def: $vgpr40
	s_and_saveexec_b64 s[28:29], vcc
	s_xor_b64 s[30:31], exec, s[28:29]
	s_cbranch_execz .LBB6_20850
; %bb.20837:                            ;   in Loop: Header=BB6_20708 Depth=3
	v_and_b32_e32 v5, 0x7fffffff, v3
	v_mov_b32_e32 v6, v33
	v_cmp_gt_u64_e32 vcc, s[78:79], v[5:6]
	v_and_b32_sdwa v5, v3, s97 dst_sel:DWORD dst_unused:UNUSED_PAD src0_sel:BYTE_3 src1_sel:DWORD
                                        ; implicit-def: $vgpr40
	s_and_saveexec_b64 s[28:29], vcc
	s_xor_b64 s[34:35], exec, s[28:29]
	s_cbranch_execz .LBB6_20847
; %bb.20838:                            ;   in Loop: Header=BB6_20708 Depth=3
	v_mov_b32_e32 v40, 0
	v_cmp_ne_u32_e32 vcc, 0, v3
	s_and_saveexec_b64 s[36:37], vcc
	s_cbranch_execz .LBB6_20846
; %bb.20839:                            ;   in Loop: Header=BB6_20708 Depth=3
	v_bfe_u32 v6, v3, 23, 8
	v_cmp_gt_u32_e64 s[28:29], s47, v6
	v_sub_u32_e32 v3, 0x71, v6
	v_cmp_eq_u32_e32 vcc, 0, v6
	v_cndmask_b32_e64 v3, 0, v3, s[28:29]
	v_mov_b32_e32 v7, 0x70
	v_cndmask_b32_e32 v7, v3, v7, vcc
	v_or_b32_e32 v13, 0x800000, v1
	v_add_u32_e32 v3, 21, v7
	v_cndmask_b32_e32 v1, v13, v1, vcc
	v_lshlrev_b64 v[13:14], v3, -1
	v_add_u32_e32 v3, 20, v7
	v_bfi_b32 v13, v13, 0, v1
	v_lshlrev_b64 v[15:16], v3, 1
	v_lshrrev_b64 v[1:2], v7, v[1:2]
	v_bfi_b32 v14, v14, 0, 0
	v_cmp_eq_u64_e64 s[28:29], v[13:14], v[15:16]
	v_mov_b32_e32 v3, v2
	v_mov_b32_e32 v2, v1
	s_and_saveexec_b64 s[38:39], s[28:29]
; %bb.20840:                            ;   in Loop: Header=BB6_20708 Depth=3
	v_bfe_u32 v2, v1, 21, 1
	v_add_co_u32_e64 v2, s[28:29], v1, v2
	v_add_co_u32_e64 v2, s[28:29], -1, v2
; %bb.20841:                            ;   in Loop: Header=BB6_20708 Depth=3
	s_or_b64 exec, exec, s[38:39]
	v_add_u32_e32 v3, 0xffffff81, v6
	v_mov_b32_e32 v6, 0xffffff82
	v_cndmask_b32_e32 v3, v3, v6, vcc
	v_lshrrev_b32_e32 v6, 23, v1
	v_add3_u32 v7, v7, v3, v6
	v_add_u32_e32 v6, 14, v7
	v_and_b32_e32 v2, 0x1fffff, v2
	v_add_u32_e32 v1, v2, v1
	v_mov_b32_e32 v2, v33
	v_cmp_ne_u32_e32 vcc, 0, v6
                                        ; implicit-def: $vgpr3
	s_and_saveexec_b64 s[28:29], vcc
	s_xor_b64 s[28:29], exec, s[28:29]
; %bb.20842:                            ;   in Loop: Header=BB6_20708 Depth=3
	v_cmp_lt_u64_e32 vcc, s[88:89], v[1:2]
	v_add_u32_e32 v3, 15, v7
	v_cndmask_b32_e32 v3, v6, v3, vcc
	v_cndmask_b32_e64 v6, 0, 1, vcc
	v_lshrrev_b64 v[1:2], v6, v[1:2]
; %bb.20843:                            ;   in Loop: Header=BB6_20708 Depth=3
	s_andn2_saveexec_b64 s[28:29], s[28:29]
; %bb.20844:                            ;   in Loop: Header=BB6_20708 Depth=3
	v_bfe_u32 v3, v1, 23, 1
; %bb.20845:                            ;   in Loop: Header=BB6_20708 Depth=3
	s_or_b64 exec, exec, s[28:29]
	v_lshrrev_b64 v[1:2], 21, v[1:2]
	v_cmp_gt_i32_e32 vcc, 32, v3
	v_cndmask_b32_e32 v2, 0, v2, vcc
	v_cndmask_b32_e32 v1, 3, v1, vcc
	v_cmp_eq_u64_e64 s[28:29], 0, v[1:2]
	v_min_i32_e32 v2, 31, v3
	v_lshlrev_b32_e32 v2, 2, v2
	v_cmp_eq_u32_e32 vcc, 0, v3
	v_and_b32_e32 v2, 0xfc, v2
	v_and_or_b32 v1, v1, 3, v2
	s_and_b64 s[28:29], vcc, s[28:29]
	v_cndmask_b32_e64 v1, v1, 0, s[28:29]
	v_or_b32_e32 v40, v1, v5
.LBB6_20846:                            ;   in Loop: Header=BB6_20708 Depth=3
	s_or_b64 exec, exec, s[36:37]
                                        ; implicit-def: $vgpr5
.LBB6_20847:                            ;   in Loop: Header=BB6_20708 Depth=3
	s_andn2_saveexec_b64 s[28:29], s[34:35]
; %bb.20848:                            ;   in Loop: Header=BB6_20708 Depth=3
	v_or_b32_e32 v40, 0x7b, v5
; %bb.20849:                            ;   in Loop: Header=BB6_20708 Depth=3
	s_or_b64 exec, exec, s[28:29]
                                        ; implicit-def: $vgpr3
                                        ; implicit-def: $vgpr1_vgpr2
.LBB6_20850:                            ;   in Loop: Header=BB6_20708 Depth=3
	s_andn2_saveexec_b64 s[28:29], s[30:31]
	s_cbranch_execz .LBB6_20856
; %bb.20851:                            ;   in Loop: Header=BB6_20708 Depth=3
	v_cmp_ne_u64_e32 vcc, 0, v[1:2]
                                        ; implicit-def: $vgpr40
	s_and_saveexec_b64 s[62:63], vcc
	s_xor_b64 vcc, exec, s[62:63]
; %bb.20852:                            ;   in Loop: Header=BB6_20708 Depth=3
	v_or_b32_sdwa v40, v3, s44 dst_sel:DWORD dst_unused:UNUSED_PAD src0_sel:BYTE_3 src1_sel:DWORD
                                        ; implicit-def: $vgpr3
; %bb.20853:                            ;   in Loop: Header=BB6_20708 Depth=3
	s_andn2_saveexec_b64 s[30:31], vcc
; %bb.20854:                            ;   in Loop: Header=BB6_20708 Depth=3
	v_cmp_lt_i32_e32 vcc, -1, v3
	v_bfrev_b32_e32 v1, 0.5
	v_mov_b32_e32 v2, 0x7c
	v_cndmask_b32_e32 v40, v1, v2, vcc
; %bb.20855:                            ;   in Loop: Header=BB6_20708 Depth=3
	s_or_b64 exec, exec, s[30:31]
.LBB6_20856:                            ;   in Loop: Header=BB6_20708 Depth=3
	s_or_b64 exec, exec, s[28:29]
	v_lshrrev_b16_e32 v1, 8, v0
	v_cmp_ne_u16_e32 vcc, 0, v1
	v_mov_b32_e32 v2, 0
	s_and_saveexec_b64 s[28:29], vcc
	s_cbranch_execz .LBB6_20864
; %bb.20857:                            ;   in Loop: Header=BB6_20708 Depth=3
	v_cmp_ne_u16_e32 vcc, s97, v1
	v_bfrev_b32_e32 v2, 1
	s_and_saveexec_b64 s[30:31], vcc
	s_cbranch_execz .LBB6_20863
; %bb.20858:                            ;   in Loop: Header=BB6_20708 Depth=3
	v_and_b32_e32 v2, 0x7c, v1
	v_and_b32_e32 v3, 3, v1
	v_cmp_ne_u32_e32 vcc, s86, v2
                                        ; implicit-def: $vgpr2
	s_and_saveexec_b64 s[62:63], vcc
	s_xor_b64 s[34:35], exec, s[62:63]
	s_cbranch_execz .LBB6_20860
; %bb.20859:                            ;   in Loop: Header=BB6_20708 Depth=3
	v_ffbh_u32_e32 v6, v3
	v_min_u32_e32 v6, 32, v6
	v_mov_b32_e32 v2, v33
	v_subrev_u32_e32 v7, 29, v6
	v_bfe_u32 v5, v1, 2, 5
	v_lshlrev_b64 v[1:2], v7, v[1:2]
	v_sub_u32_e32 v2, 30, v6
	v_cmp_eq_u32_e32 vcc, 0, v5
	v_lshlrev_b32_e32 v0, 16, v0
	v_and_b32_e32 v1, 3, v1
	v_cndmask_b32_e32 v2, v5, v2, vcc
	v_and_b32_e32 v0, 0x80000000, v0
	v_cndmask_b32_e32 v1, v3, v1, vcc
	v_lshl_add_u32 v0, v2, 23, v0
	v_lshl_or_b32 v0, v1, 21, v0
	v_add_u32_e32 v2, 0x38000000, v0
                                        ; implicit-def: $vgpr3
                                        ; implicit-def: $vgpr0_vgpr1
.LBB6_20860:                            ;   in Loop: Header=BB6_20708 Depth=3
	s_andn2_saveexec_b64 s[34:35], s[34:35]
; %bb.20861:                            ;   in Loop: Header=BB6_20708 Depth=3
	v_cmp_lt_i16_e32 vcc, -1, v0
	v_mov_b32_e32 v0, 0xff800000
	v_mov_b32_e32 v1, 0x7f800000
	v_cndmask_b32_e32 v0, v0, v1, vcc
	v_cmp_eq_u32_e32 vcc, 0, v3
	v_mov_b32_e32 v1, 0x7f800001
	v_cndmask_b32_e32 v2, v1, v0, vcc
; %bb.20862:                            ;   in Loop: Header=BB6_20708 Depth=3
	s_or_b64 exec, exec, s[34:35]
.LBB6_20863:                            ;   in Loop: Header=BB6_20708 Depth=3
	s_or_b64 exec, exec, s[30:31]
.LBB6_20864:                            ;   in Loop: Header=BB6_20708 Depth=3
	s_or_b64 exec, exec, s[28:29]
	v_mul_f32_e32 v2, v12, v2
	v_and_b32_e32 v5, 0x7f800000, v2
	v_mov_b32_e32 v6, v33
	v_cmp_ne_u64_e32 vcc, s[76:77], v[5:6]
	v_and_b32_e32 v0, 0x7fffff, v2
	v_mov_b32_e32 v1, v33
                                        ; implicit-def: $vgpr36
	s_and_saveexec_b64 s[28:29], vcc
	s_xor_b64 s[30:31], exec, s[28:29]
	s_cbranch_execz .LBB6_20878
; %bb.20865:                            ;   in Loop: Header=BB6_20708 Depth=3
	v_and_b32_e32 v5, 0x7fffffff, v2
	v_mov_b32_e32 v6, v33
	v_cmp_gt_u64_e32 vcc, s[78:79], v[5:6]
	v_and_b32_sdwa v3, v2, s97 dst_sel:DWORD dst_unused:UNUSED_PAD src0_sel:BYTE_3 src1_sel:DWORD
                                        ; implicit-def: $vgpr36
	s_and_saveexec_b64 s[28:29], vcc
	s_xor_b64 s[34:35], exec, s[28:29]
	s_cbranch_execz .LBB6_20875
; %bb.20866:                            ;   in Loop: Header=BB6_20708 Depth=3
	v_mov_b32_e32 v36, 0
	v_cmp_ne_u32_e32 vcc, 0, v2
	s_and_saveexec_b64 s[36:37], vcc
	s_cbranch_execz .LBB6_20874
; %bb.20867:                            ;   in Loop: Header=BB6_20708 Depth=3
	v_bfe_u32 v5, v2, 23, 8
	v_cmp_gt_u32_e64 s[28:29], s47, v5
	v_sub_u32_e32 v2, 0x71, v5
	v_cmp_eq_u32_e32 vcc, 0, v5
	v_cndmask_b32_e64 v2, 0, v2, s[28:29]
	v_mov_b32_e32 v6, 0x70
	v_cndmask_b32_e32 v6, v2, v6, vcc
	v_add_u32_e32 v2, 21, v6
	v_or_b32_e32 v7, 0x800000, v0
	v_lshlrev_b64 v[13:14], v2, -1
	v_cndmask_b32_e32 v0, v7, v0, vcc
	v_add_u32_e32 v2, 20, v6
	v_bfi_b32 v13, v13, 0, v0
	v_lshlrev_b64 v[15:16], v2, 1
	v_lshrrev_b64 v[0:1], v6, v[0:1]
	v_bfi_b32 v14, v14, 0, 0
	v_cmp_eq_u64_e64 s[28:29], v[13:14], v[15:16]
	v_mov_b32_e32 v2, v1
	v_mov_b32_e32 v1, v0
	s_and_saveexec_b64 s[38:39], s[28:29]
; %bb.20868:                            ;   in Loop: Header=BB6_20708 Depth=3
	v_bfe_u32 v1, v0, 21, 1
	v_add_co_u32_e64 v1, s[28:29], v0, v1
	v_add_co_u32_e64 v1, s[28:29], -1, v1
; %bb.20869:                            ;   in Loop: Header=BB6_20708 Depth=3
	s_or_b64 exec, exec, s[38:39]
	v_add_u32_e32 v2, 0xffffff81, v5
	v_mov_b32_e32 v5, 0xffffff82
	v_cndmask_b32_e32 v2, v2, v5, vcc
	v_lshrrev_b32_e32 v5, 23, v0
	v_add3_u32 v6, v6, v2, v5
	v_add_u32_e32 v5, 14, v6
	v_and_b32_e32 v1, 0x1fffff, v1
	v_add_u32_e32 v0, v1, v0
	v_mov_b32_e32 v1, v33
	v_cmp_ne_u32_e32 vcc, 0, v5
                                        ; implicit-def: $vgpr2
	s_and_saveexec_b64 s[28:29], vcc
	s_xor_b64 s[28:29], exec, s[28:29]
; %bb.20870:                            ;   in Loop: Header=BB6_20708 Depth=3
	v_cmp_lt_u64_e32 vcc, s[88:89], v[0:1]
	v_add_u32_e32 v2, 15, v6
	v_cndmask_b32_e32 v2, v5, v2, vcc
	v_cndmask_b32_e64 v5, 0, 1, vcc
	v_lshrrev_b64 v[0:1], v5, v[0:1]
; %bb.20871:                            ;   in Loop: Header=BB6_20708 Depth=3
	s_andn2_saveexec_b64 s[28:29], s[28:29]
; %bb.20872:                            ;   in Loop: Header=BB6_20708 Depth=3
	v_bfe_u32 v2, v0, 23, 1
; %bb.20873:                            ;   in Loop: Header=BB6_20708 Depth=3
	s_or_b64 exec, exec, s[28:29]
	v_lshrrev_b64 v[0:1], 21, v[0:1]
	v_cmp_gt_i32_e32 vcc, 32, v2
	v_cndmask_b32_e32 v1, 0, v1, vcc
	v_cndmask_b32_e32 v0, 3, v0, vcc
	v_cmp_eq_u64_e64 s[28:29], 0, v[0:1]
	v_min_i32_e32 v1, 31, v2
	v_lshlrev_b32_e32 v1, 2, v1
	v_cmp_eq_u32_e32 vcc, 0, v2
	v_and_b32_e32 v1, 0xfc, v1
	v_and_or_b32 v0, v0, 3, v1
	s_and_b64 s[28:29], vcc, s[28:29]
	v_cndmask_b32_e64 v0, v0, 0, s[28:29]
	v_or_b32_e32 v36, v0, v3
.LBB6_20874:                            ;   in Loop: Header=BB6_20708 Depth=3
	s_or_b64 exec, exec, s[36:37]
                                        ; implicit-def: $vgpr3
.LBB6_20875:                            ;   in Loop: Header=BB6_20708 Depth=3
	s_andn2_saveexec_b64 s[28:29], s[34:35]
; %bb.20876:                            ;   in Loop: Header=BB6_20708 Depth=3
	v_or_b32_e32 v36, 0x7b, v3
; %bb.20877:                            ;   in Loop: Header=BB6_20708 Depth=3
	s_or_b64 exec, exec, s[28:29]
                                        ; implicit-def: $vgpr2
                                        ; implicit-def: $vgpr0_vgpr1
.LBB6_20878:                            ;   in Loop: Header=BB6_20708 Depth=3
	s_andn2_saveexec_b64 s[28:29], s[30:31]
	s_cbranch_execz .LBB6_20884
; %bb.20879:                            ;   in Loop: Header=BB6_20708 Depth=3
	v_cmp_ne_u64_e32 vcc, 0, v[0:1]
                                        ; implicit-def: $vgpr36
	s_and_saveexec_b64 s[62:63], vcc
	s_xor_b64 vcc, exec, s[62:63]
; %bb.20880:                            ;   in Loop: Header=BB6_20708 Depth=3
	v_or_b32_sdwa v36, v2, s44 dst_sel:DWORD dst_unused:UNUSED_PAD src0_sel:BYTE_3 src1_sel:DWORD
                                        ; implicit-def: $vgpr2
; %bb.20881:                            ;   in Loop: Header=BB6_20708 Depth=3
	s_andn2_saveexec_b64 s[30:31], vcc
; %bb.20882:                            ;   in Loop: Header=BB6_20708 Depth=3
	v_cmp_lt_i32_e32 vcc, -1, v2
	v_bfrev_b32_e32 v0, 0.5
	v_mov_b32_e32 v1, 0x7c
	v_cndmask_b32_e32 v36, v0, v1, vcc
; %bb.20883:                            ;   in Loop: Header=BB6_20708 Depth=3
	s_or_b64 exec, exec, s[30:31]
.LBB6_20884:                            ;   in Loop: Header=BB6_20708 Depth=3
	s_or_b64 exec, exec, s[28:29]
	v_lshrrev_b32_e32 v0, 16, v9
	v_cmp_ne_u16_sdwa s[62:63], v0, v33 src0_sel:BYTE_0 src1_sel:DWORD
	v_mov_b32_e32 v1, 0
	s_and_saveexec_b64 s[28:29], s[62:63]
	s_cbranch_execz .LBB6_20892
; %bb.20885:                            ;   in Loop: Header=BB6_20708 Depth=3
	v_cmp_ne_u16_sdwa s[62:63], v0, s97 src0_sel:BYTE_0 src1_sel:DWORD
	v_bfrev_b32_e32 v1, 1
	s_and_saveexec_b64 s[30:31], s[62:63]
	s_cbranch_execz .LBB6_20891
; %bb.20886:                            ;   in Loop: Header=BB6_20708 Depth=3
	v_and_b32_e32 v1, 0x7c0000, v9
	v_bfe_u32 v2, v9, 16, 2
	v_cmp_ne_u32_e32 vcc, s45, v1
                                        ; implicit-def: $vgpr1
	s_and_saveexec_b64 s[62:63], vcc
	s_xor_b64 s[34:35], exec, s[62:63]
	s_cbranch_execz .LBB6_20888
; %bb.20887:                            ;   in Loop: Header=BB6_20708 Depth=3
	v_ffbh_u32_e32 v1, v2
	v_min_u32_e32 v5, 32, v1
	v_subrev_u32_e32 v1, 29, v5
	v_lshlrev_b64 v[0:1], v1, v[0:1]
	v_bfe_u32 v3, v9, 18, 5
	v_and_b32_e32 v0, 3, v0
	v_cmp_eq_u32_e32 vcc, 0, v3
	v_sub_u32_e32 v1, 30, v5
	v_cndmask_b32_e32 v0, v2, v0, vcc
	v_lshlrev_b32_e32 v2, 8, v9
	v_cndmask_b32_e32 v1, v3, v1, vcc
	v_and_b32_e32 v2, 0x80000000, v2
	v_lshl_add_u32 v1, v1, 23, v2
	v_lshl_or_b32 v0, v0, 21, v1
	v_add_u32_e32 v1, 0x38000000, v0
                                        ; implicit-def: $vgpr2
                                        ; implicit-def: $vgpr0
.LBB6_20888:                            ;   in Loop: Header=BB6_20708 Depth=3
	s_andn2_saveexec_b64 s[34:35], s[34:35]
; %bb.20889:                            ;   in Loop: Header=BB6_20708 Depth=3
	v_mov_b32_e32 v1, -1
	v_cmp_gt_i16_sdwa vcc, sext(v0), v1 src0_sel:BYTE_0 src1_sel:DWORD
	v_mov_b32_e32 v0, 0xff800000
	v_mov_b32_e32 v1, 0x7f800000
	v_cndmask_b32_e32 v0, v0, v1, vcc
	v_cmp_eq_u32_e32 vcc, 0, v2
	v_mov_b32_e32 v1, 0x7f800001
	v_cndmask_b32_e32 v1, v1, v0, vcc
; %bb.20890:                            ;   in Loop: Header=BB6_20708 Depth=3
	s_or_b64 exec, exec, s[34:35]
.LBB6_20891:                            ;   in Loop: Header=BB6_20708 Depth=3
	s_or_b64 exec, exec, s[30:31]
.LBB6_20892:                            ;   in Loop: Header=BB6_20708 Depth=3
	s_or_b64 exec, exec, s[28:29]
	v_mul_f32_e32 v2, v12, v1
	v_and_b32_e32 v5, 0x7f800000, v2
	v_mov_b32_e32 v6, v33
	v_cmp_ne_u64_e32 vcc, s[76:77], v[5:6]
	v_and_b32_e32 v0, 0x7fffff, v2
	v_mov_b32_e32 v1, v33
                                        ; implicit-def: $vgpr39
	s_and_saveexec_b64 s[28:29], vcc
	s_xor_b64 s[30:31], exec, s[28:29]
	s_cbranch_execz .LBB6_20906
; %bb.20893:                            ;   in Loop: Header=BB6_20708 Depth=3
	v_and_b32_e32 v5, 0x7fffffff, v2
	v_mov_b32_e32 v6, v33
	v_cmp_gt_u64_e32 vcc, s[78:79], v[5:6]
	v_and_b32_sdwa v3, v2, s97 dst_sel:DWORD dst_unused:UNUSED_PAD src0_sel:BYTE_3 src1_sel:DWORD
                                        ; implicit-def: $vgpr39
	s_and_saveexec_b64 s[28:29], vcc
	s_xor_b64 s[34:35], exec, s[28:29]
	s_cbranch_execz .LBB6_20903
; %bb.20894:                            ;   in Loop: Header=BB6_20708 Depth=3
	v_mov_b32_e32 v39, 0
	v_cmp_ne_u32_e32 vcc, 0, v2
	s_and_saveexec_b64 s[36:37], vcc
	s_cbranch_execz .LBB6_20902
; %bb.20895:                            ;   in Loop: Header=BB6_20708 Depth=3
	v_bfe_u32 v5, v2, 23, 8
	v_cmp_gt_u32_e64 s[28:29], s47, v5
	v_sub_u32_e32 v2, 0x71, v5
	v_cmp_eq_u32_e32 vcc, 0, v5
	v_cndmask_b32_e64 v2, 0, v2, s[28:29]
	v_mov_b32_e32 v6, 0x70
	v_cndmask_b32_e32 v6, v2, v6, vcc
	v_add_u32_e32 v2, 21, v6
	v_or_b32_e32 v7, 0x800000, v0
	v_lshlrev_b64 v[13:14], v2, -1
	v_cndmask_b32_e32 v0, v7, v0, vcc
	v_add_u32_e32 v2, 20, v6
	v_bfi_b32 v13, v13, 0, v0
	v_lshlrev_b64 v[15:16], v2, 1
	v_lshrrev_b64 v[0:1], v6, v[0:1]
	v_bfi_b32 v14, v14, 0, 0
	v_cmp_eq_u64_e64 s[28:29], v[13:14], v[15:16]
	v_mov_b32_e32 v2, v1
	v_mov_b32_e32 v1, v0
	s_and_saveexec_b64 s[38:39], s[28:29]
; %bb.20896:                            ;   in Loop: Header=BB6_20708 Depth=3
	v_bfe_u32 v1, v0, 21, 1
	v_add_co_u32_e64 v1, s[28:29], v0, v1
	v_add_co_u32_e64 v1, s[28:29], -1, v1
; %bb.20897:                            ;   in Loop: Header=BB6_20708 Depth=3
	s_or_b64 exec, exec, s[38:39]
	v_add_u32_e32 v2, 0xffffff81, v5
	v_mov_b32_e32 v5, 0xffffff82
	v_cndmask_b32_e32 v2, v2, v5, vcc
	v_lshrrev_b32_e32 v5, 23, v0
	v_add3_u32 v6, v6, v2, v5
	v_add_u32_e32 v5, 14, v6
	v_and_b32_e32 v1, 0x1fffff, v1
	v_add_u32_e32 v0, v1, v0
	v_mov_b32_e32 v1, v33
	v_cmp_ne_u32_e32 vcc, 0, v5
                                        ; implicit-def: $vgpr2
	s_and_saveexec_b64 s[28:29], vcc
	s_xor_b64 s[28:29], exec, s[28:29]
; %bb.20898:                            ;   in Loop: Header=BB6_20708 Depth=3
	v_cmp_lt_u64_e32 vcc, s[88:89], v[0:1]
	v_add_u32_e32 v2, 15, v6
	v_cndmask_b32_e32 v2, v5, v2, vcc
	v_cndmask_b32_e64 v5, 0, 1, vcc
	v_lshrrev_b64 v[0:1], v5, v[0:1]
; %bb.20899:                            ;   in Loop: Header=BB6_20708 Depth=3
	s_andn2_saveexec_b64 s[28:29], s[28:29]
; %bb.20900:                            ;   in Loop: Header=BB6_20708 Depth=3
	v_bfe_u32 v2, v0, 23, 1
; %bb.20901:                            ;   in Loop: Header=BB6_20708 Depth=3
	s_or_b64 exec, exec, s[28:29]
	v_lshrrev_b64 v[0:1], 21, v[0:1]
	v_cmp_gt_i32_e32 vcc, 32, v2
	v_cndmask_b32_e32 v1, 0, v1, vcc
	v_cndmask_b32_e32 v0, 3, v0, vcc
	v_cmp_eq_u64_e64 s[28:29], 0, v[0:1]
	v_min_i32_e32 v1, 31, v2
	v_lshlrev_b32_e32 v1, 2, v1
	v_cmp_eq_u32_e32 vcc, 0, v2
	v_and_b32_e32 v1, 0xfc, v1
	v_and_or_b32 v0, v0, 3, v1
	s_and_b64 s[28:29], vcc, s[28:29]
	v_cndmask_b32_e64 v0, v0, 0, s[28:29]
	v_or_b32_e32 v39, v0, v3
.LBB6_20902:                            ;   in Loop: Header=BB6_20708 Depth=3
	s_or_b64 exec, exec, s[36:37]
                                        ; implicit-def: $vgpr3
.LBB6_20903:                            ;   in Loop: Header=BB6_20708 Depth=3
	s_andn2_saveexec_b64 s[28:29], s[34:35]
; %bb.20904:                            ;   in Loop: Header=BB6_20708 Depth=3
	v_or_b32_e32 v39, 0x7b, v3
; %bb.20905:                            ;   in Loop: Header=BB6_20708 Depth=3
	s_or_b64 exec, exec, s[28:29]
                                        ; implicit-def: $vgpr2
                                        ; implicit-def: $vgpr0_vgpr1
.LBB6_20906:                            ;   in Loop: Header=BB6_20708 Depth=3
	s_andn2_saveexec_b64 s[28:29], s[30:31]
	s_cbranch_execz .LBB6_20912
; %bb.20907:                            ;   in Loop: Header=BB6_20708 Depth=3
	v_cmp_ne_u64_e32 vcc, 0, v[0:1]
                                        ; implicit-def: $vgpr39
	s_and_saveexec_b64 s[62:63], vcc
	s_xor_b64 vcc, exec, s[62:63]
; %bb.20908:                            ;   in Loop: Header=BB6_20708 Depth=3
	v_or_b32_sdwa v39, v2, s44 dst_sel:DWORD dst_unused:UNUSED_PAD src0_sel:BYTE_3 src1_sel:DWORD
                                        ; implicit-def: $vgpr2
; %bb.20909:                            ;   in Loop: Header=BB6_20708 Depth=3
	s_andn2_saveexec_b64 s[30:31], vcc
; %bb.20910:                            ;   in Loop: Header=BB6_20708 Depth=3
	v_cmp_lt_i32_e32 vcc, -1, v2
	v_bfrev_b32_e32 v0, 0.5
	v_mov_b32_e32 v1, 0x7c
	v_cndmask_b32_e32 v39, v0, v1, vcc
; %bb.20911:                            ;   in Loop: Header=BB6_20708 Depth=3
	s_or_b64 exec, exec, s[30:31]
.LBB6_20912:                            ;   in Loop: Header=BB6_20708 Depth=3
	s_or_b64 exec, exec, s[28:29]
	v_cmp_lt_u64_e32 vcc, s[56:57], v[8:9]
	v_mov_b32_e32 v1, 0
	s_and_saveexec_b64 s[28:29], vcc
	s_cbranch_execz .LBB6_20920
; %bb.20913:                            ;   in Loop: Header=BB6_20708 Depth=3
	v_lshrrev_b32_e32 v0, 24, v9
	v_cmp_ne_u32_e32 vcc, s97, v0
	v_bfrev_b32_e32 v1, 1
	s_and_saveexec_b64 s[30:31], vcc
	s_cbranch_execz .LBB6_20919
; %bb.20914:                            ;   in Loop: Header=BB6_20708 Depth=3
	v_and_b32_e32 v1, 0x7c000000, v9
	v_bfe_u32 v2, v9, 24, 2
	v_cmp_ne_u32_e32 vcc, s68, v1
                                        ; implicit-def: $vgpr1
	s_and_saveexec_b64 s[62:63], vcc
	s_xor_b64 s[34:35], exec, s[62:63]
	s_cbranch_execz .LBB6_20916
; %bb.20915:                            ;   in Loop: Header=BB6_20708 Depth=3
	v_ffbh_u32_e32 v1, v2
	v_min_u32_e32 v5, 32, v1
	v_subrev_u32_e32 v1, 29, v5
	v_lshlrev_b64 v[0:1], v1, v[0:1]
	v_bfe_u32 v3, v9, 26, 5
	v_sub_u32_e32 v1, 30, v5
	v_and_b32_e32 v0, 3, v0
	v_cmp_eq_u32_e32 vcc, 0, v3
	v_cndmask_b32_e32 v1, v3, v1, vcc
	v_cndmask_b32_e32 v0, v2, v0, vcc
	v_and_b32_e32 v2, 0x80000000, v9
	v_lshl_add_u32 v1, v1, 23, v2
	v_lshl_or_b32 v0, v0, 21, v1
	v_add_u32_e32 v1, 0x38000000, v0
                                        ; implicit-def: $vgpr2
.LBB6_20916:                            ;   in Loop: Header=BB6_20708 Depth=3
	s_andn2_saveexec_b64 s[34:35], s[34:35]
; %bb.20917:                            ;   in Loop: Header=BB6_20708 Depth=3
	v_cmp_lt_i64_e32 vcc, -1, v[8:9]
	v_mov_b32_e32 v0, 0xff800000
	v_mov_b32_e32 v1, 0x7f800000
	v_cndmask_b32_e32 v0, v0, v1, vcc
	v_cmp_eq_u32_e32 vcc, 0, v2
	v_mov_b32_e32 v1, 0x7f800001
	v_cndmask_b32_e32 v1, v1, v0, vcc
; %bb.20918:                            ;   in Loop: Header=BB6_20708 Depth=3
	s_or_b64 exec, exec, s[34:35]
.LBB6_20919:                            ;   in Loop: Header=BB6_20708 Depth=3
	s_or_b64 exec, exec, s[30:31]
.LBB6_20920:                            ;   in Loop: Header=BB6_20708 Depth=3
	s_or_b64 exec, exec, s[28:29]
	v_mul_f32_e32 v2, v12, v1
	v_and_b32_e32 v5, 0x7f800000, v2
	v_mov_b32_e32 v6, v33
	v_cmp_ne_u64_e32 vcc, s[76:77], v[5:6]
	v_and_b32_e32 v0, 0x7fffff, v2
	v_mov_b32_e32 v1, v33
                                        ; implicit-def: $vgpr52
	s_and_saveexec_b64 s[28:29], vcc
	s_xor_b64 s[30:31], exec, s[28:29]
	s_cbranch_execz .LBB6_20934
; %bb.20921:                            ;   in Loop: Header=BB6_20708 Depth=3
	v_and_b32_e32 v5, 0x7fffffff, v2
	v_mov_b32_e32 v6, v33
	v_cmp_gt_u64_e32 vcc, s[78:79], v[5:6]
	v_and_b32_sdwa v3, v2, s97 dst_sel:DWORD dst_unused:UNUSED_PAD src0_sel:BYTE_3 src1_sel:DWORD
                                        ; implicit-def: $vgpr52
	s_and_saveexec_b64 s[28:29], vcc
	s_xor_b64 s[34:35], exec, s[28:29]
	s_cbranch_execz .LBB6_20931
; %bb.20922:                            ;   in Loop: Header=BB6_20708 Depth=3
	v_mov_b32_e32 v52, 0
	v_cmp_ne_u32_e32 vcc, 0, v2
	s_and_saveexec_b64 s[36:37], vcc
	s_cbranch_execz .LBB6_20930
; %bb.20923:                            ;   in Loop: Header=BB6_20708 Depth=3
	v_bfe_u32 v5, v2, 23, 8
	v_cmp_gt_u32_e64 s[28:29], s47, v5
	v_sub_u32_e32 v2, 0x71, v5
	v_cmp_eq_u32_e32 vcc, 0, v5
	v_cndmask_b32_e64 v2, 0, v2, s[28:29]
	v_mov_b32_e32 v6, 0x70
	v_cndmask_b32_e32 v6, v2, v6, vcc
	v_or_b32_e32 v7, 0x800000, v0
	v_add_u32_e32 v2, 21, v6
	v_cndmask_b32_e32 v0, v7, v0, vcc
	v_lshlrev_b64 v[7:8], v2, -1
	v_add_u32_e32 v2, 20, v6
	v_bfi_b32 v7, v7, 0, v0
	v_lshlrev_b64 v[13:14], v2, 1
	v_lshrrev_b64 v[0:1], v6, v[0:1]
	v_bfi_b32 v8, v8, 0, 0
	v_cmp_eq_u64_e64 s[28:29], v[7:8], v[13:14]
	v_mov_b32_e32 v2, v1
	v_mov_b32_e32 v1, v0
	s_and_saveexec_b64 s[38:39], s[28:29]
; %bb.20924:                            ;   in Loop: Header=BB6_20708 Depth=3
	v_bfe_u32 v1, v0, 21, 1
	v_add_co_u32_e64 v1, s[28:29], v0, v1
	v_add_co_u32_e64 v1, s[28:29], -1, v1
; %bb.20925:                            ;   in Loop: Header=BB6_20708 Depth=3
	s_or_b64 exec, exec, s[38:39]
	v_add_u32_e32 v2, 0xffffff81, v5
	v_mov_b32_e32 v5, 0xffffff82
	v_cndmask_b32_e32 v2, v2, v5, vcc
	v_lshrrev_b32_e32 v5, 23, v0
	v_add3_u32 v6, v6, v2, v5
	v_add_u32_e32 v5, 14, v6
	v_and_b32_e32 v1, 0x1fffff, v1
	v_add_u32_e32 v0, v1, v0
	v_mov_b32_e32 v1, v33
	v_cmp_ne_u32_e32 vcc, 0, v5
                                        ; implicit-def: $vgpr2
	s_and_saveexec_b64 s[28:29], vcc
	s_xor_b64 s[28:29], exec, s[28:29]
; %bb.20926:                            ;   in Loop: Header=BB6_20708 Depth=3
	v_cmp_lt_u64_e32 vcc, s[88:89], v[0:1]
	v_add_u32_e32 v2, 15, v6
	v_cndmask_b32_e32 v2, v5, v2, vcc
	v_cndmask_b32_e64 v5, 0, 1, vcc
	v_lshrrev_b64 v[0:1], v5, v[0:1]
; %bb.20927:                            ;   in Loop: Header=BB6_20708 Depth=3
	s_andn2_saveexec_b64 s[28:29], s[28:29]
; %bb.20928:                            ;   in Loop: Header=BB6_20708 Depth=3
	v_bfe_u32 v2, v0, 23, 1
; %bb.20929:                            ;   in Loop: Header=BB6_20708 Depth=3
	s_or_b64 exec, exec, s[28:29]
	v_lshrrev_b64 v[0:1], 21, v[0:1]
	v_cmp_gt_i32_e32 vcc, 32, v2
	v_cndmask_b32_e32 v1, 0, v1, vcc
	v_cndmask_b32_e32 v0, 3, v0, vcc
	v_cmp_eq_u64_e64 s[28:29], 0, v[0:1]
	v_min_i32_e32 v1, 31, v2
	v_lshlrev_b32_e32 v1, 2, v1
	v_cmp_eq_u32_e32 vcc, 0, v2
	v_and_b32_e32 v1, 0xfc, v1
	v_and_or_b32 v0, v0, 3, v1
	s_and_b64 s[28:29], vcc, s[28:29]
	v_cndmask_b32_e64 v0, v0, 0, s[28:29]
	v_or_b32_e32 v52, v0, v3
.LBB6_20930:                            ;   in Loop: Header=BB6_20708 Depth=3
	s_or_b64 exec, exec, s[36:37]
                                        ; implicit-def: $vgpr3
.LBB6_20931:                            ;   in Loop: Header=BB6_20708 Depth=3
	s_andn2_saveexec_b64 s[28:29], s[34:35]
; %bb.20932:                            ;   in Loop: Header=BB6_20708 Depth=3
	v_or_b32_e32 v52, 0x7b, v3
; %bb.20933:                            ;   in Loop: Header=BB6_20708 Depth=3
	s_or_b64 exec, exec, s[28:29]
                                        ; implicit-def: $vgpr2
                                        ; implicit-def: $vgpr0_vgpr1
.LBB6_20934:                            ;   in Loop: Header=BB6_20708 Depth=3
	s_andn2_saveexec_b64 s[28:29], s[30:31]
	s_cbranch_execz .LBB6_20940
; %bb.20935:                            ;   in Loop: Header=BB6_20708 Depth=3
	v_cmp_ne_u64_e32 vcc, 0, v[0:1]
                                        ; implicit-def: $vgpr52
	s_and_saveexec_b64 s[62:63], vcc
	s_xor_b64 vcc, exec, s[62:63]
; %bb.20936:                            ;   in Loop: Header=BB6_20708 Depth=3
	v_or_b32_sdwa v52, v2, s44 dst_sel:DWORD dst_unused:UNUSED_PAD src0_sel:BYTE_3 src1_sel:DWORD
                                        ; implicit-def: $vgpr2
; %bb.20937:                            ;   in Loop: Header=BB6_20708 Depth=3
	s_andn2_saveexec_b64 s[30:31], vcc
; %bb.20938:                            ;   in Loop: Header=BB6_20708 Depth=3
	v_cmp_lt_i32_e32 vcc, -1, v2
	v_bfrev_b32_e32 v0, 0.5
	v_mov_b32_e32 v1, 0x7c
	v_cndmask_b32_e32 v52, v0, v1, vcc
; %bb.20939:                            ;   in Loop: Header=BB6_20708 Depth=3
	s_or_b64 exec, exec, s[30:31]
.LBB6_20940:                            ;   in Loop: Header=BB6_20708 Depth=3
	s_or_b64 exec, exec, s[28:29]
	v_cmp_ne_u16_sdwa s[62:63], v10, v33 src0_sel:BYTE_0 src1_sel:DWORD
	v_mov_b32_e32 v0, 0
	s_and_saveexec_b64 s[28:29], s[62:63]
	s_cbranch_execz .LBB6_20948
; %bb.20941:                            ;   in Loop: Header=BB6_20708 Depth=3
	v_cmp_ne_u16_sdwa s[62:63], sext(v10), s46 src0_sel:BYTE_0 src1_sel:DWORD
	v_bfrev_b32_e32 v0, 1
	s_and_saveexec_b64 s[30:31], s[62:63]
	s_cbranch_execz .LBB6_20947
; %bb.20942:                            ;   in Loop: Header=BB6_20708 Depth=3
	v_and_b32_e32 v0, 0x7c, v10
	v_and_b32_e32 v1, 3, v10
	v_cmp_ne_u32_e32 vcc, s86, v0
                                        ; implicit-def: $vgpr0
	s_and_saveexec_b64 s[62:63], vcc
	s_xor_b64 s[34:35], exec, s[62:63]
	s_cbranch_execz .LBB6_20944
; %bb.20943:                            ;   in Loop: Header=BB6_20708 Depth=3
	v_ffbh_u32_e32 v2, v1
	v_min_u32_e32 v5, 32, v2
	v_subrev_u32_e32 v2, 29, v5
	v_lshlrev_b64 v[2:3], v2, v[10:11]
	v_bfe_u32 v0, v10, 2, 5
	v_and_b32_e32 v2, 3, v2
	v_cmp_eq_u32_e32 vcc, 0, v0
	v_sub_u32_e32 v3, 30, v5
	v_cndmask_b32_e32 v1, v1, v2, vcc
	v_lshlrev_b32_e32 v2, 24, v10
	v_cndmask_b32_e32 v0, v0, v3, vcc
	v_and_b32_e32 v2, 0x80000000, v2
	v_lshl_add_u32 v0, v0, 23, v2
	v_lshl_or_b32 v0, v1, 21, v0
	v_add_u32_e32 v0, 0x38000000, v0
                                        ; implicit-def: $vgpr1
.LBB6_20944:                            ;   in Loop: Header=BB6_20708 Depth=3
	s_andn2_saveexec_b64 s[34:35], s[34:35]
; %bb.20945:                            ;   in Loop: Header=BB6_20708 Depth=3
	v_mov_b32_e32 v0, -1
	v_cmp_gt_i16_sdwa vcc, sext(v10), v0 src0_sel:BYTE_0 src1_sel:DWORD
	v_mov_b32_e32 v0, 0xff800000
	v_mov_b32_e32 v2, 0x7f800000
	v_cndmask_b32_e32 v0, v0, v2, vcc
	v_cmp_eq_u32_e32 vcc, 0, v1
	v_mov_b32_e32 v1, 0x7f800001
	v_cndmask_b32_e32 v0, v1, v0, vcc
; %bb.20946:                            ;   in Loop: Header=BB6_20708 Depth=3
	s_or_b64 exec, exec, s[34:35]
.LBB6_20947:                            ;   in Loop: Header=BB6_20708 Depth=3
	s_or_b64 exec, exec, s[30:31]
.LBB6_20948:                            ;   in Loop: Header=BB6_20708 Depth=3
	s_or_b64 exec, exec, s[28:29]
	v_mul_f32_e32 v2, v12, v0
	v_and_b32_e32 v5, 0x7f800000, v2
	v_mov_b32_e32 v6, v33
	v_cmp_ne_u64_e32 vcc, s[76:77], v[5:6]
	v_and_b32_e32 v0, 0x7fffff, v2
	v_mov_b32_e32 v1, v33
                                        ; implicit-def: $vgpr50
	s_and_saveexec_b64 s[28:29], vcc
	s_xor_b64 s[30:31], exec, s[28:29]
	s_cbranch_execz .LBB6_20962
; %bb.20949:                            ;   in Loop: Header=BB6_20708 Depth=3
	v_and_b32_e32 v5, 0x7fffffff, v2
	v_mov_b32_e32 v6, v33
	v_cmp_gt_u64_e32 vcc, s[78:79], v[5:6]
	v_and_b32_sdwa v3, v2, s97 dst_sel:DWORD dst_unused:UNUSED_PAD src0_sel:BYTE_3 src1_sel:DWORD
                                        ; implicit-def: $vgpr50
	s_and_saveexec_b64 s[28:29], vcc
	s_xor_b64 s[34:35], exec, s[28:29]
	s_cbranch_execz .LBB6_20959
; %bb.20950:                            ;   in Loop: Header=BB6_20708 Depth=3
	v_mov_b32_e32 v50, 0
	v_cmp_ne_u32_e32 vcc, 0, v2
	s_and_saveexec_b64 s[36:37], vcc
	s_cbranch_execz .LBB6_20958
; %bb.20951:                            ;   in Loop: Header=BB6_20708 Depth=3
	v_bfe_u32 v5, v2, 23, 8
	v_cmp_gt_u32_e64 s[28:29], s47, v5
	v_sub_u32_e32 v2, 0x71, v5
	v_cmp_eq_u32_e32 vcc, 0, v5
	v_cndmask_b32_e64 v2, 0, v2, s[28:29]
	v_mov_b32_e32 v6, 0x70
	v_cndmask_b32_e32 v6, v2, v6, vcc
	v_or_b32_e32 v7, 0x800000, v0
	v_add_u32_e32 v2, 21, v6
	v_cndmask_b32_e32 v0, v7, v0, vcc
	v_lshlrev_b64 v[7:8], v2, -1
	v_add_u32_e32 v2, 20, v6
	v_bfi_b32 v7, v7, 0, v0
	v_lshlrev_b64 v[13:14], v2, 1
	v_lshrrev_b64 v[0:1], v6, v[0:1]
	v_bfi_b32 v8, v8, 0, 0
	v_cmp_eq_u64_e64 s[28:29], v[7:8], v[13:14]
	v_mov_b32_e32 v2, v1
	v_mov_b32_e32 v1, v0
	s_and_saveexec_b64 s[38:39], s[28:29]
; %bb.20952:                            ;   in Loop: Header=BB6_20708 Depth=3
	v_bfe_u32 v1, v0, 21, 1
	v_add_co_u32_e64 v1, s[28:29], v0, v1
	v_add_co_u32_e64 v1, s[28:29], -1, v1
; %bb.20953:                            ;   in Loop: Header=BB6_20708 Depth=3
	s_or_b64 exec, exec, s[38:39]
	v_add_u32_e32 v2, 0xffffff81, v5
	v_mov_b32_e32 v5, 0xffffff82
	v_cndmask_b32_e32 v2, v2, v5, vcc
	v_lshrrev_b32_e32 v5, 23, v0
	v_add3_u32 v6, v6, v2, v5
	v_add_u32_e32 v5, 14, v6
	v_and_b32_e32 v1, 0x1fffff, v1
	v_add_u32_e32 v0, v1, v0
	v_mov_b32_e32 v1, v33
	v_cmp_ne_u32_e32 vcc, 0, v5
                                        ; implicit-def: $vgpr2
	s_and_saveexec_b64 s[28:29], vcc
	s_xor_b64 s[28:29], exec, s[28:29]
; %bb.20954:                            ;   in Loop: Header=BB6_20708 Depth=3
	v_cmp_lt_u64_e32 vcc, s[88:89], v[0:1]
	v_add_u32_e32 v2, 15, v6
	v_cndmask_b32_e32 v2, v5, v2, vcc
	v_cndmask_b32_e64 v5, 0, 1, vcc
	v_lshrrev_b64 v[0:1], v5, v[0:1]
; %bb.20955:                            ;   in Loop: Header=BB6_20708 Depth=3
	s_andn2_saveexec_b64 s[28:29], s[28:29]
; %bb.20956:                            ;   in Loop: Header=BB6_20708 Depth=3
	v_bfe_u32 v2, v0, 23, 1
; %bb.20957:                            ;   in Loop: Header=BB6_20708 Depth=3
	s_or_b64 exec, exec, s[28:29]
	v_lshrrev_b64 v[0:1], 21, v[0:1]
	v_cmp_gt_i32_e32 vcc, 32, v2
	v_cndmask_b32_e32 v1, 0, v1, vcc
	v_cndmask_b32_e32 v0, 3, v0, vcc
	v_cmp_eq_u64_e64 s[28:29], 0, v[0:1]
	v_min_i32_e32 v1, 31, v2
	v_lshlrev_b32_e32 v1, 2, v1
	v_cmp_eq_u32_e32 vcc, 0, v2
	v_and_b32_e32 v1, 0xfc, v1
	v_and_or_b32 v0, v0, 3, v1
	s_and_b64 s[28:29], vcc, s[28:29]
	v_cndmask_b32_e64 v0, v0, 0, s[28:29]
	v_or_b32_e32 v50, v0, v3
.LBB6_20958:                            ;   in Loop: Header=BB6_20708 Depth=3
	s_or_b64 exec, exec, s[36:37]
                                        ; implicit-def: $vgpr3
.LBB6_20959:                            ;   in Loop: Header=BB6_20708 Depth=3
	s_andn2_saveexec_b64 s[28:29], s[34:35]
; %bb.20960:                            ;   in Loop: Header=BB6_20708 Depth=3
	v_or_b32_e32 v50, 0x7b, v3
; %bb.20961:                            ;   in Loop: Header=BB6_20708 Depth=3
	s_or_b64 exec, exec, s[28:29]
                                        ; implicit-def: $vgpr2
                                        ; implicit-def: $vgpr0_vgpr1
.LBB6_20962:                            ;   in Loop: Header=BB6_20708 Depth=3
	s_andn2_saveexec_b64 s[28:29], s[30:31]
	s_cbranch_execz .LBB6_20968
; %bb.20963:                            ;   in Loop: Header=BB6_20708 Depth=3
	v_cmp_ne_u64_e32 vcc, 0, v[0:1]
                                        ; implicit-def: $vgpr50
	s_and_saveexec_b64 s[62:63], vcc
	s_xor_b64 vcc, exec, s[62:63]
; %bb.20964:                            ;   in Loop: Header=BB6_20708 Depth=3
	v_or_b32_sdwa v50, v2, s44 dst_sel:DWORD dst_unused:UNUSED_PAD src0_sel:BYTE_3 src1_sel:DWORD
                                        ; implicit-def: $vgpr2
; %bb.20965:                            ;   in Loop: Header=BB6_20708 Depth=3
	s_andn2_saveexec_b64 s[30:31], vcc
; %bb.20966:                            ;   in Loop: Header=BB6_20708 Depth=3
	v_cmp_lt_i32_e32 vcc, -1, v2
	v_bfrev_b32_e32 v0, 0.5
	v_mov_b32_e32 v1, 0x7c
	v_cndmask_b32_e32 v50, v0, v1, vcc
; %bb.20967:                            ;   in Loop: Header=BB6_20708 Depth=3
	s_or_b64 exec, exec, s[30:31]
.LBB6_20968:                            ;   in Loop: Header=BB6_20708 Depth=3
	s_or_b64 exec, exec, s[28:29]
	v_lshrrev_b16_e32 v0, 8, v10
	v_cmp_ne_u16_e32 vcc, 0, v0
	v_mov_b32_e32 v1, 0
	s_and_saveexec_b64 s[28:29], vcc
	s_cbranch_execz .LBB6_20976
; %bb.20969:                            ;   in Loop: Header=BB6_20708 Depth=3
	v_cmp_ne_u16_e32 vcc, s97, v0
	v_bfrev_b32_e32 v1, 1
	s_and_saveexec_b64 s[30:31], vcc
	s_cbranch_execz .LBB6_20975
; %bb.20970:                            ;   in Loop: Header=BB6_20708 Depth=3
	v_and_b32_e32 v1, 0x7c, v0
	v_and_b32_e32 v2, 3, v0
	v_cmp_ne_u32_e32 vcc, s86, v1
                                        ; implicit-def: $vgpr1
	s_and_saveexec_b64 s[62:63], vcc
	s_xor_b64 s[34:35], exec, s[62:63]
	s_cbranch_execz .LBB6_20972
; %bb.20971:                            ;   in Loop: Header=BB6_20708 Depth=3
	v_ffbh_u32_e32 v5, v2
	v_min_u32_e32 v5, 32, v5
	v_mov_b32_e32 v1, v33
	v_subrev_u32_e32 v6, 29, v5
	v_bfe_u32 v3, v0, 2, 5
	v_lshlrev_b64 v[0:1], v6, v[0:1]
	v_cmp_eq_u32_e32 vcc, 0, v3
	v_and_b32_e32 v0, 3, v0
	v_sub_u32_e32 v1, 30, v5
	v_cndmask_b32_e32 v0, v2, v0, vcc
	v_lshlrev_b32_e32 v2, 16, v10
	v_cndmask_b32_e32 v1, v3, v1, vcc
	v_and_b32_e32 v2, 0x80000000, v2
	v_lshl_add_u32 v1, v1, 23, v2
	v_lshl_or_b32 v0, v0, 21, v1
	v_add_u32_e32 v1, 0x38000000, v0
                                        ; implicit-def: $vgpr2
.LBB6_20972:                            ;   in Loop: Header=BB6_20708 Depth=3
	s_andn2_saveexec_b64 s[34:35], s[34:35]
; %bb.20973:                            ;   in Loop: Header=BB6_20708 Depth=3
	v_cmp_lt_i16_e32 vcc, -1, v10
	v_mov_b32_e32 v0, 0xff800000
	v_mov_b32_e32 v1, 0x7f800000
	v_cndmask_b32_e32 v0, v0, v1, vcc
	v_cmp_eq_u32_e32 vcc, 0, v2
	v_mov_b32_e32 v1, 0x7f800001
	v_cndmask_b32_e32 v1, v1, v0, vcc
; %bb.20974:                            ;   in Loop: Header=BB6_20708 Depth=3
	s_or_b64 exec, exec, s[34:35]
.LBB6_20975:                            ;   in Loop: Header=BB6_20708 Depth=3
	s_or_b64 exec, exec, s[30:31]
.LBB6_20976:                            ;   in Loop: Header=BB6_20708 Depth=3
	s_or_b64 exec, exec, s[28:29]
	v_mul_f32_e32 v2, v12, v1
	v_and_b32_e32 v5, 0x7f800000, v2
	v_mov_b32_e32 v6, v33
	v_cmp_ne_u64_e32 vcc, s[76:77], v[5:6]
	v_and_b32_e32 v0, 0x7fffff, v2
	v_mov_b32_e32 v1, v33
                                        ; implicit-def: $vgpr46
	s_and_saveexec_b64 s[28:29], vcc
	s_xor_b64 s[30:31], exec, s[28:29]
	s_cbranch_execz .LBB6_20990
; %bb.20977:                            ;   in Loop: Header=BB6_20708 Depth=3
	v_and_b32_e32 v5, 0x7fffffff, v2
	v_mov_b32_e32 v6, v33
	v_cmp_gt_u64_e32 vcc, s[78:79], v[5:6]
	v_and_b32_sdwa v3, v2, s97 dst_sel:DWORD dst_unused:UNUSED_PAD src0_sel:BYTE_3 src1_sel:DWORD
                                        ; implicit-def: $vgpr46
	s_and_saveexec_b64 s[28:29], vcc
	s_xor_b64 s[34:35], exec, s[28:29]
	s_cbranch_execz .LBB6_20987
; %bb.20978:                            ;   in Loop: Header=BB6_20708 Depth=3
	v_mov_b32_e32 v46, 0
	v_cmp_ne_u32_e32 vcc, 0, v2
	s_and_saveexec_b64 s[36:37], vcc
	s_cbranch_execz .LBB6_20986
; %bb.20979:                            ;   in Loop: Header=BB6_20708 Depth=3
	v_bfe_u32 v5, v2, 23, 8
	v_cmp_gt_u32_e64 s[28:29], s47, v5
	v_sub_u32_e32 v2, 0x71, v5
	v_cmp_eq_u32_e32 vcc, 0, v5
	v_cndmask_b32_e64 v2, 0, v2, s[28:29]
	v_mov_b32_e32 v6, 0x70
	v_cndmask_b32_e32 v6, v2, v6, vcc
	v_or_b32_e32 v7, 0x800000, v0
	v_add_u32_e32 v2, 21, v6
	v_cndmask_b32_e32 v0, v7, v0, vcc
	v_lshlrev_b64 v[7:8], v2, -1
	v_add_u32_e32 v2, 20, v6
	v_bfi_b32 v7, v7, 0, v0
	v_lshlrev_b64 v[13:14], v2, 1
	v_lshrrev_b64 v[0:1], v6, v[0:1]
	v_bfi_b32 v8, v8, 0, 0
	v_cmp_eq_u64_e64 s[28:29], v[7:8], v[13:14]
	v_mov_b32_e32 v2, v1
	v_mov_b32_e32 v1, v0
	s_and_saveexec_b64 s[38:39], s[28:29]
; %bb.20980:                            ;   in Loop: Header=BB6_20708 Depth=3
	v_bfe_u32 v1, v0, 21, 1
	v_add_co_u32_e64 v1, s[28:29], v0, v1
	v_add_co_u32_e64 v1, s[28:29], -1, v1
; %bb.20981:                            ;   in Loop: Header=BB6_20708 Depth=3
	s_or_b64 exec, exec, s[38:39]
	v_add_u32_e32 v2, 0xffffff81, v5
	v_mov_b32_e32 v5, 0xffffff82
	v_cndmask_b32_e32 v2, v2, v5, vcc
	v_lshrrev_b32_e32 v5, 23, v0
	v_add3_u32 v6, v6, v2, v5
	v_add_u32_e32 v5, 14, v6
	v_and_b32_e32 v1, 0x1fffff, v1
	v_add_u32_e32 v0, v1, v0
	v_mov_b32_e32 v1, v33
	v_cmp_ne_u32_e32 vcc, 0, v5
                                        ; implicit-def: $vgpr2
	s_and_saveexec_b64 s[28:29], vcc
	s_xor_b64 s[28:29], exec, s[28:29]
; %bb.20982:                            ;   in Loop: Header=BB6_20708 Depth=3
	v_cmp_lt_u64_e32 vcc, s[88:89], v[0:1]
	v_add_u32_e32 v2, 15, v6
	v_cndmask_b32_e32 v2, v5, v2, vcc
	v_cndmask_b32_e64 v5, 0, 1, vcc
	v_lshrrev_b64 v[0:1], v5, v[0:1]
; %bb.20983:                            ;   in Loop: Header=BB6_20708 Depth=3
	s_andn2_saveexec_b64 s[28:29], s[28:29]
; %bb.20984:                            ;   in Loop: Header=BB6_20708 Depth=3
	v_bfe_u32 v2, v0, 23, 1
; %bb.20985:                            ;   in Loop: Header=BB6_20708 Depth=3
	s_or_b64 exec, exec, s[28:29]
	v_lshrrev_b64 v[0:1], 21, v[0:1]
	v_cmp_gt_i32_e32 vcc, 32, v2
	v_cndmask_b32_e32 v1, 0, v1, vcc
	v_cndmask_b32_e32 v0, 3, v0, vcc
	v_cmp_eq_u64_e64 s[28:29], 0, v[0:1]
	v_min_i32_e32 v1, 31, v2
	v_lshlrev_b32_e32 v1, 2, v1
	v_cmp_eq_u32_e32 vcc, 0, v2
	v_and_b32_e32 v1, 0xfc, v1
	v_and_or_b32 v0, v0, 3, v1
	s_and_b64 s[28:29], vcc, s[28:29]
	v_cndmask_b32_e64 v0, v0, 0, s[28:29]
	v_or_b32_e32 v46, v0, v3
.LBB6_20986:                            ;   in Loop: Header=BB6_20708 Depth=3
	s_or_b64 exec, exec, s[36:37]
                                        ; implicit-def: $vgpr3
.LBB6_20987:                            ;   in Loop: Header=BB6_20708 Depth=3
	s_andn2_saveexec_b64 s[28:29], s[34:35]
; %bb.20988:                            ;   in Loop: Header=BB6_20708 Depth=3
	v_or_b32_e32 v46, 0x7b, v3
; %bb.20989:                            ;   in Loop: Header=BB6_20708 Depth=3
	s_or_b64 exec, exec, s[28:29]
                                        ; implicit-def: $vgpr2
                                        ; implicit-def: $vgpr0_vgpr1
.LBB6_20990:                            ;   in Loop: Header=BB6_20708 Depth=3
	s_andn2_saveexec_b64 s[28:29], s[30:31]
	s_cbranch_execz .LBB6_20996
; %bb.20991:                            ;   in Loop: Header=BB6_20708 Depth=3
	v_cmp_ne_u64_e32 vcc, 0, v[0:1]
                                        ; implicit-def: $vgpr46
	s_and_saveexec_b64 s[62:63], vcc
	s_xor_b64 vcc, exec, s[62:63]
; %bb.20992:                            ;   in Loop: Header=BB6_20708 Depth=3
	v_or_b32_sdwa v46, v2, s44 dst_sel:DWORD dst_unused:UNUSED_PAD src0_sel:BYTE_3 src1_sel:DWORD
                                        ; implicit-def: $vgpr2
; %bb.20993:                            ;   in Loop: Header=BB6_20708 Depth=3
	s_andn2_saveexec_b64 s[30:31], vcc
; %bb.20994:                            ;   in Loop: Header=BB6_20708 Depth=3
	v_cmp_lt_i32_e32 vcc, -1, v2
	v_bfrev_b32_e32 v0, 0.5
	v_mov_b32_e32 v1, 0x7c
	v_cndmask_b32_e32 v46, v0, v1, vcc
; %bb.20995:                            ;   in Loop: Header=BB6_20708 Depth=3
	s_or_b64 exec, exec, s[30:31]
.LBB6_20996:                            ;   in Loop: Header=BB6_20708 Depth=3
	s_or_b64 exec, exec, s[28:29]
	v_lshrrev_b32_e32 v0, 16, v10
	v_cmp_ne_u16_sdwa s[62:63], v0, v33 src0_sel:BYTE_0 src1_sel:DWORD
	v_mov_b32_e32 v1, 0
	s_and_saveexec_b64 s[28:29], s[62:63]
	s_cbranch_execz .LBB6_21004
; %bb.20997:                            ;   in Loop: Header=BB6_20708 Depth=3
	v_cmp_ne_u16_sdwa s[62:63], v0, s97 src0_sel:BYTE_0 src1_sel:DWORD
	v_bfrev_b32_e32 v1, 1
	s_and_saveexec_b64 s[30:31], s[62:63]
	s_cbranch_execz .LBB6_21003
; %bb.20998:                            ;   in Loop: Header=BB6_20708 Depth=3
	v_and_b32_e32 v1, 0x7c0000, v10
	v_bfe_u32 v2, v10, 16, 2
	v_cmp_ne_u32_e32 vcc, s45, v1
                                        ; implicit-def: $vgpr1
	s_and_saveexec_b64 s[62:63], vcc
	s_xor_b64 s[34:35], exec, s[62:63]
	s_cbranch_execz .LBB6_21000
; %bb.20999:                            ;   in Loop: Header=BB6_20708 Depth=3
	v_ffbh_u32_e32 v1, v2
	v_min_u32_e32 v5, 32, v1
	v_subrev_u32_e32 v1, 29, v5
	v_lshlrev_b64 v[0:1], v1, v[0:1]
	v_bfe_u32 v3, v10, 18, 5
	v_and_b32_e32 v0, 3, v0
	v_cmp_eq_u32_e32 vcc, 0, v3
	v_sub_u32_e32 v1, 30, v5
	v_cndmask_b32_e32 v0, v2, v0, vcc
	v_lshlrev_b32_e32 v2, 8, v10
	v_cndmask_b32_e32 v1, v3, v1, vcc
	v_and_b32_e32 v2, 0x80000000, v2
	v_lshl_add_u32 v1, v1, 23, v2
	v_lshl_or_b32 v0, v0, 21, v1
	v_add_u32_e32 v1, 0x38000000, v0
                                        ; implicit-def: $vgpr2
                                        ; implicit-def: $vgpr0
.LBB6_21000:                            ;   in Loop: Header=BB6_20708 Depth=3
	s_andn2_saveexec_b64 s[34:35], s[34:35]
; %bb.21001:                            ;   in Loop: Header=BB6_20708 Depth=3
	v_mov_b32_e32 v1, -1
	v_cmp_gt_i16_sdwa vcc, sext(v0), v1 src0_sel:BYTE_0 src1_sel:DWORD
	v_mov_b32_e32 v0, 0xff800000
	v_mov_b32_e32 v1, 0x7f800000
	v_cndmask_b32_e32 v0, v0, v1, vcc
	v_cmp_eq_u32_e32 vcc, 0, v2
	v_mov_b32_e32 v1, 0x7f800001
	v_cndmask_b32_e32 v1, v1, v0, vcc
; %bb.21002:                            ;   in Loop: Header=BB6_20708 Depth=3
	s_or_b64 exec, exec, s[34:35]
.LBB6_21003:                            ;   in Loop: Header=BB6_20708 Depth=3
	s_or_b64 exec, exec, s[30:31]
.LBB6_21004:                            ;   in Loop: Header=BB6_20708 Depth=3
	s_or_b64 exec, exec, s[28:29]
	v_mul_f32_e32 v2, v12, v1
	v_and_b32_e32 v5, 0x7f800000, v2
	v_mov_b32_e32 v6, v33
	v_cmp_ne_u64_e32 vcc, s[76:77], v[5:6]
	v_and_b32_e32 v0, 0x7fffff, v2
	v_mov_b32_e32 v1, v33
                                        ; implicit-def: $vgpr34
	s_and_saveexec_b64 s[28:29], vcc
	s_xor_b64 s[30:31], exec, s[28:29]
	s_cbranch_execz .LBB6_21018
; %bb.21005:                            ;   in Loop: Header=BB6_20708 Depth=3
	v_and_b32_e32 v5, 0x7fffffff, v2
	v_mov_b32_e32 v6, v33
	v_cmp_gt_u64_e32 vcc, s[78:79], v[5:6]
	v_and_b32_sdwa v3, v2, s97 dst_sel:DWORD dst_unused:UNUSED_PAD src0_sel:BYTE_3 src1_sel:DWORD
                                        ; implicit-def: $vgpr34
	s_and_saveexec_b64 s[28:29], vcc
	s_xor_b64 s[34:35], exec, s[28:29]
	s_cbranch_execz .LBB6_21015
; %bb.21006:                            ;   in Loop: Header=BB6_20708 Depth=3
	v_mov_b32_e32 v34, 0
	v_cmp_ne_u32_e32 vcc, 0, v2
	s_and_saveexec_b64 s[36:37], vcc
	s_cbranch_execz .LBB6_21014
; %bb.21007:                            ;   in Loop: Header=BB6_20708 Depth=3
	v_bfe_u32 v5, v2, 23, 8
	v_cmp_gt_u32_e64 s[28:29], s47, v5
	v_sub_u32_e32 v2, 0x71, v5
	v_cmp_eq_u32_e32 vcc, 0, v5
	v_cndmask_b32_e64 v2, 0, v2, s[28:29]
	v_mov_b32_e32 v6, 0x70
	v_cndmask_b32_e32 v6, v2, v6, vcc
	v_or_b32_e32 v7, 0x800000, v0
	v_add_u32_e32 v2, 21, v6
	v_cndmask_b32_e32 v0, v7, v0, vcc
	v_lshlrev_b64 v[7:8], v2, -1
	v_add_u32_e32 v2, 20, v6
	v_bfi_b32 v7, v7, 0, v0
	v_lshlrev_b64 v[13:14], v2, 1
	v_lshrrev_b64 v[0:1], v6, v[0:1]
	v_bfi_b32 v8, v8, 0, 0
	v_cmp_eq_u64_e64 s[28:29], v[7:8], v[13:14]
	v_mov_b32_e32 v2, v1
	v_mov_b32_e32 v1, v0
	s_and_saveexec_b64 s[38:39], s[28:29]
; %bb.21008:                            ;   in Loop: Header=BB6_20708 Depth=3
	v_bfe_u32 v1, v0, 21, 1
	v_add_co_u32_e64 v1, s[28:29], v0, v1
	v_add_co_u32_e64 v1, s[28:29], -1, v1
; %bb.21009:                            ;   in Loop: Header=BB6_20708 Depth=3
	s_or_b64 exec, exec, s[38:39]
	v_add_u32_e32 v2, 0xffffff81, v5
	v_mov_b32_e32 v5, 0xffffff82
	v_cndmask_b32_e32 v2, v2, v5, vcc
	v_lshrrev_b32_e32 v5, 23, v0
	v_add3_u32 v6, v6, v2, v5
	v_add_u32_e32 v5, 14, v6
	v_and_b32_e32 v1, 0x1fffff, v1
	v_add_u32_e32 v0, v1, v0
	v_mov_b32_e32 v1, v33
	v_cmp_ne_u32_e32 vcc, 0, v5
                                        ; implicit-def: $vgpr2
	s_and_saveexec_b64 s[28:29], vcc
	s_xor_b64 s[28:29], exec, s[28:29]
; %bb.21010:                            ;   in Loop: Header=BB6_20708 Depth=3
	v_cmp_lt_u64_e32 vcc, s[88:89], v[0:1]
	v_add_u32_e32 v2, 15, v6
	v_cndmask_b32_e32 v2, v5, v2, vcc
	v_cndmask_b32_e64 v5, 0, 1, vcc
	v_lshrrev_b64 v[0:1], v5, v[0:1]
; %bb.21011:                            ;   in Loop: Header=BB6_20708 Depth=3
	s_andn2_saveexec_b64 s[28:29], s[28:29]
; %bb.21012:                            ;   in Loop: Header=BB6_20708 Depth=3
	v_bfe_u32 v2, v0, 23, 1
; %bb.21013:                            ;   in Loop: Header=BB6_20708 Depth=3
	s_or_b64 exec, exec, s[28:29]
	v_lshrrev_b64 v[0:1], 21, v[0:1]
	v_cmp_gt_i32_e32 vcc, 32, v2
	v_cndmask_b32_e32 v1, 0, v1, vcc
	v_cndmask_b32_e32 v0, 3, v0, vcc
	v_cmp_eq_u64_e64 s[28:29], 0, v[0:1]
	v_min_i32_e32 v1, 31, v2
	v_lshlrev_b32_e32 v1, 2, v1
	v_cmp_eq_u32_e32 vcc, 0, v2
	v_and_b32_e32 v1, 0xfc, v1
	v_and_or_b32 v0, v0, 3, v1
	s_and_b64 s[28:29], vcc, s[28:29]
	v_cndmask_b32_e64 v0, v0, 0, s[28:29]
	v_or_b32_e32 v34, v0, v3
.LBB6_21014:                            ;   in Loop: Header=BB6_20708 Depth=3
	s_or_b64 exec, exec, s[36:37]
                                        ; implicit-def: $vgpr3
.LBB6_21015:                            ;   in Loop: Header=BB6_20708 Depth=3
	s_andn2_saveexec_b64 s[28:29], s[34:35]
; %bb.21016:                            ;   in Loop: Header=BB6_20708 Depth=3
	v_or_b32_e32 v34, 0x7b, v3
; %bb.21017:                            ;   in Loop: Header=BB6_20708 Depth=3
	s_or_b64 exec, exec, s[28:29]
                                        ; implicit-def: $vgpr2
                                        ; implicit-def: $vgpr0_vgpr1
.LBB6_21018:                            ;   in Loop: Header=BB6_20708 Depth=3
	s_andn2_saveexec_b64 s[28:29], s[30:31]
	s_cbranch_execz .LBB6_21024
; %bb.21019:                            ;   in Loop: Header=BB6_20708 Depth=3
	v_cmp_ne_u64_e32 vcc, 0, v[0:1]
                                        ; implicit-def: $vgpr34
	s_and_saveexec_b64 s[62:63], vcc
	s_xor_b64 vcc, exec, s[62:63]
; %bb.21020:                            ;   in Loop: Header=BB6_20708 Depth=3
	v_or_b32_sdwa v34, v2, s44 dst_sel:DWORD dst_unused:UNUSED_PAD src0_sel:BYTE_3 src1_sel:DWORD
                                        ; implicit-def: $vgpr2
; %bb.21021:                            ;   in Loop: Header=BB6_20708 Depth=3
	s_andn2_saveexec_b64 s[30:31], vcc
; %bb.21022:                            ;   in Loop: Header=BB6_20708 Depth=3
	v_cmp_lt_i32_e32 vcc, -1, v2
	v_bfrev_b32_e32 v0, 0.5
	v_mov_b32_e32 v1, 0x7c
	v_cndmask_b32_e32 v34, v0, v1, vcc
; %bb.21023:                            ;   in Loop: Header=BB6_20708 Depth=3
	s_or_b64 exec, exec, s[30:31]
.LBB6_21024:                            ;   in Loop: Header=BB6_20708 Depth=3
	s_or_b64 exec, exec, s[28:29]
	v_cmp_lt_u32_e32 vcc, s57, v10
	v_mov_b32_e32 v1, 0
	s_and_saveexec_b64 s[28:29], vcc
	s_cbranch_execz .LBB6_21032
; %bb.21025:                            ;   in Loop: Header=BB6_20708 Depth=3
	v_lshrrev_b32_e32 v0, 24, v10
	v_cmp_ne_u32_e32 vcc, s97, v0
	v_bfrev_b32_e32 v1, 1
	s_and_saveexec_b64 s[30:31], vcc
	s_cbranch_execz .LBB6_21031
; %bb.21026:                            ;   in Loop: Header=BB6_20708 Depth=3
	v_and_b32_e32 v1, 0x7c000000, v10
	v_bfe_u32 v2, v10, 24, 2
	v_cmp_ne_u32_e32 vcc, s68, v1
                                        ; implicit-def: $vgpr1
	s_and_saveexec_b64 s[62:63], vcc
	s_xor_b64 s[34:35], exec, s[62:63]
	s_cbranch_execz .LBB6_21028
; %bb.21027:                            ;   in Loop: Header=BB6_20708 Depth=3
	v_ffbh_u32_e32 v1, v2
	v_min_u32_e32 v5, 32, v1
	v_subrev_u32_e32 v1, 29, v5
	v_lshlrev_b64 v[0:1], v1, v[0:1]
	v_bfe_u32 v3, v10, 26, 5
	v_sub_u32_e32 v1, 30, v5
	v_and_b32_e32 v0, 3, v0
	v_cmp_eq_u32_e32 vcc, 0, v3
	v_cndmask_b32_e32 v1, v3, v1, vcc
	v_cndmask_b32_e32 v0, v2, v0, vcc
	v_and_b32_e32 v2, 0x80000000, v10
	v_lshl_add_u32 v1, v1, 23, v2
	v_lshl_or_b32 v0, v0, 21, v1
	v_add_u32_e32 v1, 0x38000000, v0
                                        ; implicit-def: $vgpr2
.LBB6_21028:                            ;   in Loop: Header=BB6_20708 Depth=3
	s_andn2_saveexec_b64 s[34:35], s[34:35]
; %bb.21029:                            ;   in Loop: Header=BB6_20708 Depth=3
	v_cmp_lt_i32_e32 vcc, -1, v10
	v_mov_b32_e32 v0, 0xff800000
	v_mov_b32_e32 v1, 0x7f800000
	v_cndmask_b32_e32 v0, v0, v1, vcc
	v_cmp_eq_u32_e32 vcc, 0, v2
	v_mov_b32_e32 v1, 0x7f800001
	v_cndmask_b32_e32 v1, v1, v0, vcc
; %bb.21030:                            ;   in Loop: Header=BB6_20708 Depth=3
	s_or_b64 exec, exec, s[34:35]
.LBB6_21031:                            ;   in Loop: Header=BB6_20708 Depth=3
	s_or_b64 exec, exec, s[30:31]
.LBB6_21032:                            ;   in Loop: Header=BB6_20708 Depth=3
	s_or_b64 exec, exec, s[28:29]
	v_mul_f32_e32 v2, v12, v1
	v_and_b32_e32 v5, 0x7f800000, v2
	v_mov_b32_e32 v6, v33
	v_cmp_ne_u64_e32 vcc, s[76:77], v[5:6]
	v_and_b32_e32 v0, 0x7fffff, v2
	v_mov_b32_e32 v1, v33
                                        ; implicit-def: $vgpr38
	s_and_saveexec_b64 s[28:29], vcc
	s_xor_b64 s[30:31], exec, s[28:29]
	s_cbranch_execz .LBB6_21046
; %bb.21033:                            ;   in Loop: Header=BB6_20708 Depth=3
	v_and_b32_e32 v5, 0x7fffffff, v2
	v_mov_b32_e32 v6, v33
	v_cmp_gt_u64_e32 vcc, s[78:79], v[5:6]
	v_and_b32_sdwa v3, v2, s97 dst_sel:DWORD dst_unused:UNUSED_PAD src0_sel:BYTE_3 src1_sel:DWORD
                                        ; implicit-def: $vgpr38
	s_and_saveexec_b64 s[28:29], vcc
	s_xor_b64 s[34:35], exec, s[28:29]
	s_cbranch_execz .LBB6_21043
; %bb.21034:                            ;   in Loop: Header=BB6_20708 Depth=3
	v_mov_b32_e32 v38, 0
	v_cmp_ne_u32_e32 vcc, 0, v2
	s_and_saveexec_b64 s[36:37], vcc
	s_cbranch_execz .LBB6_21042
; %bb.21035:                            ;   in Loop: Header=BB6_20708 Depth=3
	v_bfe_u32 v5, v2, 23, 8
	v_cmp_gt_u32_e64 s[28:29], s47, v5
	v_sub_u32_e32 v2, 0x71, v5
	v_cmp_eq_u32_e32 vcc, 0, v5
	v_cndmask_b32_e64 v2, 0, v2, s[28:29]
	v_mov_b32_e32 v6, 0x70
	v_cndmask_b32_e32 v6, v2, v6, vcc
	v_or_b32_e32 v7, 0x800000, v0
	v_add_u32_e32 v2, 21, v6
	v_cndmask_b32_e32 v0, v7, v0, vcc
	v_lshlrev_b64 v[7:8], v2, -1
	v_add_u32_e32 v2, 20, v6
	v_bfi_b32 v7, v7, 0, v0
	v_lshlrev_b64 v[13:14], v2, 1
	v_lshrrev_b64 v[0:1], v6, v[0:1]
	v_bfi_b32 v8, v8, 0, 0
	v_cmp_eq_u64_e64 s[28:29], v[7:8], v[13:14]
	v_mov_b32_e32 v2, v1
	v_mov_b32_e32 v1, v0
	s_and_saveexec_b64 s[38:39], s[28:29]
; %bb.21036:                            ;   in Loop: Header=BB6_20708 Depth=3
	v_bfe_u32 v1, v0, 21, 1
	v_add_co_u32_e64 v1, s[28:29], v0, v1
	v_add_co_u32_e64 v1, s[28:29], -1, v1
; %bb.21037:                            ;   in Loop: Header=BB6_20708 Depth=3
	s_or_b64 exec, exec, s[38:39]
	v_add_u32_e32 v2, 0xffffff81, v5
	v_mov_b32_e32 v5, 0xffffff82
	v_cndmask_b32_e32 v2, v2, v5, vcc
	v_lshrrev_b32_e32 v5, 23, v0
	v_add3_u32 v6, v6, v2, v5
	v_add_u32_e32 v5, 14, v6
	v_and_b32_e32 v1, 0x1fffff, v1
	v_add_u32_e32 v0, v1, v0
	v_mov_b32_e32 v1, v33
	v_cmp_ne_u32_e32 vcc, 0, v5
                                        ; implicit-def: $vgpr2
	s_and_saveexec_b64 s[28:29], vcc
	s_xor_b64 s[28:29], exec, s[28:29]
; %bb.21038:                            ;   in Loop: Header=BB6_20708 Depth=3
	v_cmp_lt_u64_e32 vcc, s[88:89], v[0:1]
	v_add_u32_e32 v2, 15, v6
	v_cndmask_b32_e32 v2, v5, v2, vcc
	v_cndmask_b32_e64 v5, 0, 1, vcc
	v_lshrrev_b64 v[0:1], v5, v[0:1]
; %bb.21039:                            ;   in Loop: Header=BB6_20708 Depth=3
	s_andn2_saveexec_b64 s[28:29], s[28:29]
; %bb.21040:                            ;   in Loop: Header=BB6_20708 Depth=3
	v_bfe_u32 v2, v0, 23, 1
; %bb.21041:                            ;   in Loop: Header=BB6_20708 Depth=3
	s_or_b64 exec, exec, s[28:29]
	v_lshrrev_b64 v[0:1], 21, v[0:1]
	v_cmp_gt_i32_e32 vcc, 32, v2
	v_cndmask_b32_e32 v1, 0, v1, vcc
	v_cndmask_b32_e32 v0, 3, v0, vcc
	v_cmp_eq_u64_e64 s[28:29], 0, v[0:1]
	v_min_i32_e32 v1, 31, v2
	v_lshlrev_b32_e32 v1, 2, v1
	v_cmp_eq_u32_e32 vcc, 0, v2
	v_and_b32_e32 v1, 0xfc, v1
	v_and_or_b32 v0, v0, 3, v1
	s_and_b64 s[28:29], vcc, s[28:29]
	v_cndmask_b32_e64 v0, v0, 0, s[28:29]
	v_or_b32_e32 v38, v0, v3
.LBB6_21042:                            ;   in Loop: Header=BB6_20708 Depth=3
	s_or_b64 exec, exec, s[36:37]
                                        ; implicit-def: $vgpr3
.LBB6_21043:                            ;   in Loop: Header=BB6_20708 Depth=3
	s_andn2_saveexec_b64 s[28:29], s[34:35]
; %bb.21044:                            ;   in Loop: Header=BB6_20708 Depth=3
	v_or_b32_e32 v38, 0x7b, v3
; %bb.21045:                            ;   in Loop: Header=BB6_20708 Depth=3
	s_or_b64 exec, exec, s[28:29]
                                        ; implicit-def: $vgpr2
                                        ; implicit-def: $vgpr0_vgpr1
.LBB6_21046:                            ;   in Loop: Header=BB6_20708 Depth=3
	s_andn2_saveexec_b64 s[28:29], s[30:31]
	s_cbranch_execz .LBB6_21052
; %bb.21047:                            ;   in Loop: Header=BB6_20708 Depth=3
	v_cmp_ne_u64_e32 vcc, 0, v[0:1]
                                        ; implicit-def: $vgpr38
	s_and_saveexec_b64 s[62:63], vcc
	s_xor_b64 vcc, exec, s[62:63]
; %bb.21048:                            ;   in Loop: Header=BB6_20708 Depth=3
	v_or_b32_sdwa v38, v2, s44 dst_sel:DWORD dst_unused:UNUSED_PAD src0_sel:BYTE_3 src1_sel:DWORD
                                        ; implicit-def: $vgpr2
; %bb.21049:                            ;   in Loop: Header=BB6_20708 Depth=3
	s_andn2_saveexec_b64 s[30:31], vcc
; %bb.21050:                            ;   in Loop: Header=BB6_20708 Depth=3
	v_cmp_lt_i32_e32 vcc, -1, v2
	v_bfrev_b32_e32 v0, 0.5
	v_mov_b32_e32 v1, 0x7c
	v_cndmask_b32_e32 v38, v0, v1, vcc
; %bb.21051:                            ;   in Loop: Header=BB6_20708 Depth=3
	s_or_b64 exec, exec, s[30:31]
.LBB6_21052:                            ;   in Loop: Header=BB6_20708 Depth=3
	s_or_b64 exec, exec, s[28:29]
	v_mov_b32_e32 v0, v11
	v_mov_b32_e32 v1, v33
	v_cmp_ne_u16_sdwa s[62:63], v11, v33 src0_sel:BYTE_0 src1_sel:DWORD
	v_mov_b32_e32 v2, 0
	s_and_saveexec_b64 s[28:29], s[62:63]
	s_cbranch_execz .LBB6_21060
; %bb.21053:                            ;   in Loop: Header=BB6_20708 Depth=3
	v_cmp_ne_u16_sdwa s[62:63], v11, s97 src0_sel:BYTE_0 src1_sel:DWORD
	v_bfrev_b32_e32 v2, 1
	s_and_saveexec_b64 s[30:31], s[62:63]
	s_cbranch_execz .LBB6_21059
; %bb.21054:                            ;   in Loop: Header=BB6_20708 Depth=3
	v_and_b32_e32 v2, 0x7c, v11
	v_and_b32_e32 v3, 3, v11
	v_cmp_ne_u32_e32 vcc, s86, v2
                                        ; implicit-def: $vgpr2
	s_and_saveexec_b64 s[62:63], vcc
	s_xor_b64 s[34:35], exec, s[62:63]
	s_cbranch_execz .LBB6_21056
; %bb.21055:                            ;   in Loop: Header=BB6_20708 Depth=3
	v_ffbh_u32_e32 v2, v3
	v_min_u32_e32 v6, 32, v2
	v_subrev_u32_e32 v2, 29, v6
	v_lshlrev_b64 v[1:2], v2, v[0:1]
	v_bfe_u32 v5, v11, 2, 5
	v_and_b32_e32 v1, 3, v1
	v_cmp_eq_u32_e32 vcc, 0, v5
	v_sub_u32_e32 v2, 30, v6
	v_cndmask_b32_e32 v1, v3, v1, vcc
	v_lshlrev_b32_e32 v3, 24, v11
	v_cndmask_b32_e32 v2, v5, v2, vcc
	v_and_b32_e32 v3, 0x80000000, v3
	v_lshl_add_u32 v2, v2, 23, v3
	v_lshl_or_b32 v1, v1, 21, v2
	v_add_u32_e32 v2, 0x38000000, v1
                                        ; implicit-def: $vgpr3
.LBB6_21056:                            ;   in Loop: Header=BB6_20708 Depth=3
	s_andn2_saveexec_b64 s[34:35], s[34:35]
; %bb.21057:                            ;   in Loop: Header=BB6_20708 Depth=3
	v_mov_b32_e32 v1, -1
	v_cmp_gt_i16_sdwa vcc, sext(v11), v1 src0_sel:BYTE_0 src1_sel:DWORD
	v_mov_b32_e32 v1, 0xff800000
	v_mov_b32_e32 v2, 0x7f800000
	v_cndmask_b32_e32 v1, v1, v2, vcc
	v_cmp_eq_u32_e32 vcc, 0, v3
	v_mov_b32_e32 v2, 0x7f800001
	v_cndmask_b32_e32 v2, v2, v1, vcc
; %bb.21058:                            ;   in Loop: Header=BB6_20708 Depth=3
	s_or_b64 exec, exec, s[34:35]
.LBB6_21059:                            ;   in Loop: Header=BB6_20708 Depth=3
	s_or_b64 exec, exec, s[30:31]
.LBB6_21060:                            ;   in Loop: Header=BB6_20708 Depth=3
	s_or_b64 exec, exec, s[28:29]
	v_mul_f32_e32 v3, v12, v2
	v_and_b32_e32 v5, 0x7f800000, v3
	v_mov_b32_e32 v6, v33
	v_cmp_ne_u64_e32 vcc, s[76:77], v[5:6]
	v_and_b32_e32 v1, 0x7fffff, v3
	v_mov_b32_e32 v2, v33
                                        ; implicit-def: $vgpr41
	s_and_saveexec_b64 s[28:29], vcc
	s_xor_b64 s[30:31], exec, s[28:29]
	s_cbranch_execz .LBB6_21074
; %bb.21061:                            ;   in Loop: Header=BB6_20708 Depth=3
	v_and_b32_e32 v5, 0x7fffffff, v3
	v_mov_b32_e32 v6, v33
	v_cmp_gt_u64_e32 vcc, s[78:79], v[5:6]
	v_and_b32_sdwa v5, v3, s97 dst_sel:DWORD dst_unused:UNUSED_PAD src0_sel:BYTE_3 src1_sel:DWORD
                                        ; implicit-def: $vgpr41
	s_and_saveexec_b64 s[28:29], vcc
	s_xor_b64 s[34:35], exec, s[28:29]
	s_cbranch_execz .LBB6_21071
; %bb.21062:                            ;   in Loop: Header=BB6_20708 Depth=3
	v_mov_b32_e32 v41, 0
	v_cmp_ne_u32_e32 vcc, 0, v3
	s_and_saveexec_b64 s[36:37], vcc
	s_cbranch_execz .LBB6_21070
; %bb.21063:                            ;   in Loop: Header=BB6_20708 Depth=3
	v_bfe_u32 v6, v3, 23, 8
	v_cmp_gt_u32_e64 s[28:29], s47, v6
	v_sub_u32_e32 v3, 0x71, v6
	v_cmp_eq_u32_e32 vcc, 0, v6
	v_cndmask_b32_e64 v3, 0, v3, s[28:29]
	v_mov_b32_e32 v7, 0x70
	v_cndmask_b32_e32 v7, v3, v7, vcc
	v_or_b32_e32 v8, 0x800000, v1
	v_add_u32_e32 v3, 21, v7
	v_cndmask_b32_e32 v1, v8, v1, vcc
	v_lshlrev_b64 v[8:9], v3, -1
	v_add_u32_e32 v3, 20, v7
	v_bfi_b32 v8, v8, 0, v1
	v_lshlrev_b64 v[13:14], v3, 1
	v_lshrrev_b64 v[1:2], v7, v[1:2]
	v_bfi_b32 v9, v9, 0, 0
	v_cmp_eq_u64_e64 s[28:29], v[8:9], v[13:14]
	v_mov_b32_e32 v3, v2
	v_mov_b32_e32 v2, v1
	s_and_saveexec_b64 s[38:39], s[28:29]
; %bb.21064:                            ;   in Loop: Header=BB6_20708 Depth=3
	v_bfe_u32 v2, v1, 21, 1
	v_add_co_u32_e64 v2, s[28:29], v1, v2
	v_add_co_u32_e64 v2, s[28:29], -1, v2
; %bb.21065:                            ;   in Loop: Header=BB6_20708 Depth=3
	s_or_b64 exec, exec, s[38:39]
	v_add_u32_e32 v3, 0xffffff81, v6
	v_mov_b32_e32 v6, 0xffffff82
	v_cndmask_b32_e32 v3, v3, v6, vcc
	v_lshrrev_b32_e32 v6, 23, v1
	v_add3_u32 v7, v7, v3, v6
	v_add_u32_e32 v6, 14, v7
	v_and_b32_e32 v2, 0x1fffff, v2
	v_add_u32_e32 v1, v2, v1
	v_mov_b32_e32 v2, v33
	v_cmp_ne_u32_e32 vcc, 0, v6
                                        ; implicit-def: $vgpr3
	s_and_saveexec_b64 s[28:29], vcc
	s_xor_b64 s[28:29], exec, s[28:29]
; %bb.21066:                            ;   in Loop: Header=BB6_20708 Depth=3
	v_cmp_lt_u64_e32 vcc, s[88:89], v[1:2]
	v_add_u32_e32 v3, 15, v7
	v_cndmask_b32_e32 v3, v6, v3, vcc
	v_cndmask_b32_e64 v6, 0, 1, vcc
	v_lshrrev_b64 v[1:2], v6, v[1:2]
; %bb.21067:                            ;   in Loop: Header=BB6_20708 Depth=3
	s_andn2_saveexec_b64 s[28:29], s[28:29]
; %bb.21068:                            ;   in Loop: Header=BB6_20708 Depth=3
	v_bfe_u32 v3, v1, 23, 1
; %bb.21069:                            ;   in Loop: Header=BB6_20708 Depth=3
	s_or_b64 exec, exec, s[28:29]
	v_lshrrev_b64 v[1:2], 21, v[1:2]
	v_cmp_gt_i32_e32 vcc, 32, v3
	v_cndmask_b32_e32 v2, 0, v2, vcc
	v_cndmask_b32_e32 v1, 3, v1, vcc
	v_cmp_eq_u64_e64 s[28:29], 0, v[1:2]
	v_min_i32_e32 v2, 31, v3
	v_lshlrev_b32_e32 v2, 2, v2
	v_cmp_eq_u32_e32 vcc, 0, v3
	v_and_b32_e32 v2, 0xfc, v2
	v_and_or_b32 v1, v1, 3, v2
	s_and_b64 s[28:29], vcc, s[28:29]
	v_cndmask_b32_e64 v1, v1, 0, s[28:29]
	v_or_b32_e32 v41, v1, v5
.LBB6_21070:                            ;   in Loop: Header=BB6_20708 Depth=3
	s_or_b64 exec, exec, s[36:37]
                                        ; implicit-def: $vgpr5
.LBB6_21071:                            ;   in Loop: Header=BB6_20708 Depth=3
	s_andn2_saveexec_b64 s[28:29], s[34:35]
; %bb.21072:                            ;   in Loop: Header=BB6_20708 Depth=3
	v_or_b32_e32 v41, 0x7b, v5
; %bb.21073:                            ;   in Loop: Header=BB6_20708 Depth=3
	s_or_b64 exec, exec, s[28:29]
                                        ; implicit-def: $vgpr3
                                        ; implicit-def: $vgpr1_vgpr2
.LBB6_21074:                            ;   in Loop: Header=BB6_20708 Depth=3
	s_andn2_saveexec_b64 s[28:29], s[30:31]
	s_cbranch_execz .LBB6_21080
; %bb.21075:                            ;   in Loop: Header=BB6_20708 Depth=3
	v_cmp_ne_u64_e32 vcc, 0, v[1:2]
                                        ; implicit-def: $vgpr41
	s_and_saveexec_b64 s[62:63], vcc
	s_xor_b64 vcc, exec, s[62:63]
; %bb.21076:                            ;   in Loop: Header=BB6_20708 Depth=3
	v_or_b32_sdwa v41, v3, s44 dst_sel:DWORD dst_unused:UNUSED_PAD src0_sel:BYTE_3 src1_sel:DWORD
                                        ; implicit-def: $vgpr3
; %bb.21077:                            ;   in Loop: Header=BB6_20708 Depth=3
	s_andn2_saveexec_b64 s[30:31], vcc
; %bb.21078:                            ;   in Loop: Header=BB6_20708 Depth=3
	v_cmp_lt_i32_e32 vcc, -1, v3
	v_bfrev_b32_e32 v1, 0.5
	v_mov_b32_e32 v2, 0x7c
	v_cndmask_b32_e32 v41, v1, v2, vcc
; %bb.21079:                            ;   in Loop: Header=BB6_20708 Depth=3
	s_or_b64 exec, exec, s[30:31]
.LBB6_21080:                            ;   in Loop: Header=BB6_20708 Depth=3
	s_or_b64 exec, exec, s[28:29]
	v_lshrrev_b16_e32 v1, 8, v0
	v_cmp_ne_u16_e32 vcc, 0, v1
	v_mov_b32_e32 v2, 0
	s_and_saveexec_b64 s[28:29], vcc
	s_cbranch_execz .LBB6_21088
; %bb.21081:                            ;   in Loop: Header=BB6_20708 Depth=3
	v_cmp_ne_u16_e32 vcc, s97, v1
	v_bfrev_b32_e32 v2, 1
	s_and_saveexec_b64 s[30:31], vcc
	s_cbranch_execz .LBB6_21087
; %bb.21082:                            ;   in Loop: Header=BB6_20708 Depth=3
	v_and_b32_e32 v2, 0x7c, v1
	v_and_b32_e32 v3, 3, v1
	v_cmp_ne_u32_e32 vcc, s86, v2
                                        ; implicit-def: $vgpr2
	s_and_saveexec_b64 s[62:63], vcc
	s_xor_b64 s[34:35], exec, s[62:63]
	s_cbranch_execz .LBB6_21084
; %bb.21083:                            ;   in Loop: Header=BB6_20708 Depth=3
	v_ffbh_u32_e32 v6, v3
	v_min_u32_e32 v6, 32, v6
	v_mov_b32_e32 v2, v33
	v_subrev_u32_e32 v7, 29, v6
	v_bfe_u32 v5, v1, 2, 5
	v_lshlrev_b64 v[1:2], v7, v[1:2]
	v_sub_u32_e32 v2, 30, v6
	v_cmp_eq_u32_e32 vcc, 0, v5
	v_lshlrev_b32_e32 v0, 16, v0
	v_and_b32_e32 v1, 3, v1
	v_cndmask_b32_e32 v2, v5, v2, vcc
	v_and_b32_e32 v0, 0x80000000, v0
	v_cndmask_b32_e32 v1, v3, v1, vcc
	v_lshl_add_u32 v0, v2, 23, v0
	v_lshl_or_b32 v0, v1, 21, v0
	v_add_u32_e32 v2, 0x38000000, v0
                                        ; implicit-def: $vgpr3
                                        ; implicit-def: $vgpr0_vgpr1
.LBB6_21084:                            ;   in Loop: Header=BB6_20708 Depth=3
	s_andn2_saveexec_b64 s[34:35], s[34:35]
; %bb.21085:                            ;   in Loop: Header=BB6_20708 Depth=3
	v_cmp_lt_i16_e32 vcc, -1, v0
	v_mov_b32_e32 v0, 0xff800000
	v_mov_b32_e32 v1, 0x7f800000
	v_cndmask_b32_e32 v0, v0, v1, vcc
	v_cmp_eq_u32_e32 vcc, 0, v3
	v_mov_b32_e32 v1, 0x7f800001
	v_cndmask_b32_e32 v2, v1, v0, vcc
; %bb.21086:                            ;   in Loop: Header=BB6_20708 Depth=3
	s_or_b64 exec, exec, s[34:35]
.LBB6_21087:                            ;   in Loop: Header=BB6_20708 Depth=3
	s_or_b64 exec, exec, s[30:31]
.LBB6_21088:                            ;   in Loop: Header=BB6_20708 Depth=3
	s_or_b64 exec, exec, s[28:29]
	v_mul_f32_e32 v2, v12, v2
	v_and_b32_e32 v5, 0x7f800000, v2
	v_mov_b32_e32 v6, v33
	v_cmp_ne_u64_e32 vcc, s[76:77], v[5:6]
	v_and_b32_e32 v0, 0x7fffff, v2
	v_mov_b32_e32 v1, v33
                                        ; implicit-def: $vgpr3
                                        ; kill: killed $vgpr3
	s_and_saveexec_b64 s[28:29], vcc
	s_xor_b64 s[30:31], exec, s[28:29]
	s_cbranch_execz .LBB6_21102
; %bb.21089:                            ;   in Loop: Header=BB6_20708 Depth=3
	v_and_b32_e32 v5, 0x7fffffff, v2
	v_mov_b32_e32 v6, v33
	v_cmp_gt_u64_e32 vcc, s[78:79], v[5:6]
	v_and_b32_sdwa v3, v2, s97 dst_sel:DWORD dst_unused:UNUSED_PAD src0_sel:BYTE_3 src1_sel:DWORD
                                        ; implicit-def: $vgpr5
                                        ; kill: killed $vgpr5
	s_and_saveexec_b64 s[28:29], vcc
	s_xor_b64 s[34:35], exec, s[28:29]
	s_cbranch_execz .LBB6_21099
; %bb.21090:                            ;   in Loop: Header=BB6_20708 Depth=3
	v_mov_b32_e32 v5, 0
	v_cmp_ne_u32_e32 vcc, 0, v2
	buffer_store_dword v5, off, s[0:3], s33 offset:372 ; 4-byte Folded Spill
	s_and_saveexec_b64 s[36:37], vcc
	s_cbranch_execz .LBB6_21098
; %bb.21091:                            ;   in Loop: Header=BB6_20708 Depth=3
	v_bfe_u32 v5, v2, 23, 8
	v_cmp_gt_u32_e64 s[28:29], s47, v5
	v_sub_u32_e32 v2, 0x71, v5
	v_cmp_eq_u32_e32 vcc, 0, v5
	v_cndmask_b32_e64 v2, 0, v2, s[28:29]
	v_mov_b32_e32 v6, 0x70
	v_cndmask_b32_e32 v6, v2, v6, vcc
	v_or_b32_e32 v7, 0x800000, v0
	v_add_u32_e32 v2, 21, v6
	v_cndmask_b32_e32 v0, v7, v0, vcc
	v_lshlrev_b64 v[7:8], v2, -1
	v_add_u32_e32 v2, 20, v6
	v_bfi_b32 v7, v7, 0, v0
	v_lshlrev_b64 v[13:14], v2, 1
	v_lshrrev_b64 v[0:1], v6, v[0:1]
	v_bfi_b32 v8, v8, 0, 0
	v_cmp_eq_u64_e64 s[28:29], v[7:8], v[13:14]
	v_mov_b32_e32 v2, v1
	v_mov_b32_e32 v1, v0
	s_and_saveexec_b64 s[38:39], s[28:29]
; %bb.21092:                            ;   in Loop: Header=BB6_20708 Depth=3
	v_bfe_u32 v1, v0, 21, 1
	v_add_co_u32_e64 v1, s[28:29], v0, v1
	v_add_co_u32_e64 v1, s[28:29], -1, v1
; %bb.21093:                            ;   in Loop: Header=BB6_20708 Depth=3
	s_or_b64 exec, exec, s[38:39]
	v_add_u32_e32 v2, 0xffffff81, v5
	v_mov_b32_e32 v5, 0xffffff82
	v_cndmask_b32_e32 v2, v2, v5, vcc
	v_lshrrev_b32_e32 v5, 23, v0
	v_add3_u32 v6, v6, v2, v5
	v_add_u32_e32 v5, 14, v6
	v_and_b32_e32 v1, 0x1fffff, v1
	v_add_u32_e32 v0, v1, v0
	v_mov_b32_e32 v1, v33
	v_cmp_ne_u32_e32 vcc, 0, v5
                                        ; implicit-def: $vgpr2
	s_and_saveexec_b64 s[28:29], vcc
	s_xor_b64 s[28:29], exec, s[28:29]
; %bb.21094:                            ;   in Loop: Header=BB6_20708 Depth=3
	v_cmp_lt_u64_e32 vcc, s[88:89], v[0:1]
	v_add_u32_e32 v2, 15, v6
	v_cndmask_b32_e32 v2, v5, v2, vcc
	v_cndmask_b32_e64 v5, 0, 1, vcc
	v_lshrrev_b64 v[0:1], v5, v[0:1]
; %bb.21095:                            ;   in Loop: Header=BB6_20708 Depth=3
	s_andn2_saveexec_b64 s[28:29], s[28:29]
; %bb.21096:                            ;   in Loop: Header=BB6_20708 Depth=3
	v_bfe_u32 v2, v0, 23, 1
; %bb.21097:                            ;   in Loop: Header=BB6_20708 Depth=3
	s_or_b64 exec, exec, s[28:29]
	v_lshrrev_b64 v[0:1], 21, v[0:1]
	v_cmp_gt_i32_e32 vcc, 32, v2
	v_cndmask_b32_e32 v1, 0, v1, vcc
	v_cndmask_b32_e32 v0, 3, v0, vcc
	v_cmp_eq_u64_e64 s[28:29], 0, v[0:1]
	v_min_i32_e32 v1, 31, v2
	v_lshlrev_b32_e32 v1, 2, v1
	v_cmp_eq_u32_e32 vcc, 0, v2
	v_and_b32_e32 v1, 0xfc, v1
	v_and_or_b32 v0, v0, 3, v1
	s_and_b64 s[28:29], vcc, s[28:29]
	v_cndmask_b32_e64 v0, v0, 0, s[28:29]
	v_or_b32_e32 v0, v0, v3
	buffer_store_dword v0, off, s[0:3], s33 offset:372 ; 4-byte Folded Spill
.LBB6_21098:                            ;   in Loop: Header=BB6_20708 Depth=3
	s_or_b64 exec, exec, s[36:37]
                                        ; implicit-def: $vgpr3
.LBB6_21099:                            ;   in Loop: Header=BB6_20708 Depth=3
	s_andn2_saveexec_b64 s[28:29], s[34:35]
	s_cbranch_execz .LBB6_21101
; %bb.21100:                            ;   in Loop: Header=BB6_20708 Depth=3
	v_or_b32_e32 v0, 0x7b, v3
	buffer_store_dword v0, off, s[0:3], s33 offset:372 ; 4-byte Folded Spill
.LBB6_21101:                            ;   in Loop: Header=BB6_20708 Depth=3
	s_or_b64 exec, exec, s[28:29]
                                        ; implicit-def: $vgpr2
                                        ; implicit-def: $vgpr0_vgpr1
.LBB6_21102:                            ;   in Loop: Header=BB6_20708 Depth=3
	s_andn2_saveexec_b64 s[28:29], s[30:31]
	s_cbranch_execz .LBB6_21108
; %bb.21103:                            ;   in Loop: Header=BB6_20708 Depth=3
	v_cmp_ne_u64_e32 vcc, 0, v[0:1]
                                        ; implicit-def: $vgpr0
                                        ; kill: killed $vgpr0
	s_and_saveexec_b64 s[62:63], vcc
	s_xor_b64 vcc, exec, s[62:63]
	s_cbranch_execz .LBB6_21105
; %bb.21104:                            ;   in Loop: Header=BB6_20708 Depth=3
	v_or_b32_sdwa v0, v2, s44 dst_sel:DWORD dst_unused:UNUSED_PAD src0_sel:BYTE_3 src1_sel:DWORD
	buffer_store_dword v0, off, s[0:3], s33 offset:372 ; 4-byte Folded Spill
                                        ; implicit-def: $vgpr2
.LBB6_21105:                            ;   in Loop: Header=BB6_20708 Depth=3
	s_andn2_saveexec_b64 s[30:31], vcc
	s_cbranch_execz .LBB6_21107
; %bb.21106:                            ;   in Loop: Header=BB6_20708 Depth=3
	v_cmp_lt_i32_e32 vcc, -1, v2
	v_bfrev_b32_e32 v0, 0.5
	v_mov_b32_e32 v1, 0x7c
	v_cndmask_b32_e32 v0, v0, v1, vcc
	buffer_store_dword v0, off, s[0:3], s33 offset:372 ; 4-byte Folded Spill
.LBB6_21107:                            ;   in Loop: Header=BB6_20708 Depth=3
	s_or_b64 exec, exec, s[30:31]
.LBB6_21108:                            ;   in Loop: Header=BB6_20708 Depth=3
	s_or_b64 exec, exec, s[28:29]
	v_lshrrev_b32_e32 v0, 16, v11
	v_cmp_ne_u16_sdwa s[62:63], v0, v33 src0_sel:BYTE_0 src1_sel:DWORD
	v_mov_b32_e32 v1, 0
	s_and_saveexec_b64 s[28:29], s[62:63]
	s_cbranch_execz .LBB6_21116
; %bb.21109:                            ;   in Loop: Header=BB6_20708 Depth=3
	v_cmp_ne_u16_sdwa s[62:63], v0, s97 src0_sel:BYTE_0 src1_sel:DWORD
	v_bfrev_b32_e32 v1, 1
	s_and_saveexec_b64 s[30:31], s[62:63]
	s_cbranch_execz .LBB6_21115
; %bb.21110:                            ;   in Loop: Header=BB6_20708 Depth=3
	v_and_b32_e32 v1, 0x7c0000, v11
	v_bfe_u32 v2, v11, 16, 2
	v_cmp_ne_u32_e32 vcc, s45, v1
                                        ; implicit-def: $vgpr1
	s_and_saveexec_b64 s[62:63], vcc
	s_xor_b64 s[34:35], exec, s[62:63]
	s_cbranch_execz .LBB6_21112
; %bb.21111:                            ;   in Loop: Header=BB6_20708 Depth=3
	v_ffbh_u32_e32 v1, v2
	v_min_u32_e32 v6, 32, v1
	v_subrev_u32_e32 v1, 29, v6
	v_lshlrev_b64 v[0:1], v1, v[0:1]
	v_bfe_u32 v3, v11, 18, 5
	v_and_b32_e32 v0, 3, v0
	v_cmp_eq_u32_e32 vcc, 0, v3
	v_sub_u32_e32 v1, 30, v6
	v_cndmask_b32_e32 v0, v2, v0, vcc
	v_lshlrev_b32_e32 v2, 8, v11
	v_cndmask_b32_e32 v1, v3, v1, vcc
	v_and_b32_e32 v2, 0x80000000, v2
	v_lshl_add_u32 v1, v1, 23, v2
	v_lshl_or_b32 v0, v0, 21, v1
	v_add_u32_e32 v1, 0x38000000, v0
                                        ; implicit-def: $vgpr2
                                        ; implicit-def: $vgpr0
.LBB6_21112:                            ;   in Loop: Header=BB6_20708 Depth=3
	s_andn2_saveexec_b64 s[34:35], s[34:35]
; %bb.21113:                            ;   in Loop: Header=BB6_20708 Depth=3
	v_mov_b32_e32 v1, -1
	v_cmp_gt_i16_sdwa vcc, sext(v0), v1 src0_sel:BYTE_0 src1_sel:DWORD
	v_mov_b32_e32 v0, 0xff800000
	v_mov_b32_e32 v1, 0x7f800000
	v_cndmask_b32_e32 v0, v0, v1, vcc
	v_cmp_eq_u32_e32 vcc, 0, v2
	v_mov_b32_e32 v1, 0x7f800001
	v_cndmask_b32_e32 v1, v1, v0, vcc
; %bb.21114:                            ;   in Loop: Header=BB6_20708 Depth=3
	s_or_b64 exec, exec, s[34:35]
.LBB6_21115:                            ;   in Loop: Header=BB6_20708 Depth=3
	s_or_b64 exec, exec, s[30:31]
.LBB6_21116:                            ;   in Loop: Header=BB6_20708 Depth=3
	s_or_b64 exec, exec, s[28:29]
	v_mul_f32_e32 v2, v12, v1
	v_and_b32_e32 v6, 0x7f800000, v2
	v_mov_b32_e32 v7, v33
	v_cmp_ne_u64_e32 vcc, s[76:77], v[6:7]
	v_and_b32_e32 v0, 0x7fffff, v2
	v_mov_b32_e32 v1, v33
                                        ; implicit-def: $vgpr25
	s_and_saveexec_b64 s[28:29], vcc
	s_xor_b64 s[30:31], exec, s[28:29]
	s_cbranch_execz .LBB6_21130
; %bb.21117:                            ;   in Loop: Header=BB6_20708 Depth=3
	v_and_b32_e32 v6, 0x7fffffff, v2
	v_mov_b32_e32 v7, v33
	v_cmp_gt_u64_e32 vcc, s[78:79], v[6:7]
	v_and_b32_sdwa v3, v2, s97 dst_sel:DWORD dst_unused:UNUSED_PAD src0_sel:BYTE_3 src1_sel:DWORD
                                        ; implicit-def: $vgpr25
	s_and_saveexec_b64 s[28:29], vcc
	s_xor_b64 s[34:35], exec, s[28:29]
	s_cbranch_execz .LBB6_21127
; %bb.21118:                            ;   in Loop: Header=BB6_20708 Depth=3
	v_mov_b32_e32 v25, 0
	v_cmp_ne_u32_e32 vcc, 0, v2
	s_and_saveexec_b64 s[36:37], vcc
	s_cbranch_execz .LBB6_21126
; %bb.21119:                            ;   in Loop: Header=BB6_20708 Depth=3
	v_bfe_u32 v6, v2, 23, 8
	v_cmp_gt_u32_e64 s[28:29], s47, v6
	v_sub_u32_e32 v2, 0x71, v6
	v_cmp_eq_u32_e32 vcc, 0, v6
	v_cndmask_b32_e64 v2, 0, v2, s[28:29]
	v_mov_b32_e32 v7, 0x70
	v_cndmask_b32_e32 v7, v2, v7, vcc
	v_or_b32_e32 v8, 0x800000, v0
	v_add_u32_e32 v2, 21, v7
	v_cndmask_b32_e32 v0, v8, v0, vcc
	v_lshlrev_b64 v[8:9], v2, -1
	v_add_u32_e32 v2, 20, v7
	v_bfi_b32 v8, v8, 0, v0
	v_lshlrev_b64 v[13:14], v2, 1
	v_lshrrev_b64 v[0:1], v7, v[0:1]
	v_bfi_b32 v9, v9, 0, 0
	v_cmp_eq_u64_e64 s[28:29], v[8:9], v[13:14]
	v_mov_b32_e32 v2, v1
	v_mov_b32_e32 v1, v0
	s_and_saveexec_b64 s[38:39], s[28:29]
; %bb.21120:                            ;   in Loop: Header=BB6_20708 Depth=3
	v_bfe_u32 v1, v0, 21, 1
	v_add_co_u32_e64 v1, s[28:29], v0, v1
	v_add_co_u32_e64 v1, s[28:29], -1, v1
; %bb.21121:                            ;   in Loop: Header=BB6_20708 Depth=3
	s_or_b64 exec, exec, s[38:39]
	v_add_u32_e32 v2, 0xffffff81, v6
	v_mov_b32_e32 v6, 0xffffff82
	v_cndmask_b32_e32 v2, v2, v6, vcc
	v_lshrrev_b32_e32 v6, 23, v0
	v_add3_u32 v7, v7, v2, v6
	v_add_u32_e32 v6, 14, v7
	v_and_b32_e32 v1, 0x1fffff, v1
	v_add_u32_e32 v0, v1, v0
	v_mov_b32_e32 v1, v33
	v_cmp_ne_u32_e32 vcc, 0, v6
                                        ; implicit-def: $vgpr2
	s_and_saveexec_b64 s[28:29], vcc
	s_xor_b64 s[28:29], exec, s[28:29]
; %bb.21122:                            ;   in Loop: Header=BB6_20708 Depth=3
	v_cmp_lt_u64_e32 vcc, s[88:89], v[0:1]
	v_add_u32_e32 v2, 15, v7
	v_cndmask_b32_e32 v2, v6, v2, vcc
	v_cndmask_b32_e64 v6, 0, 1, vcc
	v_lshrrev_b64 v[0:1], v6, v[0:1]
; %bb.21123:                            ;   in Loop: Header=BB6_20708 Depth=3
	s_andn2_saveexec_b64 s[28:29], s[28:29]
; %bb.21124:                            ;   in Loop: Header=BB6_20708 Depth=3
	v_bfe_u32 v2, v0, 23, 1
; %bb.21125:                            ;   in Loop: Header=BB6_20708 Depth=3
	s_or_b64 exec, exec, s[28:29]
	v_lshrrev_b64 v[0:1], 21, v[0:1]
	v_cmp_gt_i32_e32 vcc, 32, v2
	v_cndmask_b32_e32 v1, 0, v1, vcc
	v_cndmask_b32_e32 v0, 3, v0, vcc
	v_cmp_eq_u64_e64 s[28:29], 0, v[0:1]
	v_min_i32_e32 v1, 31, v2
	v_lshlrev_b32_e32 v1, 2, v1
	v_cmp_eq_u32_e32 vcc, 0, v2
	v_and_b32_e32 v1, 0xfc, v1
	v_and_or_b32 v0, v0, 3, v1
	s_and_b64 s[28:29], vcc, s[28:29]
	v_cndmask_b32_e64 v0, v0, 0, s[28:29]
	v_or_b32_e32 v25, v0, v3
.LBB6_21126:                            ;   in Loop: Header=BB6_20708 Depth=3
	s_or_b64 exec, exec, s[36:37]
                                        ; implicit-def: $vgpr3
.LBB6_21127:                            ;   in Loop: Header=BB6_20708 Depth=3
	s_andn2_saveexec_b64 s[28:29], s[34:35]
; %bb.21128:                            ;   in Loop: Header=BB6_20708 Depth=3
	v_or_b32_e32 v25, 0x7b, v3
; %bb.21129:                            ;   in Loop: Header=BB6_20708 Depth=3
	s_or_b64 exec, exec, s[28:29]
                                        ; implicit-def: $vgpr2
                                        ; implicit-def: $vgpr0_vgpr1
.LBB6_21130:                            ;   in Loop: Header=BB6_20708 Depth=3
	s_andn2_saveexec_b64 s[28:29], s[30:31]
	s_cbranch_execz .LBB6_21136
; %bb.21131:                            ;   in Loop: Header=BB6_20708 Depth=3
	v_cmp_ne_u64_e32 vcc, 0, v[0:1]
                                        ; implicit-def: $vgpr25
	s_and_saveexec_b64 s[62:63], vcc
	s_xor_b64 vcc, exec, s[62:63]
; %bb.21132:                            ;   in Loop: Header=BB6_20708 Depth=3
	v_or_b32_sdwa v25, v2, s44 dst_sel:DWORD dst_unused:UNUSED_PAD src0_sel:BYTE_3 src1_sel:DWORD
                                        ; implicit-def: $vgpr2
; %bb.21133:                            ;   in Loop: Header=BB6_20708 Depth=3
	s_andn2_saveexec_b64 s[30:31], vcc
; %bb.21134:                            ;   in Loop: Header=BB6_20708 Depth=3
	v_cmp_lt_i32_e32 vcc, -1, v2
	v_bfrev_b32_e32 v0, 0.5
	v_mov_b32_e32 v1, 0x7c
	v_cndmask_b32_e32 v25, v0, v1, vcc
; %bb.21135:                            ;   in Loop: Header=BB6_20708 Depth=3
	s_or_b64 exec, exec, s[30:31]
.LBB6_21136:                            ;   in Loop: Header=BB6_20708 Depth=3
	s_or_b64 exec, exec, s[28:29]
	v_cmp_lt_u64_e32 vcc, s[56:57], v[10:11]
	v_mov_b32_e32 v1, 0
	s_and_saveexec_b64 s[28:29], vcc
	s_cbranch_execz .LBB6_21144
; %bb.21137:                            ;   in Loop: Header=BB6_20708 Depth=3
	v_lshrrev_b32_e32 v0, 24, v11
	v_cmp_ne_u32_e32 vcc, s97, v0
	v_bfrev_b32_e32 v1, 1
	s_and_saveexec_b64 s[30:31], vcc
	s_cbranch_execz .LBB6_21143
; %bb.21138:                            ;   in Loop: Header=BB6_20708 Depth=3
	v_and_b32_e32 v1, 0x7c000000, v11
	v_bfe_u32 v2, v11, 24, 2
	v_cmp_ne_u32_e32 vcc, s68, v1
                                        ; implicit-def: $vgpr1
	s_and_saveexec_b64 s[62:63], vcc
	s_xor_b64 s[34:35], exec, s[62:63]
	s_cbranch_execz .LBB6_21140
; %bb.21139:                            ;   in Loop: Header=BB6_20708 Depth=3
	v_ffbh_u32_e32 v1, v2
	v_min_u32_e32 v6, 32, v1
	v_subrev_u32_e32 v1, 29, v6
	v_lshlrev_b64 v[0:1], v1, v[0:1]
	v_bfe_u32 v3, v11, 26, 5
	v_sub_u32_e32 v1, 30, v6
	v_and_b32_e32 v0, 3, v0
	v_cmp_eq_u32_e32 vcc, 0, v3
	v_cndmask_b32_e32 v1, v3, v1, vcc
	v_cndmask_b32_e32 v0, v2, v0, vcc
	v_and_b32_e32 v2, 0x80000000, v11
	v_lshl_add_u32 v1, v1, 23, v2
	v_lshl_or_b32 v0, v0, 21, v1
	v_add_u32_e32 v1, 0x38000000, v0
                                        ; implicit-def: $vgpr2
                                        ; implicit-def: $vgpr10_vgpr11
.LBB6_21140:                            ;   in Loop: Header=BB6_20708 Depth=3
	s_andn2_saveexec_b64 s[34:35], s[34:35]
; %bb.21141:                            ;   in Loop: Header=BB6_20708 Depth=3
	v_cmp_lt_i64_e32 vcc, -1, v[10:11]
	v_mov_b32_e32 v0, 0xff800000
	v_mov_b32_e32 v1, 0x7f800000
	v_cndmask_b32_e32 v0, v0, v1, vcc
	v_cmp_eq_u32_e32 vcc, 0, v2
	v_mov_b32_e32 v1, 0x7f800001
	v_cndmask_b32_e32 v1, v1, v0, vcc
; %bb.21142:                            ;   in Loop: Header=BB6_20708 Depth=3
	s_or_b64 exec, exec, s[34:35]
.LBB6_21143:                            ;   in Loop: Header=BB6_20708 Depth=3
	s_or_b64 exec, exec, s[30:31]
.LBB6_21144:                            ;   in Loop: Header=BB6_20708 Depth=3
	s_or_b64 exec, exec, s[28:29]
	v_mul_f32_e32 v2, v12, v1
	v_and_b32_e32 v6, 0x7f800000, v2
	v_mov_b32_e32 v7, v33
	v_cmp_ne_u64_e32 vcc, s[76:77], v[6:7]
	v_and_b32_e32 v0, 0x7fffff, v2
	v_mov_b32_e32 v1, v33
                                        ; implicit-def: $vgpr32
	s_and_saveexec_b64 s[28:29], vcc
	s_xor_b64 s[30:31], exec, s[28:29]
	s_cbranch_execz .LBB6_21158
; %bb.21145:                            ;   in Loop: Header=BB6_20708 Depth=3
	v_and_b32_e32 v6, 0x7fffffff, v2
	v_mov_b32_e32 v7, v33
	v_cmp_gt_u64_e32 vcc, s[78:79], v[6:7]
	v_and_b32_sdwa v3, v2, s97 dst_sel:DWORD dst_unused:UNUSED_PAD src0_sel:BYTE_3 src1_sel:DWORD
                                        ; implicit-def: $vgpr32
	s_and_saveexec_b64 s[28:29], vcc
	s_xor_b64 s[34:35], exec, s[28:29]
	s_cbranch_execz .LBB6_21155
; %bb.21146:                            ;   in Loop: Header=BB6_20708 Depth=3
	v_mov_b32_e32 v32, 0
	v_cmp_ne_u32_e32 vcc, 0, v2
	s_and_saveexec_b64 s[36:37], vcc
	s_cbranch_execz .LBB6_21154
; %bb.21147:                            ;   in Loop: Header=BB6_20708 Depth=3
	v_bfe_u32 v6, v2, 23, 8
	v_cmp_gt_u32_e64 s[28:29], s47, v6
	v_sub_u32_e32 v2, 0x71, v6
	v_cmp_eq_u32_e32 vcc, 0, v6
	v_cndmask_b32_e64 v2, 0, v2, s[28:29]
	v_mov_b32_e32 v7, 0x70
	v_cndmask_b32_e32 v7, v2, v7, vcc
	v_or_b32_e32 v8, 0x800000, v0
	v_add_u32_e32 v2, 21, v7
	v_cndmask_b32_e32 v0, v8, v0, vcc
	v_lshlrev_b64 v[8:9], v2, -1
	v_add_u32_e32 v2, 20, v7
	v_bfi_b32 v8, v8, 0, v0
	v_lshlrev_b64 v[10:11], v2, 1
	v_lshrrev_b64 v[0:1], v7, v[0:1]
	v_bfi_b32 v9, v9, 0, 0
	v_cmp_eq_u64_e64 s[28:29], v[8:9], v[10:11]
	v_mov_b32_e32 v2, v1
	v_mov_b32_e32 v1, v0
	s_and_saveexec_b64 s[38:39], s[28:29]
; %bb.21148:                            ;   in Loop: Header=BB6_20708 Depth=3
	v_bfe_u32 v1, v0, 21, 1
	v_add_co_u32_e64 v1, s[28:29], v0, v1
	v_add_co_u32_e64 v1, s[28:29], -1, v1
; %bb.21149:                            ;   in Loop: Header=BB6_20708 Depth=3
	s_or_b64 exec, exec, s[38:39]
	v_add_u32_e32 v2, 0xffffff81, v6
	v_mov_b32_e32 v6, 0xffffff82
	v_cndmask_b32_e32 v2, v2, v6, vcc
	v_lshrrev_b32_e32 v6, 23, v0
	v_add3_u32 v7, v7, v2, v6
	v_add_u32_e32 v6, 14, v7
	v_and_b32_e32 v1, 0x1fffff, v1
	v_add_u32_e32 v0, v1, v0
	v_mov_b32_e32 v1, v33
	v_cmp_ne_u32_e32 vcc, 0, v6
                                        ; implicit-def: $vgpr2
	s_and_saveexec_b64 s[28:29], vcc
	s_xor_b64 s[28:29], exec, s[28:29]
; %bb.21150:                            ;   in Loop: Header=BB6_20708 Depth=3
	v_cmp_lt_u64_e32 vcc, s[88:89], v[0:1]
	v_add_u32_e32 v2, 15, v7
	v_cndmask_b32_e32 v2, v6, v2, vcc
	v_cndmask_b32_e64 v6, 0, 1, vcc
	v_lshrrev_b64 v[0:1], v6, v[0:1]
; %bb.21151:                            ;   in Loop: Header=BB6_20708 Depth=3
	s_andn2_saveexec_b64 s[28:29], s[28:29]
; %bb.21152:                            ;   in Loop: Header=BB6_20708 Depth=3
	v_bfe_u32 v2, v0, 23, 1
; %bb.21153:                            ;   in Loop: Header=BB6_20708 Depth=3
	s_or_b64 exec, exec, s[28:29]
	v_lshrrev_b64 v[0:1], 21, v[0:1]
	v_cmp_gt_i32_e32 vcc, 32, v2
	v_cndmask_b32_e32 v1, 0, v1, vcc
	v_cndmask_b32_e32 v0, 3, v0, vcc
	v_cmp_eq_u64_e64 s[28:29], 0, v[0:1]
	v_min_i32_e32 v1, 31, v2
	v_lshlrev_b32_e32 v1, 2, v1
	v_cmp_eq_u32_e32 vcc, 0, v2
	v_and_b32_e32 v1, 0xfc, v1
	v_and_or_b32 v0, v0, 3, v1
	s_and_b64 s[28:29], vcc, s[28:29]
	v_cndmask_b32_e64 v0, v0, 0, s[28:29]
	v_or_b32_e32 v32, v0, v3
.LBB6_21154:                            ;   in Loop: Header=BB6_20708 Depth=3
	s_or_b64 exec, exec, s[36:37]
                                        ; implicit-def: $vgpr3
.LBB6_21155:                            ;   in Loop: Header=BB6_20708 Depth=3
	s_andn2_saveexec_b64 s[28:29], s[34:35]
; %bb.21156:                            ;   in Loop: Header=BB6_20708 Depth=3
	v_or_b32_e32 v32, 0x7b, v3
; %bb.21157:                            ;   in Loop: Header=BB6_20708 Depth=3
	s_or_b64 exec, exec, s[28:29]
                                        ; implicit-def: $vgpr2
                                        ; implicit-def: $vgpr0_vgpr1
.LBB6_21158:                            ;   in Loop: Header=BB6_20708 Depth=3
	s_andn2_saveexec_b64 s[28:29], s[30:31]
	s_cbranch_execz .LBB6_21164
; %bb.21159:                            ;   in Loop: Header=BB6_20708 Depth=3
	v_cmp_ne_u64_e32 vcc, 0, v[0:1]
                                        ; implicit-def: $vgpr32
	s_and_saveexec_b64 s[62:63], vcc
	s_xor_b64 vcc, exec, s[62:63]
; %bb.21160:                            ;   in Loop: Header=BB6_20708 Depth=3
	v_or_b32_sdwa v32, v2, s44 dst_sel:DWORD dst_unused:UNUSED_PAD src0_sel:BYTE_3 src1_sel:DWORD
                                        ; implicit-def: $vgpr2
; %bb.21161:                            ;   in Loop: Header=BB6_20708 Depth=3
	s_andn2_saveexec_b64 s[30:31], vcc
; %bb.21162:                            ;   in Loop: Header=BB6_20708 Depth=3
	v_cmp_lt_i32_e32 vcc, -1, v2
	v_bfrev_b32_e32 v0, 0.5
	v_mov_b32_e32 v1, 0x7c
	v_cndmask_b32_e32 v32, v0, v1, vcc
; %bb.21163:                            ;   in Loop: Header=BB6_20708 Depth=3
	s_or_b64 exec, exec, s[30:31]
.LBB6_21164:                            ;   in Loop: Header=BB6_20708 Depth=3
	s_or_b64 exec, exec, s[28:29]
	global_load_dwordx4 v[8:11], v[26:27], off offset:1024 glc slc
	v_mov_b32_e32 v0, 0
	s_waitcnt vmcnt(0)
	v_cmp_ne_u16_sdwa s[62:63], v8, v33 src0_sel:BYTE_0 src1_sel:DWORD
	s_and_saveexec_b64 s[28:29], s[62:63]
	s_cbranch_execz .LBB6_21172
; %bb.21165:                            ;   in Loop: Header=BB6_20708 Depth=3
	v_cmp_ne_u16_sdwa s[62:63], sext(v8), s46 src0_sel:BYTE_0 src1_sel:DWORD
	v_bfrev_b32_e32 v0, 1
	s_and_saveexec_b64 s[30:31], s[62:63]
	s_cbranch_execz .LBB6_21171
; %bb.21166:                            ;   in Loop: Header=BB6_20708 Depth=3
	v_and_b32_e32 v0, 0x7c, v8
	v_and_b32_e32 v1, 3, v8
	v_cmp_ne_u32_e32 vcc, s86, v0
                                        ; implicit-def: $vgpr0
	s_and_saveexec_b64 s[62:63], vcc
	s_xor_b64 s[34:35], exec, s[62:63]
	s_cbranch_execz .LBB6_21168
; %bb.21167:                            ;   in Loop: Header=BB6_20708 Depth=3
	v_ffbh_u32_e32 v2, v1
	v_min_u32_e32 v6, 32, v2
	v_subrev_u32_e32 v2, 29, v6
	v_lshlrev_b64 v[2:3], v2, v[8:9]
	v_bfe_u32 v0, v8, 2, 5
	v_and_b32_e32 v2, 3, v2
	v_cmp_eq_u32_e32 vcc, 0, v0
	v_sub_u32_e32 v3, 30, v6
	v_cndmask_b32_e32 v1, v1, v2, vcc
	v_lshlrev_b32_e32 v2, 24, v8
	v_cndmask_b32_e32 v0, v0, v3, vcc
	v_and_b32_e32 v2, 0x80000000, v2
	v_lshl_add_u32 v0, v0, 23, v2
	v_lshl_or_b32 v0, v1, 21, v0
	v_add_u32_e32 v0, 0x38000000, v0
                                        ; implicit-def: $vgpr1
.LBB6_21168:                            ;   in Loop: Header=BB6_20708 Depth=3
	s_andn2_saveexec_b64 s[34:35], s[34:35]
; %bb.21169:                            ;   in Loop: Header=BB6_20708 Depth=3
	v_mov_b32_e32 v0, -1
	v_cmp_gt_i16_sdwa vcc, sext(v8), v0 src0_sel:BYTE_0 src1_sel:DWORD
	v_mov_b32_e32 v0, 0xff800000
	v_mov_b32_e32 v2, 0x7f800000
	v_cndmask_b32_e32 v0, v0, v2, vcc
	v_cmp_eq_u32_e32 vcc, 0, v1
	v_mov_b32_e32 v1, 0x7f800001
	v_cndmask_b32_e32 v0, v1, v0, vcc
; %bb.21170:                            ;   in Loop: Header=BB6_20708 Depth=3
	s_or_b64 exec, exec, s[34:35]
.LBB6_21171:                            ;   in Loop: Header=BB6_20708 Depth=3
	s_or_b64 exec, exec, s[30:31]
.LBB6_21172:                            ;   in Loop: Header=BB6_20708 Depth=3
	s_or_b64 exec, exec, s[28:29]
	v_mul_f32_e32 v2, v12, v0
	v_and_b32_e32 v6, 0x7f800000, v2
	v_mov_b32_e32 v7, v33
	v_cmp_ne_u64_e32 vcc, s[76:77], v[6:7]
	v_and_b32_e32 v0, 0x7fffff, v2
	v_mov_b32_e32 v1, v33
                                        ; implicit-def: $vgpr51
	s_and_saveexec_b64 s[28:29], vcc
	s_xor_b64 s[30:31], exec, s[28:29]
	s_cbranch_execz .LBB6_21186
; %bb.21173:                            ;   in Loop: Header=BB6_20708 Depth=3
	v_and_b32_e32 v6, 0x7fffffff, v2
	v_mov_b32_e32 v7, v33
	v_cmp_gt_u64_e32 vcc, s[78:79], v[6:7]
	v_and_b32_sdwa v3, v2, s97 dst_sel:DWORD dst_unused:UNUSED_PAD src0_sel:BYTE_3 src1_sel:DWORD
                                        ; implicit-def: $vgpr51
	s_and_saveexec_b64 s[28:29], vcc
	s_xor_b64 s[34:35], exec, s[28:29]
	s_cbranch_execz .LBB6_21183
; %bb.21174:                            ;   in Loop: Header=BB6_20708 Depth=3
	v_mov_b32_e32 v51, 0
	v_cmp_ne_u32_e32 vcc, 0, v2
	s_and_saveexec_b64 s[36:37], vcc
	s_cbranch_execz .LBB6_21182
; %bb.21175:                            ;   in Loop: Header=BB6_20708 Depth=3
	v_bfe_u32 v6, v2, 23, 8
	v_cmp_gt_u32_e64 s[28:29], s47, v6
	v_sub_u32_e32 v2, 0x71, v6
	v_cmp_eq_u32_e32 vcc, 0, v6
	v_cndmask_b32_e64 v2, 0, v2, s[28:29]
	v_mov_b32_e32 v7, 0x70
	v_cndmask_b32_e32 v7, v2, v7, vcc
	v_or_b32_e32 v13, 0x800000, v0
	v_add_u32_e32 v2, 21, v7
	v_cndmask_b32_e32 v0, v13, v0, vcc
	v_lshlrev_b64 v[13:14], v2, -1
	v_add_u32_e32 v2, 20, v7
	v_bfi_b32 v13, v13, 0, v0
	v_lshlrev_b64 v[15:16], v2, 1
	v_lshrrev_b64 v[0:1], v7, v[0:1]
	v_bfi_b32 v14, v14, 0, 0
	v_cmp_eq_u64_e64 s[28:29], v[13:14], v[15:16]
	v_mov_b32_e32 v2, v1
	v_mov_b32_e32 v1, v0
	s_and_saveexec_b64 s[38:39], s[28:29]
; %bb.21176:                            ;   in Loop: Header=BB6_20708 Depth=3
	v_bfe_u32 v1, v0, 21, 1
	v_add_co_u32_e64 v1, s[28:29], v0, v1
	v_add_co_u32_e64 v1, s[28:29], -1, v1
; %bb.21177:                            ;   in Loop: Header=BB6_20708 Depth=3
	s_or_b64 exec, exec, s[38:39]
	v_add_u32_e32 v2, 0xffffff81, v6
	v_mov_b32_e32 v6, 0xffffff82
	v_cndmask_b32_e32 v2, v2, v6, vcc
	v_lshrrev_b32_e32 v6, 23, v0
	v_add3_u32 v7, v7, v2, v6
	v_add_u32_e32 v6, 14, v7
	v_and_b32_e32 v1, 0x1fffff, v1
	v_add_u32_e32 v0, v1, v0
	v_mov_b32_e32 v1, v33
	v_cmp_ne_u32_e32 vcc, 0, v6
                                        ; implicit-def: $vgpr2
	s_and_saveexec_b64 s[28:29], vcc
	s_xor_b64 s[28:29], exec, s[28:29]
; %bb.21178:                            ;   in Loop: Header=BB6_20708 Depth=3
	v_cmp_lt_u64_e32 vcc, s[88:89], v[0:1]
	v_add_u32_e32 v2, 15, v7
	v_cndmask_b32_e32 v2, v6, v2, vcc
	v_cndmask_b32_e64 v6, 0, 1, vcc
	v_lshrrev_b64 v[0:1], v6, v[0:1]
; %bb.21179:                            ;   in Loop: Header=BB6_20708 Depth=3
	s_andn2_saveexec_b64 s[28:29], s[28:29]
; %bb.21180:                            ;   in Loop: Header=BB6_20708 Depth=3
	v_bfe_u32 v2, v0, 23, 1
; %bb.21181:                            ;   in Loop: Header=BB6_20708 Depth=3
	s_or_b64 exec, exec, s[28:29]
	v_lshrrev_b64 v[0:1], 21, v[0:1]
	v_cmp_gt_i32_e32 vcc, 32, v2
	v_cndmask_b32_e32 v1, 0, v1, vcc
	v_cndmask_b32_e32 v0, 3, v0, vcc
	v_cmp_eq_u64_e64 s[28:29], 0, v[0:1]
	v_min_i32_e32 v1, 31, v2
	v_lshlrev_b32_e32 v1, 2, v1
	v_cmp_eq_u32_e32 vcc, 0, v2
	v_and_b32_e32 v1, 0xfc, v1
	v_and_or_b32 v0, v0, 3, v1
	s_and_b64 s[28:29], vcc, s[28:29]
	v_cndmask_b32_e64 v0, v0, 0, s[28:29]
	v_or_b32_e32 v51, v0, v3
.LBB6_21182:                            ;   in Loop: Header=BB6_20708 Depth=3
	s_or_b64 exec, exec, s[36:37]
                                        ; implicit-def: $vgpr3
.LBB6_21183:                            ;   in Loop: Header=BB6_20708 Depth=3
	s_andn2_saveexec_b64 s[28:29], s[34:35]
; %bb.21184:                            ;   in Loop: Header=BB6_20708 Depth=3
	v_or_b32_e32 v51, 0x7b, v3
; %bb.21185:                            ;   in Loop: Header=BB6_20708 Depth=3
	s_or_b64 exec, exec, s[28:29]
                                        ; implicit-def: $vgpr2
                                        ; implicit-def: $vgpr0_vgpr1
.LBB6_21186:                            ;   in Loop: Header=BB6_20708 Depth=3
	s_andn2_saveexec_b64 s[28:29], s[30:31]
	s_cbranch_execz .LBB6_21192
; %bb.21187:                            ;   in Loop: Header=BB6_20708 Depth=3
	v_cmp_ne_u64_e32 vcc, 0, v[0:1]
                                        ; implicit-def: $vgpr51
	s_and_saveexec_b64 s[62:63], vcc
	s_xor_b64 vcc, exec, s[62:63]
; %bb.21188:                            ;   in Loop: Header=BB6_20708 Depth=3
	v_or_b32_sdwa v51, v2, s44 dst_sel:DWORD dst_unused:UNUSED_PAD src0_sel:BYTE_3 src1_sel:DWORD
                                        ; implicit-def: $vgpr2
; %bb.21189:                            ;   in Loop: Header=BB6_20708 Depth=3
	s_andn2_saveexec_b64 s[30:31], vcc
; %bb.21190:                            ;   in Loop: Header=BB6_20708 Depth=3
	v_cmp_lt_i32_e32 vcc, -1, v2
	v_bfrev_b32_e32 v0, 0.5
	v_mov_b32_e32 v1, 0x7c
	v_cndmask_b32_e32 v51, v0, v1, vcc
; %bb.21191:                            ;   in Loop: Header=BB6_20708 Depth=3
	s_or_b64 exec, exec, s[30:31]
.LBB6_21192:                            ;   in Loop: Header=BB6_20708 Depth=3
	s_or_b64 exec, exec, s[28:29]
	v_lshrrev_b16_e32 v0, 8, v8
	v_cmp_ne_u16_e32 vcc, 0, v0
	v_mov_b32_e32 v1, 0
	s_and_saveexec_b64 s[28:29], vcc
	s_cbranch_execz .LBB6_21200
; %bb.21193:                            ;   in Loop: Header=BB6_20708 Depth=3
	v_cmp_ne_u16_e32 vcc, s97, v0
	v_bfrev_b32_e32 v1, 1
	s_and_saveexec_b64 s[30:31], vcc
	s_cbranch_execz .LBB6_21199
; %bb.21194:                            ;   in Loop: Header=BB6_20708 Depth=3
	v_and_b32_e32 v1, 0x7c, v0
	v_and_b32_e32 v2, 3, v0
	v_cmp_ne_u32_e32 vcc, s86, v1
                                        ; implicit-def: $vgpr1
	s_and_saveexec_b64 s[62:63], vcc
	s_xor_b64 s[34:35], exec, s[62:63]
	s_cbranch_execz .LBB6_21196
; %bb.21195:                            ;   in Loop: Header=BB6_20708 Depth=3
	v_ffbh_u32_e32 v6, v2
	v_min_u32_e32 v6, 32, v6
	v_mov_b32_e32 v1, v33
	v_subrev_u32_e32 v7, 29, v6
	v_bfe_u32 v3, v0, 2, 5
	v_lshlrev_b64 v[0:1], v7, v[0:1]
	v_cmp_eq_u32_e32 vcc, 0, v3
	v_and_b32_e32 v0, 3, v0
	v_sub_u32_e32 v1, 30, v6
	v_cndmask_b32_e32 v0, v2, v0, vcc
	v_lshlrev_b32_e32 v2, 16, v8
	v_cndmask_b32_e32 v1, v3, v1, vcc
	v_and_b32_e32 v2, 0x80000000, v2
	v_lshl_add_u32 v1, v1, 23, v2
	v_lshl_or_b32 v0, v0, 21, v1
	v_add_u32_e32 v1, 0x38000000, v0
                                        ; implicit-def: $vgpr2
.LBB6_21196:                            ;   in Loop: Header=BB6_20708 Depth=3
	s_andn2_saveexec_b64 s[34:35], s[34:35]
; %bb.21197:                            ;   in Loop: Header=BB6_20708 Depth=3
	v_cmp_lt_i16_e32 vcc, -1, v8
	v_mov_b32_e32 v0, 0xff800000
	v_mov_b32_e32 v1, 0x7f800000
	v_cndmask_b32_e32 v0, v0, v1, vcc
	v_cmp_eq_u32_e32 vcc, 0, v2
	v_mov_b32_e32 v1, 0x7f800001
	v_cndmask_b32_e32 v1, v1, v0, vcc
; %bb.21198:                            ;   in Loop: Header=BB6_20708 Depth=3
	s_or_b64 exec, exec, s[34:35]
.LBB6_21199:                            ;   in Loop: Header=BB6_20708 Depth=3
	s_or_b64 exec, exec, s[30:31]
.LBB6_21200:                            ;   in Loop: Header=BB6_20708 Depth=3
	s_or_b64 exec, exec, s[28:29]
	v_mul_f32_e32 v2, v12, v1
	v_and_b32_e32 v6, 0x7f800000, v2
	v_mov_b32_e32 v7, v33
	v_cmp_ne_u64_e32 vcc, s[76:77], v[6:7]
	v_and_b32_e32 v0, 0x7fffff, v2
	v_mov_b32_e32 v1, v33
                                        ; implicit-def: $vgpr3
                                        ; kill: killed $vgpr3
	s_and_saveexec_b64 s[28:29], vcc
	s_xor_b64 s[30:31], exec, s[28:29]
	s_cbranch_execz .LBB6_21214
; %bb.21201:                            ;   in Loop: Header=BB6_20708 Depth=3
	v_and_b32_e32 v6, 0x7fffffff, v2
	v_mov_b32_e32 v7, v33
	v_cmp_gt_u64_e32 vcc, s[78:79], v[6:7]
	v_and_b32_sdwa v3, v2, s97 dst_sel:DWORD dst_unused:UNUSED_PAD src0_sel:BYTE_3 src1_sel:DWORD
                                        ; implicit-def: $vgpr5
                                        ; kill: killed $vgpr5
	s_and_saveexec_b64 s[28:29], vcc
	s_xor_b64 s[34:35], exec, s[28:29]
	s_cbranch_execz .LBB6_21211
; %bb.21202:                            ;   in Loop: Header=BB6_20708 Depth=3
	v_mov_b32_e32 v5, 0
	v_cmp_ne_u32_e32 vcc, 0, v2
	buffer_store_dword v5, off, s[0:3], s33 offset:356 ; 4-byte Folded Spill
	s_and_saveexec_b64 s[36:37], vcc
	s_cbranch_execz .LBB6_21210
; %bb.21203:                            ;   in Loop: Header=BB6_20708 Depth=3
	v_bfe_u32 v6, v2, 23, 8
	v_cmp_gt_u32_e64 s[28:29], s47, v6
	v_sub_u32_e32 v2, 0x71, v6
	v_cmp_eq_u32_e32 vcc, 0, v6
	v_cndmask_b32_e64 v2, 0, v2, s[28:29]
	v_mov_b32_e32 v7, 0x70
	v_cndmask_b32_e32 v7, v2, v7, vcc
	v_or_b32_e32 v13, 0x800000, v0
	v_add_u32_e32 v2, 21, v7
	v_cndmask_b32_e32 v0, v13, v0, vcc
	v_lshlrev_b64 v[13:14], v2, -1
	v_add_u32_e32 v2, 20, v7
	v_bfi_b32 v13, v13, 0, v0
	v_lshlrev_b64 v[15:16], v2, 1
	v_lshrrev_b64 v[0:1], v7, v[0:1]
	v_bfi_b32 v14, v14, 0, 0
	v_cmp_eq_u64_e64 s[28:29], v[13:14], v[15:16]
	v_mov_b32_e32 v2, v1
	v_mov_b32_e32 v1, v0
	s_and_saveexec_b64 s[38:39], s[28:29]
; %bb.21204:                            ;   in Loop: Header=BB6_20708 Depth=3
	v_bfe_u32 v1, v0, 21, 1
	v_add_co_u32_e64 v1, s[28:29], v0, v1
	v_add_co_u32_e64 v1, s[28:29], -1, v1
; %bb.21205:                            ;   in Loop: Header=BB6_20708 Depth=3
	s_or_b64 exec, exec, s[38:39]
	v_add_u32_e32 v2, 0xffffff81, v6
	v_mov_b32_e32 v6, 0xffffff82
	v_cndmask_b32_e32 v2, v2, v6, vcc
	v_lshrrev_b32_e32 v6, 23, v0
	v_add3_u32 v7, v7, v2, v6
	v_add_u32_e32 v6, 14, v7
	v_and_b32_e32 v1, 0x1fffff, v1
	v_add_u32_e32 v0, v1, v0
	v_mov_b32_e32 v1, v33
	v_cmp_ne_u32_e32 vcc, 0, v6
                                        ; implicit-def: $vgpr2
	s_and_saveexec_b64 s[28:29], vcc
	s_xor_b64 s[28:29], exec, s[28:29]
; %bb.21206:                            ;   in Loop: Header=BB6_20708 Depth=3
	v_cmp_lt_u64_e32 vcc, s[88:89], v[0:1]
	v_add_u32_e32 v2, 15, v7
	v_cndmask_b32_e32 v2, v6, v2, vcc
	v_cndmask_b32_e64 v6, 0, 1, vcc
	v_lshrrev_b64 v[0:1], v6, v[0:1]
; %bb.21207:                            ;   in Loop: Header=BB6_20708 Depth=3
	s_andn2_saveexec_b64 s[28:29], s[28:29]
; %bb.21208:                            ;   in Loop: Header=BB6_20708 Depth=3
	v_bfe_u32 v2, v0, 23, 1
; %bb.21209:                            ;   in Loop: Header=BB6_20708 Depth=3
	s_or_b64 exec, exec, s[28:29]
	v_lshrrev_b64 v[0:1], 21, v[0:1]
	v_cmp_gt_i32_e32 vcc, 32, v2
	v_cndmask_b32_e32 v1, 0, v1, vcc
	v_cndmask_b32_e32 v0, 3, v0, vcc
	v_cmp_eq_u64_e64 s[28:29], 0, v[0:1]
	v_min_i32_e32 v1, 31, v2
	v_lshlrev_b32_e32 v1, 2, v1
	v_cmp_eq_u32_e32 vcc, 0, v2
	v_and_b32_e32 v1, 0xfc, v1
	v_and_or_b32 v0, v0, 3, v1
	s_and_b64 s[28:29], vcc, s[28:29]
	v_cndmask_b32_e64 v0, v0, 0, s[28:29]
	v_or_b32_e32 v0, v0, v3
	buffer_store_dword v0, off, s[0:3], s33 offset:356 ; 4-byte Folded Spill
.LBB6_21210:                            ;   in Loop: Header=BB6_20708 Depth=3
	s_or_b64 exec, exec, s[36:37]
                                        ; implicit-def: $vgpr3
.LBB6_21211:                            ;   in Loop: Header=BB6_20708 Depth=3
	s_andn2_saveexec_b64 s[28:29], s[34:35]
	s_cbranch_execz .LBB6_21213
; %bb.21212:                            ;   in Loop: Header=BB6_20708 Depth=3
	v_or_b32_e32 v0, 0x7b, v3
	buffer_store_dword v0, off, s[0:3], s33 offset:356 ; 4-byte Folded Spill
.LBB6_21213:                            ;   in Loop: Header=BB6_20708 Depth=3
	s_or_b64 exec, exec, s[28:29]
                                        ; implicit-def: $vgpr2
                                        ; implicit-def: $vgpr0_vgpr1
.LBB6_21214:                            ;   in Loop: Header=BB6_20708 Depth=3
	s_andn2_saveexec_b64 s[28:29], s[30:31]
	s_cbranch_execz .LBB6_21220
; %bb.21215:                            ;   in Loop: Header=BB6_20708 Depth=3
	v_cmp_ne_u64_e32 vcc, 0, v[0:1]
                                        ; implicit-def: $vgpr0
                                        ; kill: killed $vgpr0
	s_and_saveexec_b64 s[62:63], vcc
	s_xor_b64 vcc, exec, s[62:63]
	s_cbranch_execz .LBB6_21217
; %bb.21216:                            ;   in Loop: Header=BB6_20708 Depth=3
	v_or_b32_sdwa v0, v2, s44 dst_sel:DWORD dst_unused:UNUSED_PAD src0_sel:BYTE_3 src1_sel:DWORD
	buffer_store_dword v0, off, s[0:3], s33 offset:356 ; 4-byte Folded Spill
                                        ; implicit-def: $vgpr2
.LBB6_21217:                            ;   in Loop: Header=BB6_20708 Depth=3
	s_andn2_saveexec_b64 s[30:31], vcc
	s_cbranch_execz .LBB6_21219
; %bb.21218:                            ;   in Loop: Header=BB6_20708 Depth=3
	v_cmp_lt_i32_e32 vcc, -1, v2
	v_bfrev_b32_e32 v0, 0.5
	v_mov_b32_e32 v1, 0x7c
	v_cndmask_b32_e32 v0, v0, v1, vcc
	buffer_store_dword v0, off, s[0:3], s33 offset:356 ; 4-byte Folded Spill
.LBB6_21219:                            ;   in Loop: Header=BB6_20708 Depth=3
	s_or_b64 exec, exec, s[30:31]
.LBB6_21220:                            ;   in Loop: Header=BB6_20708 Depth=3
	s_or_b64 exec, exec, s[28:29]
	v_lshrrev_b32_e32 v0, 16, v8
	v_cmp_ne_u16_sdwa s[62:63], v0, v33 src0_sel:BYTE_0 src1_sel:DWORD
	v_mov_b32_e32 v1, 0
	s_and_saveexec_b64 s[28:29], s[62:63]
	s_cbranch_execz .LBB6_21228
; %bb.21221:                            ;   in Loop: Header=BB6_20708 Depth=3
	v_cmp_ne_u16_sdwa s[62:63], v0, s97 src0_sel:BYTE_0 src1_sel:DWORD
	v_bfrev_b32_e32 v1, 1
	s_and_saveexec_b64 s[30:31], s[62:63]
	s_cbranch_execz .LBB6_21227
; %bb.21222:                            ;   in Loop: Header=BB6_20708 Depth=3
	v_and_b32_e32 v1, 0x7c0000, v8
	v_bfe_u32 v2, v8, 16, 2
	v_cmp_ne_u32_e32 vcc, s45, v1
                                        ; implicit-def: $vgpr1
	s_and_saveexec_b64 s[62:63], vcc
	s_xor_b64 s[34:35], exec, s[62:63]
	s_cbranch_execz .LBB6_21224
; %bb.21223:                            ;   in Loop: Header=BB6_20708 Depth=3
	v_ffbh_u32_e32 v1, v2
	v_min_u32_e32 v6, 32, v1
	v_subrev_u32_e32 v1, 29, v6
	v_lshlrev_b64 v[0:1], v1, v[0:1]
	v_bfe_u32 v3, v8, 18, 5
	v_and_b32_e32 v0, 3, v0
	v_cmp_eq_u32_e32 vcc, 0, v3
	v_sub_u32_e32 v1, 30, v6
	v_cndmask_b32_e32 v0, v2, v0, vcc
	v_lshlrev_b32_e32 v2, 8, v8
	v_cndmask_b32_e32 v1, v3, v1, vcc
	v_and_b32_e32 v2, 0x80000000, v2
	v_lshl_add_u32 v1, v1, 23, v2
	v_lshl_or_b32 v0, v0, 21, v1
	v_add_u32_e32 v1, 0x38000000, v0
                                        ; implicit-def: $vgpr2
                                        ; implicit-def: $vgpr0
.LBB6_21224:                            ;   in Loop: Header=BB6_20708 Depth=3
	s_andn2_saveexec_b64 s[34:35], s[34:35]
; %bb.21225:                            ;   in Loop: Header=BB6_20708 Depth=3
	v_mov_b32_e32 v1, -1
	v_cmp_gt_i16_sdwa vcc, sext(v0), v1 src0_sel:BYTE_0 src1_sel:DWORD
	v_mov_b32_e32 v0, 0xff800000
	v_mov_b32_e32 v1, 0x7f800000
	v_cndmask_b32_e32 v0, v0, v1, vcc
	v_cmp_eq_u32_e32 vcc, 0, v2
	v_mov_b32_e32 v1, 0x7f800001
	v_cndmask_b32_e32 v1, v1, v0, vcc
; %bb.21226:                            ;   in Loop: Header=BB6_20708 Depth=3
	s_or_b64 exec, exec, s[34:35]
.LBB6_21227:                            ;   in Loop: Header=BB6_20708 Depth=3
	s_or_b64 exec, exec, s[30:31]
.LBB6_21228:                            ;   in Loop: Header=BB6_20708 Depth=3
	s_or_b64 exec, exec, s[28:29]
	v_mul_f32_e32 v2, v12, v1
	v_and_b32_e32 v6, 0x7f800000, v2
	v_mov_b32_e32 v7, v33
	v_cmp_ne_u64_e32 vcc, s[76:77], v[6:7]
	v_and_b32_e32 v0, 0x7fffff, v2
	v_mov_b32_e32 v1, v33
                                        ; implicit-def: $vgpr3
                                        ; kill: killed $vgpr3
	s_and_saveexec_b64 s[28:29], vcc
	s_xor_b64 s[30:31], exec, s[28:29]
	s_cbranch_execz .LBB6_21242
; %bb.21229:                            ;   in Loop: Header=BB6_20708 Depth=3
	v_and_b32_e32 v6, 0x7fffffff, v2
	v_mov_b32_e32 v7, v33
	v_cmp_gt_u64_e32 vcc, s[78:79], v[6:7]
	v_and_b32_sdwa v3, v2, s97 dst_sel:DWORD dst_unused:UNUSED_PAD src0_sel:BYTE_3 src1_sel:DWORD
                                        ; implicit-def: $vgpr5
                                        ; kill: killed $vgpr5
	s_and_saveexec_b64 s[28:29], vcc
	s_xor_b64 s[34:35], exec, s[28:29]
	s_cbranch_execz .LBB6_21239
; %bb.21230:                            ;   in Loop: Header=BB6_20708 Depth=3
	v_mov_b32_e32 v5, 0
	v_cmp_ne_u32_e32 vcc, 0, v2
	buffer_store_dword v5, off, s[0:3], s33 offset:368 ; 4-byte Folded Spill
	s_and_saveexec_b64 s[36:37], vcc
	s_cbranch_execz .LBB6_21238
; %bb.21231:                            ;   in Loop: Header=BB6_20708 Depth=3
	v_bfe_u32 v6, v2, 23, 8
	v_cmp_gt_u32_e64 s[28:29], s47, v6
	v_sub_u32_e32 v2, 0x71, v6
	v_cmp_eq_u32_e32 vcc, 0, v6
	v_cndmask_b32_e64 v2, 0, v2, s[28:29]
	v_mov_b32_e32 v7, 0x70
	v_cndmask_b32_e32 v7, v2, v7, vcc
	v_or_b32_e32 v13, 0x800000, v0
	v_add_u32_e32 v2, 21, v7
	v_cndmask_b32_e32 v0, v13, v0, vcc
	v_lshlrev_b64 v[13:14], v2, -1
	v_add_u32_e32 v2, 20, v7
	v_bfi_b32 v13, v13, 0, v0
	v_lshlrev_b64 v[15:16], v2, 1
	v_lshrrev_b64 v[0:1], v7, v[0:1]
	v_bfi_b32 v14, v14, 0, 0
	v_cmp_eq_u64_e64 s[28:29], v[13:14], v[15:16]
	v_mov_b32_e32 v2, v1
	v_mov_b32_e32 v1, v0
	s_and_saveexec_b64 s[38:39], s[28:29]
; %bb.21232:                            ;   in Loop: Header=BB6_20708 Depth=3
	v_bfe_u32 v1, v0, 21, 1
	v_add_co_u32_e64 v1, s[28:29], v0, v1
	v_add_co_u32_e64 v1, s[28:29], -1, v1
; %bb.21233:                            ;   in Loop: Header=BB6_20708 Depth=3
	s_or_b64 exec, exec, s[38:39]
	v_add_u32_e32 v2, 0xffffff81, v6
	v_mov_b32_e32 v6, 0xffffff82
	v_cndmask_b32_e32 v2, v2, v6, vcc
	v_lshrrev_b32_e32 v6, 23, v0
	v_add3_u32 v7, v7, v2, v6
	v_add_u32_e32 v6, 14, v7
	v_and_b32_e32 v1, 0x1fffff, v1
	v_add_u32_e32 v0, v1, v0
	v_mov_b32_e32 v1, v33
	v_cmp_ne_u32_e32 vcc, 0, v6
                                        ; implicit-def: $vgpr2
	s_and_saveexec_b64 s[28:29], vcc
	s_xor_b64 s[28:29], exec, s[28:29]
; %bb.21234:                            ;   in Loop: Header=BB6_20708 Depth=3
	v_cmp_lt_u64_e32 vcc, s[88:89], v[0:1]
	v_add_u32_e32 v2, 15, v7
	v_cndmask_b32_e32 v2, v6, v2, vcc
	v_cndmask_b32_e64 v6, 0, 1, vcc
	v_lshrrev_b64 v[0:1], v6, v[0:1]
; %bb.21235:                            ;   in Loop: Header=BB6_20708 Depth=3
	s_andn2_saveexec_b64 s[28:29], s[28:29]
; %bb.21236:                            ;   in Loop: Header=BB6_20708 Depth=3
	v_bfe_u32 v2, v0, 23, 1
; %bb.21237:                            ;   in Loop: Header=BB6_20708 Depth=3
	s_or_b64 exec, exec, s[28:29]
	v_lshrrev_b64 v[0:1], 21, v[0:1]
	v_cmp_gt_i32_e32 vcc, 32, v2
	v_cndmask_b32_e32 v1, 0, v1, vcc
	v_cndmask_b32_e32 v0, 3, v0, vcc
	v_cmp_eq_u64_e64 s[28:29], 0, v[0:1]
	v_min_i32_e32 v1, 31, v2
	v_lshlrev_b32_e32 v1, 2, v1
	v_cmp_eq_u32_e32 vcc, 0, v2
	v_and_b32_e32 v1, 0xfc, v1
	v_and_or_b32 v0, v0, 3, v1
	s_and_b64 s[28:29], vcc, s[28:29]
	v_cndmask_b32_e64 v0, v0, 0, s[28:29]
	v_or_b32_e32 v0, v0, v3
	buffer_store_dword v0, off, s[0:3], s33 offset:368 ; 4-byte Folded Spill
.LBB6_21238:                            ;   in Loop: Header=BB6_20708 Depth=3
	s_or_b64 exec, exec, s[36:37]
                                        ; implicit-def: $vgpr3
.LBB6_21239:                            ;   in Loop: Header=BB6_20708 Depth=3
	s_andn2_saveexec_b64 s[28:29], s[34:35]
	s_cbranch_execz .LBB6_21241
; %bb.21240:                            ;   in Loop: Header=BB6_20708 Depth=3
	v_or_b32_e32 v0, 0x7b, v3
	buffer_store_dword v0, off, s[0:3], s33 offset:368 ; 4-byte Folded Spill
.LBB6_21241:                            ;   in Loop: Header=BB6_20708 Depth=3
	s_or_b64 exec, exec, s[28:29]
                                        ; implicit-def: $vgpr2
                                        ; implicit-def: $vgpr0_vgpr1
.LBB6_21242:                            ;   in Loop: Header=BB6_20708 Depth=3
	s_andn2_saveexec_b64 s[28:29], s[30:31]
	s_cbranch_execz .LBB6_21248
; %bb.21243:                            ;   in Loop: Header=BB6_20708 Depth=3
	v_cmp_ne_u64_e32 vcc, 0, v[0:1]
                                        ; implicit-def: $vgpr0
                                        ; kill: killed $vgpr0
	s_and_saveexec_b64 s[62:63], vcc
	s_xor_b64 vcc, exec, s[62:63]
	s_cbranch_execz .LBB6_21245
; %bb.21244:                            ;   in Loop: Header=BB6_20708 Depth=3
	v_or_b32_sdwa v0, v2, s44 dst_sel:DWORD dst_unused:UNUSED_PAD src0_sel:BYTE_3 src1_sel:DWORD
	buffer_store_dword v0, off, s[0:3], s33 offset:368 ; 4-byte Folded Spill
                                        ; implicit-def: $vgpr2
.LBB6_21245:                            ;   in Loop: Header=BB6_20708 Depth=3
	s_andn2_saveexec_b64 s[30:31], vcc
	s_cbranch_execz .LBB6_21247
; %bb.21246:                            ;   in Loop: Header=BB6_20708 Depth=3
	v_cmp_lt_i32_e32 vcc, -1, v2
	v_bfrev_b32_e32 v0, 0.5
	v_mov_b32_e32 v1, 0x7c
	v_cndmask_b32_e32 v0, v0, v1, vcc
	buffer_store_dword v0, off, s[0:3], s33 offset:368 ; 4-byte Folded Spill
.LBB6_21247:                            ;   in Loop: Header=BB6_20708 Depth=3
	s_or_b64 exec, exec, s[30:31]
.LBB6_21248:                            ;   in Loop: Header=BB6_20708 Depth=3
	s_or_b64 exec, exec, s[28:29]
	v_cmp_lt_u32_e32 vcc, s57, v8
	v_mov_b32_e32 v1, 0
	s_and_saveexec_b64 s[28:29], vcc
	s_cbranch_execz .LBB6_21256
; %bb.21249:                            ;   in Loop: Header=BB6_20708 Depth=3
	v_lshrrev_b32_e32 v0, 24, v8
	v_cmp_ne_u32_e32 vcc, s97, v0
	v_bfrev_b32_e32 v1, 1
	s_and_saveexec_b64 s[30:31], vcc
	s_cbranch_execz .LBB6_21255
; %bb.21250:                            ;   in Loop: Header=BB6_20708 Depth=3
	v_and_b32_e32 v1, 0x7c000000, v8
	v_bfe_u32 v2, v8, 24, 2
	v_cmp_ne_u32_e32 vcc, s68, v1
                                        ; implicit-def: $vgpr1
	s_and_saveexec_b64 s[62:63], vcc
	s_xor_b64 s[34:35], exec, s[62:63]
	s_cbranch_execz .LBB6_21252
; %bb.21251:                            ;   in Loop: Header=BB6_20708 Depth=3
	v_ffbh_u32_e32 v1, v2
	v_min_u32_e32 v6, 32, v1
	v_subrev_u32_e32 v1, 29, v6
	v_lshlrev_b64 v[0:1], v1, v[0:1]
	v_bfe_u32 v3, v8, 26, 5
	v_sub_u32_e32 v1, 30, v6
	v_and_b32_e32 v0, 3, v0
	v_cmp_eq_u32_e32 vcc, 0, v3
	v_cndmask_b32_e32 v1, v3, v1, vcc
	v_cndmask_b32_e32 v0, v2, v0, vcc
	v_and_b32_e32 v2, 0x80000000, v8
	v_lshl_add_u32 v1, v1, 23, v2
	v_lshl_or_b32 v0, v0, 21, v1
	v_add_u32_e32 v1, 0x38000000, v0
                                        ; implicit-def: $vgpr2
.LBB6_21252:                            ;   in Loop: Header=BB6_20708 Depth=3
	s_andn2_saveexec_b64 s[34:35], s[34:35]
; %bb.21253:                            ;   in Loop: Header=BB6_20708 Depth=3
	v_cmp_lt_i32_e32 vcc, -1, v8
	v_mov_b32_e32 v0, 0xff800000
	v_mov_b32_e32 v1, 0x7f800000
	v_cndmask_b32_e32 v0, v0, v1, vcc
	v_cmp_eq_u32_e32 vcc, 0, v2
	v_mov_b32_e32 v1, 0x7f800001
	v_cndmask_b32_e32 v1, v1, v0, vcc
; %bb.21254:                            ;   in Loop: Header=BB6_20708 Depth=3
	s_or_b64 exec, exec, s[34:35]
.LBB6_21255:                            ;   in Loop: Header=BB6_20708 Depth=3
	s_or_b64 exec, exec, s[30:31]
.LBB6_21256:                            ;   in Loop: Header=BB6_20708 Depth=3
	s_or_b64 exec, exec, s[28:29]
	v_mul_f32_e32 v2, v12, v1
	v_and_b32_e32 v6, 0x7f800000, v2
	v_mov_b32_e32 v7, v33
	v_cmp_ne_u64_e32 vcc, s[76:77], v[6:7]
	v_and_b32_e32 v0, 0x7fffff, v2
	v_mov_b32_e32 v1, v33
                                        ; implicit-def: $vgpr3
                                        ; kill: killed $vgpr3
	s_and_saveexec_b64 s[28:29], vcc
	s_xor_b64 s[30:31], exec, s[28:29]
	s_cbranch_execz .LBB6_21270
; %bb.21257:                            ;   in Loop: Header=BB6_20708 Depth=3
	v_and_b32_e32 v6, 0x7fffffff, v2
	v_mov_b32_e32 v7, v33
	v_cmp_gt_u64_e32 vcc, s[78:79], v[6:7]
	v_and_b32_sdwa v3, v2, s97 dst_sel:DWORD dst_unused:UNUSED_PAD src0_sel:BYTE_3 src1_sel:DWORD
                                        ; implicit-def: $vgpr5
                                        ; kill: killed $vgpr5
	s_and_saveexec_b64 s[28:29], vcc
	s_xor_b64 s[34:35], exec, s[28:29]
	s_cbranch_execz .LBB6_21267
; %bb.21258:                            ;   in Loop: Header=BB6_20708 Depth=3
	v_mov_b32_e32 v5, 0
	v_cmp_ne_u32_e32 vcc, 0, v2
	buffer_store_dword v5, off, s[0:3], s33 offset:376 ; 4-byte Folded Spill
	s_and_saveexec_b64 s[36:37], vcc
	s_cbranch_execz .LBB6_21266
; %bb.21259:                            ;   in Loop: Header=BB6_20708 Depth=3
	v_bfe_u32 v6, v2, 23, 8
	v_cmp_gt_u32_e64 s[28:29], s47, v6
	v_sub_u32_e32 v2, 0x71, v6
	v_cmp_eq_u32_e32 vcc, 0, v6
	v_cndmask_b32_e64 v2, 0, v2, s[28:29]
	v_mov_b32_e32 v7, 0x70
	v_cndmask_b32_e32 v7, v2, v7, vcc
	v_or_b32_e32 v13, 0x800000, v0
	v_add_u32_e32 v2, 21, v7
	v_cndmask_b32_e32 v0, v13, v0, vcc
	v_lshlrev_b64 v[13:14], v2, -1
	v_add_u32_e32 v2, 20, v7
	v_bfi_b32 v13, v13, 0, v0
	v_lshlrev_b64 v[15:16], v2, 1
	v_lshrrev_b64 v[0:1], v7, v[0:1]
	v_bfi_b32 v14, v14, 0, 0
	v_cmp_eq_u64_e64 s[28:29], v[13:14], v[15:16]
	v_mov_b32_e32 v2, v1
	v_mov_b32_e32 v1, v0
	s_and_saveexec_b64 s[38:39], s[28:29]
; %bb.21260:                            ;   in Loop: Header=BB6_20708 Depth=3
	v_bfe_u32 v1, v0, 21, 1
	v_add_co_u32_e64 v1, s[28:29], v0, v1
	v_add_co_u32_e64 v1, s[28:29], -1, v1
; %bb.21261:                            ;   in Loop: Header=BB6_20708 Depth=3
	s_or_b64 exec, exec, s[38:39]
	v_add_u32_e32 v2, 0xffffff81, v6
	v_mov_b32_e32 v6, 0xffffff82
	v_cndmask_b32_e32 v2, v2, v6, vcc
	v_lshrrev_b32_e32 v6, 23, v0
	v_add3_u32 v7, v7, v2, v6
	v_add_u32_e32 v6, 14, v7
	v_and_b32_e32 v1, 0x1fffff, v1
	v_add_u32_e32 v0, v1, v0
	v_mov_b32_e32 v1, v33
	v_cmp_ne_u32_e32 vcc, 0, v6
                                        ; implicit-def: $vgpr2
	s_and_saveexec_b64 s[28:29], vcc
	s_xor_b64 s[28:29], exec, s[28:29]
; %bb.21262:                            ;   in Loop: Header=BB6_20708 Depth=3
	v_cmp_lt_u64_e32 vcc, s[88:89], v[0:1]
	v_add_u32_e32 v2, 15, v7
	v_cndmask_b32_e32 v2, v6, v2, vcc
	v_cndmask_b32_e64 v6, 0, 1, vcc
	v_lshrrev_b64 v[0:1], v6, v[0:1]
; %bb.21263:                            ;   in Loop: Header=BB6_20708 Depth=3
	s_andn2_saveexec_b64 s[28:29], s[28:29]
; %bb.21264:                            ;   in Loop: Header=BB6_20708 Depth=3
	v_bfe_u32 v2, v0, 23, 1
; %bb.21265:                            ;   in Loop: Header=BB6_20708 Depth=3
	s_or_b64 exec, exec, s[28:29]
	v_lshrrev_b64 v[0:1], 21, v[0:1]
	v_cmp_gt_i32_e32 vcc, 32, v2
	v_cndmask_b32_e32 v1, 0, v1, vcc
	v_cndmask_b32_e32 v0, 3, v0, vcc
	v_cmp_eq_u64_e64 s[28:29], 0, v[0:1]
	v_min_i32_e32 v1, 31, v2
	v_lshlrev_b32_e32 v1, 2, v1
	v_cmp_eq_u32_e32 vcc, 0, v2
	v_and_b32_e32 v1, 0xfc, v1
	v_and_or_b32 v0, v0, 3, v1
	s_and_b64 s[28:29], vcc, s[28:29]
	v_cndmask_b32_e64 v0, v0, 0, s[28:29]
	v_or_b32_e32 v0, v0, v3
	buffer_store_dword v0, off, s[0:3], s33 offset:376 ; 4-byte Folded Spill
.LBB6_21266:                            ;   in Loop: Header=BB6_20708 Depth=3
	s_or_b64 exec, exec, s[36:37]
                                        ; implicit-def: $vgpr3
.LBB6_21267:                            ;   in Loop: Header=BB6_20708 Depth=3
	s_andn2_saveexec_b64 s[28:29], s[34:35]
	s_cbranch_execz .LBB6_21269
; %bb.21268:                            ;   in Loop: Header=BB6_20708 Depth=3
	v_or_b32_e32 v0, 0x7b, v3
	buffer_store_dword v0, off, s[0:3], s33 offset:376 ; 4-byte Folded Spill
.LBB6_21269:                            ;   in Loop: Header=BB6_20708 Depth=3
	s_or_b64 exec, exec, s[28:29]
                                        ; implicit-def: $vgpr2
                                        ; implicit-def: $vgpr0_vgpr1
.LBB6_21270:                            ;   in Loop: Header=BB6_20708 Depth=3
	s_andn2_saveexec_b64 s[28:29], s[30:31]
	s_cbranch_execz .LBB6_21276
; %bb.21271:                            ;   in Loop: Header=BB6_20708 Depth=3
	v_cmp_ne_u64_e32 vcc, 0, v[0:1]
                                        ; implicit-def: $vgpr0
                                        ; kill: killed $vgpr0
	s_and_saveexec_b64 s[62:63], vcc
	s_xor_b64 vcc, exec, s[62:63]
	s_cbranch_execz .LBB6_21273
; %bb.21272:                            ;   in Loop: Header=BB6_20708 Depth=3
	v_or_b32_sdwa v0, v2, s44 dst_sel:DWORD dst_unused:UNUSED_PAD src0_sel:BYTE_3 src1_sel:DWORD
	buffer_store_dword v0, off, s[0:3], s33 offset:376 ; 4-byte Folded Spill
                                        ; implicit-def: $vgpr2
.LBB6_21273:                            ;   in Loop: Header=BB6_20708 Depth=3
	s_andn2_saveexec_b64 s[30:31], vcc
	s_cbranch_execz .LBB6_21275
; %bb.21274:                            ;   in Loop: Header=BB6_20708 Depth=3
	v_cmp_lt_i32_e32 vcc, -1, v2
	v_bfrev_b32_e32 v0, 0.5
	v_mov_b32_e32 v1, 0x7c
	v_cndmask_b32_e32 v0, v0, v1, vcc
	buffer_store_dword v0, off, s[0:3], s33 offset:376 ; 4-byte Folded Spill
.LBB6_21275:                            ;   in Loop: Header=BB6_20708 Depth=3
	s_or_b64 exec, exec, s[30:31]
.LBB6_21276:                            ;   in Loop: Header=BB6_20708 Depth=3
	s_or_b64 exec, exec, s[28:29]
	v_mov_b32_e32 v0, v9
	v_mov_b32_e32 v1, v33
	v_cmp_ne_u16_sdwa s[62:63], v9, v33 src0_sel:BYTE_0 src1_sel:DWORD
	v_mov_b32_e32 v2, 0
	s_and_saveexec_b64 s[28:29], s[62:63]
	s_cbranch_execz .LBB6_21284
; %bb.21277:                            ;   in Loop: Header=BB6_20708 Depth=3
	v_cmp_ne_u16_sdwa s[62:63], v9, s97 src0_sel:BYTE_0 src1_sel:DWORD
	v_bfrev_b32_e32 v2, 1
	s_and_saveexec_b64 s[30:31], s[62:63]
	s_cbranch_execz .LBB6_21283
; %bb.21278:                            ;   in Loop: Header=BB6_20708 Depth=3
	v_and_b32_e32 v2, 0x7c, v9
	v_and_b32_e32 v3, 3, v9
	v_cmp_ne_u32_e32 vcc, s86, v2
                                        ; implicit-def: $vgpr2
	s_and_saveexec_b64 s[62:63], vcc
	s_xor_b64 s[34:35], exec, s[62:63]
	s_cbranch_execz .LBB6_21280
; %bb.21279:                            ;   in Loop: Header=BB6_20708 Depth=3
	v_ffbh_u32_e32 v2, v3
	v_min_u32_e32 v13, 32, v2
	v_subrev_u32_e32 v2, 29, v13
	v_lshlrev_b64 v[1:2], v2, v[0:1]
	v_bfe_u32 v6, v9, 2, 5
	v_and_b32_e32 v1, 3, v1
	v_cmp_eq_u32_e32 vcc, 0, v6
	v_sub_u32_e32 v2, 30, v13
	v_cndmask_b32_e32 v1, v3, v1, vcc
	v_lshlrev_b32_e32 v3, 24, v9
	v_cndmask_b32_e32 v2, v6, v2, vcc
	v_and_b32_e32 v3, 0x80000000, v3
	v_lshl_add_u32 v2, v2, 23, v3
	v_lshl_or_b32 v1, v1, 21, v2
	v_add_u32_e32 v2, 0x38000000, v1
                                        ; implicit-def: $vgpr3
.LBB6_21280:                            ;   in Loop: Header=BB6_20708 Depth=3
	s_andn2_saveexec_b64 s[34:35], s[34:35]
; %bb.21281:                            ;   in Loop: Header=BB6_20708 Depth=3
	v_mov_b32_e32 v1, -1
	v_cmp_gt_i16_sdwa vcc, sext(v9), v1 src0_sel:BYTE_0 src1_sel:DWORD
	v_mov_b32_e32 v1, 0xff800000
	v_mov_b32_e32 v2, 0x7f800000
	v_cndmask_b32_e32 v1, v1, v2, vcc
	v_cmp_eq_u32_e32 vcc, 0, v3
	v_mov_b32_e32 v2, 0x7f800001
	v_cndmask_b32_e32 v2, v2, v1, vcc
; %bb.21282:                            ;   in Loop: Header=BB6_20708 Depth=3
	s_or_b64 exec, exec, s[34:35]
.LBB6_21283:                            ;   in Loop: Header=BB6_20708 Depth=3
	s_or_b64 exec, exec, s[30:31]
.LBB6_21284:                            ;   in Loop: Header=BB6_20708 Depth=3
	s_or_b64 exec, exec, s[28:29]
	v_mul_f32_e32 v3, v12, v2
	v_and_b32_e32 v13, 0x7f800000, v3
	v_mov_b32_e32 v14, v33
	v_cmp_ne_u64_e32 vcc, s[76:77], v[13:14]
	v_and_b32_e32 v1, 0x7fffff, v3
	v_mov_b32_e32 v2, v33
                                        ; implicit-def: $vgpr37
	s_and_saveexec_b64 s[28:29], vcc
	s_xor_b64 s[30:31], exec, s[28:29]
	s_cbranch_execz .LBB6_21298
; %bb.21285:                            ;   in Loop: Header=BB6_20708 Depth=3
	v_and_b32_e32 v13, 0x7fffffff, v3
	v_mov_b32_e32 v14, v33
	v_cmp_gt_u64_e32 vcc, s[78:79], v[13:14]
	v_and_b32_sdwa v6, v3, s97 dst_sel:DWORD dst_unused:UNUSED_PAD src0_sel:BYTE_3 src1_sel:DWORD
                                        ; implicit-def: $vgpr37
	s_and_saveexec_b64 s[28:29], vcc
	s_xor_b64 s[34:35], exec, s[28:29]
	s_cbranch_execz .LBB6_21295
; %bb.21286:                            ;   in Loop: Header=BB6_20708 Depth=3
	v_mov_b32_e32 v37, 0
	v_cmp_ne_u32_e32 vcc, 0, v3
	s_and_saveexec_b64 s[36:37], vcc
	s_cbranch_execz .LBB6_21294
; %bb.21287:                            ;   in Loop: Header=BB6_20708 Depth=3
	v_bfe_u32 v13, v3, 23, 8
	v_cmp_gt_u32_e64 s[28:29], s47, v13
	v_sub_u32_e32 v3, 0x71, v13
	v_cmp_eq_u32_e32 vcc, 0, v13
	v_cndmask_b32_e64 v3, 0, v3, s[28:29]
	v_mov_b32_e32 v14, 0x70
	v_cndmask_b32_e32 v14, v3, v14, vcc
	v_or_b32_e32 v15, 0x800000, v1
	v_add_u32_e32 v3, 21, v14
	v_cndmask_b32_e32 v1, v15, v1, vcc
	v_lshlrev_b64 v[15:16], v3, -1
	v_add_u32_e32 v3, 20, v14
	v_bfi_b32 v15, v15, 0, v1
	v_lshlrev_b64 v[17:18], v3, 1
	v_lshrrev_b64 v[1:2], v14, v[1:2]
	v_bfi_b32 v16, v16, 0, 0
	v_cmp_eq_u64_e64 s[28:29], v[15:16], v[17:18]
	v_mov_b32_e32 v3, v2
	v_mov_b32_e32 v2, v1
	s_and_saveexec_b64 s[38:39], s[28:29]
; %bb.21288:                            ;   in Loop: Header=BB6_20708 Depth=3
	v_bfe_u32 v2, v1, 21, 1
	v_add_co_u32_e64 v2, s[28:29], v1, v2
	v_add_co_u32_e64 v2, s[28:29], -1, v2
; %bb.21289:                            ;   in Loop: Header=BB6_20708 Depth=3
	s_or_b64 exec, exec, s[38:39]
	v_add_u32_e32 v3, 0xffffff81, v13
	v_mov_b32_e32 v13, 0xffffff82
	v_cndmask_b32_e32 v3, v3, v13, vcc
	v_lshrrev_b32_e32 v13, 23, v1
	v_add3_u32 v14, v14, v3, v13
	v_add_u32_e32 v13, 14, v14
	v_and_b32_e32 v2, 0x1fffff, v2
	v_add_u32_e32 v1, v2, v1
	v_mov_b32_e32 v2, v33
	v_cmp_ne_u32_e32 vcc, 0, v13
                                        ; implicit-def: $vgpr3
	s_and_saveexec_b64 s[28:29], vcc
	s_xor_b64 s[28:29], exec, s[28:29]
; %bb.21290:                            ;   in Loop: Header=BB6_20708 Depth=3
	v_cmp_lt_u64_e32 vcc, s[88:89], v[1:2]
	v_add_u32_e32 v3, 15, v14
	v_cndmask_b32_e32 v3, v13, v3, vcc
	v_cndmask_b32_e64 v13, 0, 1, vcc
	v_lshrrev_b64 v[1:2], v13, v[1:2]
; %bb.21291:                            ;   in Loop: Header=BB6_20708 Depth=3
	s_andn2_saveexec_b64 s[28:29], s[28:29]
; %bb.21292:                            ;   in Loop: Header=BB6_20708 Depth=3
	v_bfe_u32 v3, v1, 23, 1
; %bb.21293:                            ;   in Loop: Header=BB6_20708 Depth=3
	s_or_b64 exec, exec, s[28:29]
	v_lshrrev_b64 v[1:2], 21, v[1:2]
	v_cmp_gt_i32_e32 vcc, 32, v3
	v_cndmask_b32_e32 v2, 0, v2, vcc
	v_cndmask_b32_e32 v1, 3, v1, vcc
	v_cmp_eq_u64_e64 s[28:29], 0, v[1:2]
	v_min_i32_e32 v2, 31, v3
	v_lshlrev_b32_e32 v2, 2, v2
	v_cmp_eq_u32_e32 vcc, 0, v3
	v_and_b32_e32 v2, 0xfc, v2
	v_and_or_b32 v1, v1, 3, v2
	s_and_b64 s[28:29], vcc, s[28:29]
	v_cndmask_b32_e64 v1, v1, 0, s[28:29]
	v_or_b32_e32 v37, v1, v6
.LBB6_21294:                            ;   in Loop: Header=BB6_20708 Depth=3
	s_or_b64 exec, exec, s[36:37]
                                        ; implicit-def: $vgpr6
.LBB6_21295:                            ;   in Loop: Header=BB6_20708 Depth=3
	s_andn2_saveexec_b64 s[28:29], s[34:35]
; %bb.21296:                            ;   in Loop: Header=BB6_20708 Depth=3
	v_or_b32_e32 v37, 0x7b, v6
; %bb.21297:                            ;   in Loop: Header=BB6_20708 Depth=3
	s_or_b64 exec, exec, s[28:29]
                                        ; implicit-def: $vgpr3
                                        ; implicit-def: $vgpr1_vgpr2
.LBB6_21298:                            ;   in Loop: Header=BB6_20708 Depth=3
	s_andn2_saveexec_b64 s[28:29], s[30:31]
	s_cbranch_execz .LBB6_21304
; %bb.21299:                            ;   in Loop: Header=BB6_20708 Depth=3
	v_cmp_ne_u64_e32 vcc, 0, v[1:2]
                                        ; implicit-def: $vgpr37
	s_and_saveexec_b64 s[62:63], vcc
	s_xor_b64 vcc, exec, s[62:63]
; %bb.21300:                            ;   in Loop: Header=BB6_20708 Depth=3
	v_or_b32_sdwa v37, v3, s44 dst_sel:DWORD dst_unused:UNUSED_PAD src0_sel:BYTE_3 src1_sel:DWORD
                                        ; implicit-def: $vgpr3
; %bb.21301:                            ;   in Loop: Header=BB6_20708 Depth=3
	s_andn2_saveexec_b64 s[30:31], vcc
; %bb.21302:                            ;   in Loop: Header=BB6_20708 Depth=3
	v_cmp_lt_i32_e32 vcc, -1, v3
	v_bfrev_b32_e32 v1, 0.5
	v_mov_b32_e32 v2, 0x7c
	v_cndmask_b32_e32 v37, v1, v2, vcc
; %bb.21303:                            ;   in Loop: Header=BB6_20708 Depth=3
	s_or_b64 exec, exec, s[30:31]
.LBB6_21304:                            ;   in Loop: Header=BB6_20708 Depth=3
	s_or_b64 exec, exec, s[28:29]
	v_lshrrev_b16_e32 v1, 8, v0
	v_cmp_ne_u16_e32 vcc, 0, v1
	v_mov_b32_e32 v2, 0
	s_and_saveexec_b64 s[28:29], vcc
	s_cbranch_execz .LBB6_21312
; %bb.21305:                            ;   in Loop: Header=BB6_20708 Depth=3
	v_cmp_ne_u16_e32 vcc, s97, v1
	v_bfrev_b32_e32 v2, 1
	s_and_saveexec_b64 s[30:31], vcc
	s_cbranch_execz .LBB6_21311
; %bb.21306:                            ;   in Loop: Header=BB6_20708 Depth=3
	v_and_b32_e32 v2, 0x7c, v1
	v_and_b32_e32 v3, 3, v1
	v_cmp_ne_u32_e32 vcc, s86, v2
                                        ; implicit-def: $vgpr2
	s_and_saveexec_b64 s[62:63], vcc
	s_xor_b64 s[34:35], exec, s[62:63]
	s_cbranch_execz .LBB6_21308
; %bb.21307:                            ;   in Loop: Header=BB6_20708 Depth=3
	v_ffbh_u32_e32 v13, v3
	v_min_u32_e32 v13, 32, v13
	v_mov_b32_e32 v2, v33
	v_subrev_u32_e32 v14, 29, v13
	v_bfe_u32 v6, v1, 2, 5
	v_lshlrev_b64 v[1:2], v14, v[1:2]
	v_sub_u32_e32 v2, 30, v13
	v_cmp_eq_u32_e32 vcc, 0, v6
	v_lshlrev_b32_e32 v0, 16, v0
	v_and_b32_e32 v1, 3, v1
	v_cndmask_b32_e32 v2, v6, v2, vcc
	v_and_b32_e32 v0, 0x80000000, v0
	v_cndmask_b32_e32 v1, v3, v1, vcc
	v_lshl_add_u32 v0, v2, 23, v0
	v_lshl_or_b32 v0, v1, 21, v0
	v_add_u32_e32 v2, 0x38000000, v0
                                        ; implicit-def: $vgpr3
                                        ; implicit-def: $vgpr0_vgpr1
.LBB6_21308:                            ;   in Loop: Header=BB6_20708 Depth=3
	s_andn2_saveexec_b64 s[34:35], s[34:35]
; %bb.21309:                            ;   in Loop: Header=BB6_20708 Depth=3
	v_cmp_lt_i16_e32 vcc, -1, v0
	v_mov_b32_e32 v0, 0xff800000
	v_mov_b32_e32 v1, 0x7f800000
	v_cndmask_b32_e32 v0, v0, v1, vcc
	v_cmp_eq_u32_e32 vcc, 0, v3
	v_mov_b32_e32 v1, 0x7f800001
	v_cndmask_b32_e32 v2, v1, v0, vcc
; %bb.21310:                            ;   in Loop: Header=BB6_20708 Depth=3
	s_or_b64 exec, exec, s[34:35]
.LBB6_21311:                            ;   in Loop: Header=BB6_20708 Depth=3
	s_or_b64 exec, exec, s[30:31]
.LBB6_21312:                            ;   in Loop: Header=BB6_20708 Depth=3
	s_or_b64 exec, exec, s[28:29]
	v_mul_f32_e32 v2, v12, v2
	v_and_b32_e32 v13, 0x7f800000, v2
	v_mov_b32_e32 v14, v33
	v_cmp_ne_u64_e32 vcc, s[76:77], v[13:14]
	v_and_b32_e32 v0, 0x7fffff, v2
	v_mov_b32_e32 v1, v33
                                        ; implicit-def: $vgpr3
                                        ; kill: killed $vgpr3
	s_and_saveexec_b64 s[28:29], vcc
	s_xor_b64 s[30:31], exec, s[28:29]
	s_cbranch_execz .LBB6_21326
; %bb.21313:                            ;   in Loop: Header=BB6_20708 Depth=3
	v_and_b32_e32 v13, 0x7fffffff, v2
	v_mov_b32_e32 v14, v33
	v_cmp_gt_u64_e32 vcc, s[78:79], v[13:14]
	v_and_b32_sdwa v3, v2, s97 dst_sel:DWORD dst_unused:UNUSED_PAD src0_sel:BYTE_3 src1_sel:DWORD
                                        ; implicit-def: $vgpr5
                                        ; kill: killed $vgpr5
	s_and_saveexec_b64 s[28:29], vcc
	s_xor_b64 s[34:35], exec, s[28:29]
	s_cbranch_execz .LBB6_21323
; %bb.21314:                            ;   in Loop: Header=BB6_20708 Depth=3
	v_mov_b32_e32 v5, 0
	v_cmp_ne_u32_e32 vcc, 0, v2
	buffer_store_dword v5, off, s[0:3], s33 offset:340 ; 4-byte Folded Spill
	s_and_saveexec_b64 s[36:37], vcc
	s_cbranch_execz .LBB6_21322
; %bb.21315:                            ;   in Loop: Header=BB6_20708 Depth=3
	v_bfe_u32 v6, v2, 23, 8
	v_cmp_gt_u32_e64 s[28:29], s47, v6
	v_sub_u32_e32 v2, 0x71, v6
	v_cmp_eq_u32_e32 vcc, 0, v6
	v_cndmask_b32_e64 v2, 0, v2, s[28:29]
	v_mov_b32_e32 v13, 0x70
	v_cndmask_b32_e32 v13, v2, v13, vcc
	v_or_b32_e32 v14, 0x800000, v0
	v_add_u32_e32 v2, 21, v13
	v_cndmask_b32_e32 v0, v14, v0, vcc
	v_lshlrev_b64 v[14:15], v2, -1
	v_add_u32_e32 v2, 20, v13
	v_bfi_b32 v14, v14, 0, v0
	v_lshlrev_b64 v[16:17], v2, 1
	v_lshrrev_b64 v[0:1], v13, v[0:1]
	v_bfi_b32 v15, v15, 0, 0
	v_cmp_eq_u64_e64 s[28:29], v[14:15], v[16:17]
	v_mov_b32_e32 v2, v1
	v_mov_b32_e32 v1, v0
	s_and_saveexec_b64 s[38:39], s[28:29]
; %bb.21316:                            ;   in Loop: Header=BB6_20708 Depth=3
	v_bfe_u32 v1, v0, 21, 1
	v_add_co_u32_e64 v1, s[28:29], v0, v1
	v_add_co_u32_e64 v1, s[28:29], -1, v1
; %bb.21317:                            ;   in Loop: Header=BB6_20708 Depth=3
	s_or_b64 exec, exec, s[38:39]
	v_add_u32_e32 v2, 0xffffff81, v6
	v_mov_b32_e32 v6, 0xffffff82
	v_cndmask_b32_e32 v2, v2, v6, vcc
	v_lshrrev_b32_e32 v6, 23, v0
	v_add3_u32 v13, v13, v2, v6
	v_add_u32_e32 v6, 14, v13
	v_and_b32_e32 v1, 0x1fffff, v1
	v_add_u32_e32 v0, v1, v0
	v_mov_b32_e32 v1, v33
	v_cmp_ne_u32_e32 vcc, 0, v6
                                        ; implicit-def: $vgpr2
	s_and_saveexec_b64 s[28:29], vcc
	s_xor_b64 s[28:29], exec, s[28:29]
; %bb.21318:                            ;   in Loop: Header=BB6_20708 Depth=3
	v_cmp_lt_u64_e32 vcc, s[88:89], v[0:1]
	v_add_u32_e32 v2, 15, v13
	v_cndmask_b32_e32 v2, v6, v2, vcc
	v_cndmask_b32_e64 v6, 0, 1, vcc
	v_lshrrev_b64 v[0:1], v6, v[0:1]
; %bb.21319:                            ;   in Loop: Header=BB6_20708 Depth=3
	s_andn2_saveexec_b64 s[28:29], s[28:29]
; %bb.21320:                            ;   in Loop: Header=BB6_20708 Depth=3
	v_bfe_u32 v2, v0, 23, 1
; %bb.21321:                            ;   in Loop: Header=BB6_20708 Depth=3
	s_or_b64 exec, exec, s[28:29]
	v_lshrrev_b64 v[0:1], 21, v[0:1]
	v_cmp_gt_i32_e32 vcc, 32, v2
	v_cndmask_b32_e32 v1, 0, v1, vcc
	v_cndmask_b32_e32 v0, 3, v0, vcc
	v_cmp_eq_u64_e64 s[28:29], 0, v[0:1]
	v_min_i32_e32 v1, 31, v2
	v_lshlrev_b32_e32 v1, 2, v1
	v_cmp_eq_u32_e32 vcc, 0, v2
	v_and_b32_e32 v1, 0xfc, v1
	v_and_or_b32 v0, v0, 3, v1
	s_and_b64 s[28:29], vcc, s[28:29]
	v_cndmask_b32_e64 v0, v0, 0, s[28:29]
	v_or_b32_e32 v0, v0, v3
	buffer_store_dword v0, off, s[0:3], s33 offset:340 ; 4-byte Folded Spill
.LBB6_21322:                            ;   in Loop: Header=BB6_20708 Depth=3
	s_or_b64 exec, exec, s[36:37]
                                        ; implicit-def: $vgpr3
.LBB6_21323:                            ;   in Loop: Header=BB6_20708 Depth=3
	s_andn2_saveexec_b64 s[28:29], s[34:35]
	s_cbranch_execz .LBB6_21325
; %bb.21324:                            ;   in Loop: Header=BB6_20708 Depth=3
	v_or_b32_e32 v0, 0x7b, v3
	buffer_store_dword v0, off, s[0:3], s33 offset:340 ; 4-byte Folded Spill
.LBB6_21325:                            ;   in Loop: Header=BB6_20708 Depth=3
	s_or_b64 exec, exec, s[28:29]
                                        ; implicit-def: $vgpr2
                                        ; implicit-def: $vgpr0_vgpr1
.LBB6_21326:                            ;   in Loop: Header=BB6_20708 Depth=3
	s_andn2_saveexec_b64 s[28:29], s[30:31]
	s_cbranch_execz .LBB6_21332
; %bb.21327:                            ;   in Loop: Header=BB6_20708 Depth=3
	v_cmp_ne_u64_e32 vcc, 0, v[0:1]
                                        ; implicit-def: $vgpr0
                                        ; kill: killed $vgpr0
	s_and_saveexec_b64 s[62:63], vcc
	s_xor_b64 vcc, exec, s[62:63]
	s_cbranch_execz .LBB6_21329
; %bb.21328:                            ;   in Loop: Header=BB6_20708 Depth=3
	v_or_b32_sdwa v0, v2, s44 dst_sel:DWORD dst_unused:UNUSED_PAD src0_sel:BYTE_3 src1_sel:DWORD
	buffer_store_dword v0, off, s[0:3], s33 offset:340 ; 4-byte Folded Spill
                                        ; implicit-def: $vgpr2
.LBB6_21329:                            ;   in Loop: Header=BB6_20708 Depth=3
	s_andn2_saveexec_b64 s[30:31], vcc
	s_cbranch_execz .LBB6_21331
; %bb.21330:                            ;   in Loop: Header=BB6_20708 Depth=3
	v_cmp_lt_i32_e32 vcc, -1, v2
	v_bfrev_b32_e32 v0, 0.5
	v_mov_b32_e32 v1, 0x7c
	v_cndmask_b32_e32 v0, v0, v1, vcc
	buffer_store_dword v0, off, s[0:3], s33 offset:340 ; 4-byte Folded Spill
.LBB6_21331:                            ;   in Loop: Header=BB6_20708 Depth=3
	s_or_b64 exec, exec, s[30:31]
.LBB6_21332:                            ;   in Loop: Header=BB6_20708 Depth=3
	s_or_b64 exec, exec, s[28:29]
	v_lshrrev_b32_e32 v0, 16, v9
	v_cmp_ne_u16_sdwa s[62:63], v0, v33 src0_sel:BYTE_0 src1_sel:DWORD
	v_mov_b32_e32 v1, 0
	s_and_saveexec_b64 s[28:29], s[62:63]
	s_cbranch_execz .LBB6_21340
; %bb.21333:                            ;   in Loop: Header=BB6_20708 Depth=3
	v_cmp_ne_u16_sdwa s[62:63], v0, s97 src0_sel:BYTE_0 src1_sel:DWORD
	v_bfrev_b32_e32 v1, 1
	s_and_saveexec_b64 s[30:31], s[62:63]
	s_cbranch_execz .LBB6_21339
; %bb.21334:                            ;   in Loop: Header=BB6_20708 Depth=3
	v_and_b32_e32 v1, 0x7c0000, v9
	v_bfe_u32 v2, v9, 16, 2
	v_cmp_ne_u32_e32 vcc, s45, v1
                                        ; implicit-def: $vgpr1
	s_and_saveexec_b64 s[62:63], vcc
	s_xor_b64 s[34:35], exec, s[62:63]
	s_cbranch_execz .LBB6_21336
; %bb.21335:                            ;   in Loop: Header=BB6_20708 Depth=3
	v_ffbh_u32_e32 v1, v2
	v_min_u32_e32 v6, 32, v1
	v_subrev_u32_e32 v1, 29, v6
	v_lshlrev_b64 v[0:1], v1, v[0:1]
	v_bfe_u32 v3, v9, 18, 5
	v_and_b32_e32 v0, 3, v0
	v_cmp_eq_u32_e32 vcc, 0, v3
	v_sub_u32_e32 v1, 30, v6
	v_cndmask_b32_e32 v0, v2, v0, vcc
	v_lshlrev_b32_e32 v2, 8, v9
	v_cndmask_b32_e32 v1, v3, v1, vcc
	v_and_b32_e32 v2, 0x80000000, v2
	v_lshl_add_u32 v1, v1, 23, v2
	v_lshl_or_b32 v0, v0, 21, v1
	v_add_u32_e32 v1, 0x38000000, v0
                                        ; implicit-def: $vgpr2
                                        ; implicit-def: $vgpr0
.LBB6_21336:                            ;   in Loop: Header=BB6_20708 Depth=3
	s_andn2_saveexec_b64 s[34:35], s[34:35]
; %bb.21337:                            ;   in Loop: Header=BB6_20708 Depth=3
	v_mov_b32_e32 v1, -1
	v_cmp_gt_i16_sdwa vcc, sext(v0), v1 src0_sel:BYTE_0 src1_sel:DWORD
	v_mov_b32_e32 v0, 0xff800000
	v_mov_b32_e32 v1, 0x7f800000
	v_cndmask_b32_e32 v0, v0, v1, vcc
	v_cmp_eq_u32_e32 vcc, 0, v2
	v_mov_b32_e32 v1, 0x7f800001
	v_cndmask_b32_e32 v1, v1, v0, vcc
; %bb.21338:                            ;   in Loop: Header=BB6_20708 Depth=3
	s_or_b64 exec, exec, s[34:35]
.LBB6_21339:                            ;   in Loop: Header=BB6_20708 Depth=3
	s_or_b64 exec, exec, s[30:31]
.LBB6_21340:                            ;   in Loop: Header=BB6_20708 Depth=3
	s_or_b64 exec, exec, s[28:29]
	v_mul_f32_e32 v2, v12, v1
	v_and_b32_e32 v13, 0x7f800000, v2
	v_mov_b32_e32 v14, v33
	v_cmp_ne_u64_e32 vcc, s[76:77], v[13:14]
	v_and_b32_e32 v0, 0x7fffff, v2
	v_mov_b32_e32 v1, v33
                                        ; implicit-def: $vgpr3
                                        ; kill: killed $vgpr3
	s_and_saveexec_b64 s[28:29], vcc
	s_xor_b64 s[30:31], exec, s[28:29]
	s_cbranch_execz .LBB6_21354
; %bb.21341:                            ;   in Loop: Header=BB6_20708 Depth=3
	v_and_b32_e32 v13, 0x7fffffff, v2
	v_mov_b32_e32 v14, v33
	v_cmp_gt_u64_e32 vcc, s[78:79], v[13:14]
	v_and_b32_sdwa v3, v2, s97 dst_sel:DWORD dst_unused:UNUSED_PAD src0_sel:BYTE_3 src1_sel:DWORD
                                        ; implicit-def: $vgpr5
                                        ; kill: killed $vgpr5
	s_and_saveexec_b64 s[28:29], vcc
	s_xor_b64 s[34:35], exec, s[28:29]
	s_cbranch_execz .LBB6_21351
; %bb.21342:                            ;   in Loop: Header=BB6_20708 Depth=3
	v_mov_b32_e32 v5, 0
	v_cmp_ne_u32_e32 vcc, 0, v2
	buffer_store_dword v5, off, s[0:3], s33 offset:352 ; 4-byte Folded Spill
	s_and_saveexec_b64 s[36:37], vcc
	s_cbranch_execz .LBB6_21350
; %bb.21343:                            ;   in Loop: Header=BB6_20708 Depth=3
	v_bfe_u32 v6, v2, 23, 8
	v_cmp_gt_u32_e64 s[28:29], s47, v6
	v_sub_u32_e32 v2, 0x71, v6
	v_cmp_eq_u32_e32 vcc, 0, v6
	v_cndmask_b32_e64 v2, 0, v2, s[28:29]
	v_mov_b32_e32 v13, 0x70
	v_cndmask_b32_e32 v13, v2, v13, vcc
	v_or_b32_e32 v14, 0x800000, v0
	v_add_u32_e32 v2, 21, v13
	v_cndmask_b32_e32 v0, v14, v0, vcc
	v_lshlrev_b64 v[14:15], v2, -1
	v_add_u32_e32 v2, 20, v13
	v_bfi_b32 v14, v14, 0, v0
	v_lshlrev_b64 v[16:17], v2, 1
	v_lshrrev_b64 v[0:1], v13, v[0:1]
	v_bfi_b32 v15, v15, 0, 0
	v_cmp_eq_u64_e64 s[28:29], v[14:15], v[16:17]
	v_mov_b32_e32 v2, v1
	v_mov_b32_e32 v1, v0
	s_and_saveexec_b64 s[38:39], s[28:29]
; %bb.21344:                            ;   in Loop: Header=BB6_20708 Depth=3
	v_bfe_u32 v1, v0, 21, 1
	v_add_co_u32_e64 v1, s[28:29], v0, v1
	v_add_co_u32_e64 v1, s[28:29], -1, v1
; %bb.21345:                            ;   in Loop: Header=BB6_20708 Depth=3
	s_or_b64 exec, exec, s[38:39]
	v_add_u32_e32 v2, 0xffffff81, v6
	v_mov_b32_e32 v6, 0xffffff82
	v_cndmask_b32_e32 v2, v2, v6, vcc
	v_lshrrev_b32_e32 v6, 23, v0
	v_add3_u32 v13, v13, v2, v6
	v_add_u32_e32 v6, 14, v13
	v_and_b32_e32 v1, 0x1fffff, v1
	v_add_u32_e32 v0, v1, v0
	v_mov_b32_e32 v1, v33
	v_cmp_ne_u32_e32 vcc, 0, v6
                                        ; implicit-def: $vgpr2
	s_and_saveexec_b64 s[28:29], vcc
	s_xor_b64 s[28:29], exec, s[28:29]
; %bb.21346:                            ;   in Loop: Header=BB6_20708 Depth=3
	v_cmp_lt_u64_e32 vcc, s[88:89], v[0:1]
	v_add_u32_e32 v2, 15, v13
	v_cndmask_b32_e32 v2, v6, v2, vcc
	v_cndmask_b32_e64 v6, 0, 1, vcc
	v_lshrrev_b64 v[0:1], v6, v[0:1]
; %bb.21347:                            ;   in Loop: Header=BB6_20708 Depth=3
	s_andn2_saveexec_b64 s[28:29], s[28:29]
; %bb.21348:                            ;   in Loop: Header=BB6_20708 Depth=3
	v_bfe_u32 v2, v0, 23, 1
; %bb.21349:                            ;   in Loop: Header=BB6_20708 Depth=3
	s_or_b64 exec, exec, s[28:29]
	v_lshrrev_b64 v[0:1], 21, v[0:1]
	v_cmp_gt_i32_e32 vcc, 32, v2
	v_cndmask_b32_e32 v1, 0, v1, vcc
	v_cndmask_b32_e32 v0, 3, v0, vcc
	v_cmp_eq_u64_e64 s[28:29], 0, v[0:1]
	v_min_i32_e32 v1, 31, v2
	v_lshlrev_b32_e32 v1, 2, v1
	v_cmp_eq_u32_e32 vcc, 0, v2
	v_and_b32_e32 v1, 0xfc, v1
	v_and_or_b32 v0, v0, 3, v1
	s_and_b64 s[28:29], vcc, s[28:29]
	v_cndmask_b32_e64 v0, v0, 0, s[28:29]
	v_or_b32_e32 v0, v0, v3
	buffer_store_dword v0, off, s[0:3], s33 offset:352 ; 4-byte Folded Spill
.LBB6_21350:                            ;   in Loop: Header=BB6_20708 Depth=3
	s_or_b64 exec, exec, s[36:37]
                                        ; implicit-def: $vgpr3
.LBB6_21351:                            ;   in Loop: Header=BB6_20708 Depth=3
	s_andn2_saveexec_b64 s[28:29], s[34:35]
	s_cbranch_execz .LBB6_21353
; %bb.21352:                            ;   in Loop: Header=BB6_20708 Depth=3
	v_or_b32_e32 v0, 0x7b, v3
	buffer_store_dword v0, off, s[0:3], s33 offset:352 ; 4-byte Folded Spill
.LBB6_21353:                            ;   in Loop: Header=BB6_20708 Depth=3
	s_or_b64 exec, exec, s[28:29]
                                        ; implicit-def: $vgpr2
                                        ; implicit-def: $vgpr0_vgpr1
.LBB6_21354:                            ;   in Loop: Header=BB6_20708 Depth=3
	s_andn2_saveexec_b64 s[28:29], s[30:31]
	s_cbranch_execz .LBB6_21360
; %bb.21355:                            ;   in Loop: Header=BB6_20708 Depth=3
	v_cmp_ne_u64_e32 vcc, 0, v[0:1]
                                        ; implicit-def: $vgpr0
                                        ; kill: killed $vgpr0
	s_and_saveexec_b64 s[62:63], vcc
	s_xor_b64 vcc, exec, s[62:63]
	s_cbranch_execz .LBB6_21357
; %bb.21356:                            ;   in Loop: Header=BB6_20708 Depth=3
	v_or_b32_sdwa v0, v2, s44 dst_sel:DWORD dst_unused:UNUSED_PAD src0_sel:BYTE_3 src1_sel:DWORD
	buffer_store_dword v0, off, s[0:3], s33 offset:352 ; 4-byte Folded Spill
                                        ; implicit-def: $vgpr2
.LBB6_21357:                            ;   in Loop: Header=BB6_20708 Depth=3
	s_andn2_saveexec_b64 s[30:31], vcc
	s_cbranch_execz .LBB6_21359
; %bb.21358:                            ;   in Loop: Header=BB6_20708 Depth=3
	v_cmp_lt_i32_e32 vcc, -1, v2
	v_bfrev_b32_e32 v0, 0.5
	v_mov_b32_e32 v1, 0x7c
	v_cndmask_b32_e32 v0, v0, v1, vcc
	buffer_store_dword v0, off, s[0:3], s33 offset:352 ; 4-byte Folded Spill
.LBB6_21359:                            ;   in Loop: Header=BB6_20708 Depth=3
	s_or_b64 exec, exec, s[30:31]
.LBB6_21360:                            ;   in Loop: Header=BB6_20708 Depth=3
	s_or_b64 exec, exec, s[28:29]
	v_cmp_lt_u64_e32 vcc, s[56:57], v[8:9]
	v_mov_b32_e32 v1, 0
	s_and_saveexec_b64 s[28:29], vcc
	s_cbranch_execz .LBB6_21368
; %bb.21361:                            ;   in Loop: Header=BB6_20708 Depth=3
	v_lshrrev_b32_e32 v0, 24, v9
	v_cmp_ne_u32_e32 vcc, s97, v0
	v_bfrev_b32_e32 v1, 1
	s_and_saveexec_b64 s[30:31], vcc
	s_cbranch_execz .LBB6_21367
; %bb.21362:                            ;   in Loop: Header=BB6_20708 Depth=3
	v_and_b32_e32 v1, 0x7c000000, v9
	v_bfe_u32 v2, v9, 24, 2
	v_cmp_ne_u32_e32 vcc, s68, v1
                                        ; implicit-def: $vgpr1
	s_and_saveexec_b64 s[62:63], vcc
	s_xor_b64 s[34:35], exec, s[62:63]
	s_cbranch_execz .LBB6_21364
; %bb.21363:                            ;   in Loop: Header=BB6_20708 Depth=3
	v_ffbh_u32_e32 v1, v2
	v_min_u32_e32 v6, 32, v1
	v_subrev_u32_e32 v1, 29, v6
	v_lshlrev_b64 v[0:1], v1, v[0:1]
	v_bfe_u32 v3, v9, 26, 5
	v_sub_u32_e32 v1, 30, v6
	v_and_b32_e32 v0, 3, v0
	v_cmp_eq_u32_e32 vcc, 0, v3
	v_cndmask_b32_e32 v1, v3, v1, vcc
	v_cndmask_b32_e32 v0, v2, v0, vcc
	v_and_b32_e32 v2, 0x80000000, v9
	v_lshl_add_u32 v1, v1, 23, v2
	v_lshl_or_b32 v0, v0, 21, v1
	v_add_u32_e32 v1, 0x38000000, v0
                                        ; implicit-def: $vgpr2
.LBB6_21364:                            ;   in Loop: Header=BB6_20708 Depth=3
	s_andn2_saveexec_b64 s[34:35], s[34:35]
; %bb.21365:                            ;   in Loop: Header=BB6_20708 Depth=3
	v_cmp_lt_i64_e32 vcc, -1, v[8:9]
	v_mov_b32_e32 v0, 0xff800000
	v_mov_b32_e32 v1, 0x7f800000
	v_cndmask_b32_e32 v0, v0, v1, vcc
	v_cmp_eq_u32_e32 vcc, 0, v2
	v_mov_b32_e32 v1, 0x7f800001
	v_cndmask_b32_e32 v1, v1, v0, vcc
; %bb.21366:                            ;   in Loop: Header=BB6_20708 Depth=3
	s_or_b64 exec, exec, s[34:35]
.LBB6_21367:                            ;   in Loop: Header=BB6_20708 Depth=3
	s_or_b64 exec, exec, s[30:31]
.LBB6_21368:                            ;   in Loop: Header=BB6_20708 Depth=3
	s_or_b64 exec, exec, s[28:29]
	v_mul_f32_e32 v2, v12, v1
	v_and_b32_e32 v8, 0x7f800000, v2
	v_mov_b32_e32 v9, v33
	v_cmp_ne_u64_e32 vcc, s[76:77], v[8:9]
	v_and_b32_e32 v0, 0x7fffff, v2
	v_mov_b32_e32 v1, v33
                                        ; implicit-def: $vgpr3
                                        ; kill: killed $vgpr3
	s_and_saveexec_b64 s[28:29], vcc
	s_xor_b64 s[30:31], exec, s[28:29]
	s_cbranch_execz .LBB6_21382
; %bb.21369:                            ;   in Loop: Header=BB6_20708 Depth=3
	v_and_b32_e32 v8, 0x7fffffff, v2
	v_mov_b32_e32 v9, v33
	v_cmp_gt_u64_e32 vcc, s[78:79], v[8:9]
	v_and_b32_sdwa v3, v2, s97 dst_sel:DWORD dst_unused:UNUSED_PAD src0_sel:BYTE_3 src1_sel:DWORD
                                        ; implicit-def: $vgpr5
                                        ; kill: killed $vgpr5
	s_and_saveexec_b64 s[28:29], vcc
	s_xor_b64 s[34:35], exec, s[28:29]
	s_cbranch_execz .LBB6_21379
; %bb.21370:                            ;   in Loop: Header=BB6_20708 Depth=3
	v_mov_b32_e32 v5, 0
	v_cmp_ne_u32_e32 vcc, 0, v2
	buffer_store_dword v5, off, s[0:3], s33 offset:364 ; 4-byte Folded Spill
	s_and_saveexec_b64 s[36:37], vcc
	s_cbranch_execz .LBB6_21378
; %bb.21371:                            ;   in Loop: Header=BB6_20708 Depth=3
	v_bfe_u32 v6, v2, 23, 8
	v_cmp_gt_u32_e64 s[28:29], s47, v6
	v_sub_u32_e32 v2, 0x71, v6
	v_cmp_eq_u32_e32 vcc, 0, v6
	v_cndmask_b32_e64 v2, 0, v2, s[28:29]
	v_mov_b32_e32 v8, 0x70
	v_cndmask_b32_e32 v8, v2, v8, vcc
	v_add_u32_e32 v2, 21, v8
	v_or_b32_e32 v9, 0x800000, v0
	v_lshlrev_b64 v[13:14], v2, -1
	v_cndmask_b32_e32 v0, v9, v0, vcc
	v_add_u32_e32 v2, 20, v8
	v_bfi_b32 v13, v13, 0, v0
	v_lshlrev_b64 v[15:16], v2, 1
	v_lshrrev_b64 v[0:1], v8, v[0:1]
	v_bfi_b32 v14, v14, 0, 0
	v_cmp_eq_u64_e64 s[28:29], v[13:14], v[15:16]
	v_mov_b32_e32 v2, v1
	v_mov_b32_e32 v1, v0
	s_and_saveexec_b64 s[38:39], s[28:29]
; %bb.21372:                            ;   in Loop: Header=BB6_20708 Depth=3
	v_bfe_u32 v1, v0, 21, 1
	v_add_co_u32_e64 v1, s[28:29], v0, v1
	v_add_co_u32_e64 v1, s[28:29], -1, v1
; %bb.21373:                            ;   in Loop: Header=BB6_20708 Depth=3
	s_or_b64 exec, exec, s[38:39]
	v_add_u32_e32 v2, 0xffffff81, v6
	v_mov_b32_e32 v6, 0xffffff82
	v_cndmask_b32_e32 v2, v2, v6, vcc
	v_lshrrev_b32_e32 v6, 23, v0
	v_add3_u32 v8, v8, v2, v6
	v_add_u32_e32 v6, 14, v8
	v_and_b32_e32 v1, 0x1fffff, v1
	v_add_u32_e32 v0, v1, v0
	v_mov_b32_e32 v1, v33
	v_cmp_ne_u32_e32 vcc, 0, v6
                                        ; implicit-def: $vgpr2
	s_and_saveexec_b64 s[28:29], vcc
	s_xor_b64 s[28:29], exec, s[28:29]
; %bb.21374:                            ;   in Loop: Header=BB6_20708 Depth=3
	v_cmp_lt_u64_e32 vcc, s[88:89], v[0:1]
	v_add_u32_e32 v2, 15, v8
	v_cndmask_b32_e32 v2, v6, v2, vcc
	v_cndmask_b32_e64 v6, 0, 1, vcc
	v_lshrrev_b64 v[0:1], v6, v[0:1]
; %bb.21375:                            ;   in Loop: Header=BB6_20708 Depth=3
	s_andn2_saveexec_b64 s[28:29], s[28:29]
; %bb.21376:                            ;   in Loop: Header=BB6_20708 Depth=3
	v_bfe_u32 v2, v0, 23, 1
; %bb.21377:                            ;   in Loop: Header=BB6_20708 Depth=3
	s_or_b64 exec, exec, s[28:29]
	v_lshrrev_b64 v[0:1], 21, v[0:1]
	v_cmp_gt_i32_e32 vcc, 32, v2
	v_cndmask_b32_e32 v1, 0, v1, vcc
	v_cndmask_b32_e32 v0, 3, v0, vcc
	v_cmp_eq_u64_e64 s[28:29], 0, v[0:1]
	v_min_i32_e32 v1, 31, v2
	v_lshlrev_b32_e32 v1, 2, v1
	v_cmp_eq_u32_e32 vcc, 0, v2
	v_and_b32_e32 v1, 0xfc, v1
	v_and_or_b32 v0, v0, 3, v1
	s_and_b64 s[28:29], vcc, s[28:29]
	v_cndmask_b32_e64 v0, v0, 0, s[28:29]
	v_or_b32_e32 v0, v0, v3
	buffer_store_dword v0, off, s[0:3], s33 offset:364 ; 4-byte Folded Spill
.LBB6_21378:                            ;   in Loop: Header=BB6_20708 Depth=3
	s_or_b64 exec, exec, s[36:37]
                                        ; implicit-def: $vgpr3
.LBB6_21379:                            ;   in Loop: Header=BB6_20708 Depth=3
	s_andn2_saveexec_b64 s[28:29], s[34:35]
	s_cbranch_execz .LBB6_21381
; %bb.21380:                            ;   in Loop: Header=BB6_20708 Depth=3
	v_or_b32_e32 v0, 0x7b, v3
	buffer_store_dword v0, off, s[0:3], s33 offset:364 ; 4-byte Folded Spill
.LBB6_21381:                            ;   in Loop: Header=BB6_20708 Depth=3
	s_or_b64 exec, exec, s[28:29]
                                        ; implicit-def: $vgpr2
                                        ; implicit-def: $vgpr0_vgpr1
.LBB6_21382:                            ;   in Loop: Header=BB6_20708 Depth=3
	s_andn2_saveexec_b64 s[28:29], s[30:31]
	s_cbranch_execz .LBB6_21388
; %bb.21383:                            ;   in Loop: Header=BB6_20708 Depth=3
	v_cmp_ne_u64_e32 vcc, 0, v[0:1]
                                        ; implicit-def: $vgpr0
                                        ; kill: killed $vgpr0
	s_and_saveexec_b64 s[62:63], vcc
	s_xor_b64 vcc, exec, s[62:63]
	s_cbranch_execz .LBB6_21385
; %bb.21384:                            ;   in Loop: Header=BB6_20708 Depth=3
	v_or_b32_sdwa v0, v2, s44 dst_sel:DWORD dst_unused:UNUSED_PAD src0_sel:BYTE_3 src1_sel:DWORD
	buffer_store_dword v0, off, s[0:3], s33 offset:364 ; 4-byte Folded Spill
                                        ; implicit-def: $vgpr2
.LBB6_21385:                            ;   in Loop: Header=BB6_20708 Depth=3
	s_andn2_saveexec_b64 s[30:31], vcc
	s_cbranch_execz .LBB6_21387
; %bb.21386:                            ;   in Loop: Header=BB6_20708 Depth=3
	v_cmp_lt_i32_e32 vcc, -1, v2
	v_bfrev_b32_e32 v0, 0.5
	v_mov_b32_e32 v1, 0x7c
	v_cndmask_b32_e32 v0, v0, v1, vcc
	buffer_store_dword v0, off, s[0:3], s33 offset:364 ; 4-byte Folded Spill
.LBB6_21387:                            ;   in Loop: Header=BB6_20708 Depth=3
	s_or_b64 exec, exec, s[30:31]
.LBB6_21388:                            ;   in Loop: Header=BB6_20708 Depth=3
	s_or_b64 exec, exec, s[28:29]
	v_cmp_ne_u16_sdwa s[62:63], v10, v33 src0_sel:BYTE_0 src1_sel:DWORD
	v_mov_b32_e32 v0, 0
	s_and_saveexec_b64 s[28:29], s[62:63]
	s_cbranch_execz .LBB6_21396
; %bb.21389:                            ;   in Loop: Header=BB6_20708 Depth=3
	v_cmp_ne_u16_sdwa s[62:63], sext(v10), s46 src0_sel:BYTE_0 src1_sel:DWORD
	v_bfrev_b32_e32 v0, 1
	s_and_saveexec_b64 s[30:31], s[62:63]
	s_cbranch_execz .LBB6_21395
; %bb.21390:                            ;   in Loop: Header=BB6_20708 Depth=3
	v_and_b32_e32 v0, 0x7c, v10
	v_and_b32_e32 v1, 3, v10
	v_cmp_ne_u32_e32 vcc, s86, v0
                                        ; implicit-def: $vgpr0
	s_and_saveexec_b64 s[62:63], vcc
	s_xor_b64 s[34:35], exec, s[62:63]
	s_cbranch_execz .LBB6_21392
; %bb.21391:                            ;   in Loop: Header=BB6_20708 Depth=3
	v_ffbh_u32_e32 v2, v1
	v_min_u32_e32 v6, 32, v2
	v_subrev_u32_e32 v2, 29, v6
	v_lshlrev_b64 v[2:3], v2, v[10:11]
	v_bfe_u32 v0, v10, 2, 5
	v_and_b32_e32 v2, 3, v2
	v_cmp_eq_u32_e32 vcc, 0, v0
	v_sub_u32_e32 v3, 30, v6
	v_cndmask_b32_e32 v1, v1, v2, vcc
	v_lshlrev_b32_e32 v2, 24, v10
	v_cndmask_b32_e32 v0, v0, v3, vcc
	v_and_b32_e32 v2, 0x80000000, v2
	v_lshl_add_u32 v0, v0, 23, v2
	v_lshl_or_b32 v0, v1, 21, v0
	v_add_u32_e32 v0, 0x38000000, v0
                                        ; implicit-def: $vgpr1
.LBB6_21392:                            ;   in Loop: Header=BB6_20708 Depth=3
	s_andn2_saveexec_b64 s[34:35], s[34:35]
; %bb.21393:                            ;   in Loop: Header=BB6_20708 Depth=3
	v_mov_b32_e32 v0, -1
	v_cmp_gt_i16_sdwa vcc, sext(v10), v0 src0_sel:BYTE_0 src1_sel:DWORD
	v_mov_b32_e32 v0, 0xff800000
	v_mov_b32_e32 v2, 0x7f800000
	v_cndmask_b32_e32 v0, v0, v2, vcc
	v_cmp_eq_u32_e32 vcc, 0, v1
	v_mov_b32_e32 v1, 0x7f800001
	v_cndmask_b32_e32 v0, v1, v0, vcc
; %bb.21394:                            ;   in Loop: Header=BB6_20708 Depth=3
	s_or_b64 exec, exec, s[34:35]
.LBB6_21395:                            ;   in Loop: Header=BB6_20708 Depth=3
	s_or_b64 exec, exec, s[30:31]
.LBB6_21396:                            ;   in Loop: Header=BB6_20708 Depth=3
	s_or_b64 exec, exec, s[28:29]
	v_mul_f32_e32 v2, v12, v0
	v_and_b32_e32 v8, 0x7f800000, v2
	v_mov_b32_e32 v9, v33
	v_cmp_ne_u64_e32 vcc, s[76:77], v[8:9]
	v_and_b32_e32 v0, 0x7fffff, v2
	v_mov_b32_e32 v1, v33
                                        ; implicit-def: $vgpr30
	s_and_saveexec_b64 s[28:29], vcc
	s_xor_b64 s[30:31], exec, s[28:29]
	s_cbranch_execz .LBB6_21410
; %bb.21397:                            ;   in Loop: Header=BB6_20708 Depth=3
	v_and_b32_e32 v8, 0x7fffffff, v2
	v_mov_b32_e32 v9, v33
	v_cmp_gt_u64_e32 vcc, s[78:79], v[8:9]
	v_and_b32_sdwa v3, v2, s97 dst_sel:DWORD dst_unused:UNUSED_PAD src0_sel:BYTE_3 src1_sel:DWORD
                                        ; implicit-def: $vgpr30
	s_and_saveexec_b64 s[28:29], vcc
	s_xor_b64 s[34:35], exec, s[28:29]
	s_cbranch_execz .LBB6_21407
; %bb.21398:                            ;   in Loop: Header=BB6_20708 Depth=3
	v_mov_b32_e32 v30, 0
	v_cmp_ne_u32_e32 vcc, 0, v2
	s_and_saveexec_b64 s[36:37], vcc
	s_cbranch_execz .LBB6_21406
; %bb.21399:                            ;   in Loop: Header=BB6_20708 Depth=3
	v_bfe_u32 v6, v2, 23, 8
	v_cmp_gt_u32_e64 s[28:29], s47, v6
	v_sub_u32_e32 v2, 0x71, v6
	v_cmp_eq_u32_e32 vcc, 0, v6
	v_cndmask_b32_e64 v2, 0, v2, s[28:29]
	v_mov_b32_e32 v8, 0x70
	v_cndmask_b32_e32 v8, v2, v8, vcc
	v_add_u32_e32 v2, 21, v8
	v_or_b32_e32 v9, 0x800000, v0
	v_lshlrev_b64 v[13:14], v2, -1
	v_cndmask_b32_e32 v0, v9, v0, vcc
	v_add_u32_e32 v2, 20, v8
	v_bfi_b32 v13, v13, 0, v0
	v_lshlrev_b64 v[15:16], v2, 1
	v_lshrrev_b64 v[0:1], v8, v[0:1]
	v_bfi_b32 v14, v14, 0, 0
	v_cmp_eq_u64_e64 s[28:29], v[13:14], v[15:16]
	v_mov_b32_e32 v2, v1
	v_mov_b32_e32 v1, v0
	s_and_saveexec_b64 s[38:39], s[28:29]
; %bb.21400:                            ;   in Loop: Header=BB6_20708 Depth=3
	v_bfe_u32 v1, v0, 21, 1
	v_add_co_u32_e64 v1, s[28:29], v0, v1
	v_add_co_u32_e64 v1, s[28:29], -1, v1
; %bb.21401:                            ;   in Loop: Header=BB6_20708 Depth=3
	s_or_b64 exec, exec, s[38:39]
	v_add_u32_e32 v2, 0xffffff81, v6
	v_mov_b32_e32 v6, 0xffffff82
	v_cndmask_b32_e32 v2, v2, v6, vcc
	v_lshrrev_b32_e32 v6, 23, v0
	v_add3_u32 v8, v8, v2, v6
	v_add_u32_e32 v6, 14, v8
	v_and_b32_e32 v1, 0x1fffff, v1
	v_add_u32_e32 v0, v1, v0
	v_mov_b32_e32 v1, v33
	v_cmp_ne_u32_e32 vcc, 0, v6
                                        ; implicit-def: $vgpr2
	s_and_saveexec_b64 s[28:29], vcc
	s_xor_b64 s[28:29], exec, s[28:29]
; %bb.21402:                            ;   in Loop: Header=BB6_20708 Depth=3
	v_cmp_lt_u64_e32 vcc, s[88:89], v[0:1]
	v_add_u32_e32 v2, 15, v8
	v_cndmask_b32_e32 v2, v6, v2, vcc
	v_cndmask_b32_e64 v6, 0, 1, vcc
	v_lshrrev_b64 v[0:1], v6, v[0:1]
; %bb.21403:                            ;   in Loop: Header=BB6_20708 Depth=3
	s_andn2_saveexec_b64 s[28:29], s[28:29]
; %bb.21404:                            ;   in Loop: Header=BB6_20708 Depth=3
	v_bfe_u32 v2, v0, 23, 1
; %bb.21405:                            ;   in Loop: Header=BB6_20708 Depth=3
	s_or_b64 exec, exec, s[28:29]
	v_lshrrev_b64 v[0:1], 21, v[0:1]
	v_cmp_gt_i32_e32 vcc, 32, v2
	v_cndmask_b32_e32 v1, 0, v1, vcc
	v_cndmask_b32_e32 v0, 3, v0, vcc
	v_cmp_eq_u64_e64 s[28:29], 0, v[0:1]
	v_min_i32_e32 v1, 31, v2
	v_lshlrev_b32_e32 v1, 2, v1
	v_cmp_eq_u32_e32 vcc, 0, v2
	v_and_b32_e32 v1, 0xfc, v1
	v_and_or_b32 v0, v0, 3, v1
	s_and_b64 s[28:29], vcc, s[28:29]
	v_cndmask_b32_e64 v0, v0, 0, s[28:29]
	v_or_b32_e32 v30, v0, v3
.LBB6_21406:                            ;   in Loop: Header=BB6_20708 Depth=3
	s_or_b64 exec, exec, s[36:37]
                                        ; implicit-def: $vgpr3
.LBB6_21407:                            ;   in Loop: Header=BB6_20708 Depth=3
	s_andn2_saveexec_b64 s[28:29], s[34:35]
; %bb.21408:                            ;   in Loop: Header=BB6_20708 Depth=3
	v_or_b32_e32 v30, 0x7b, v3
; %bb.21409:                            ;   in Loop: Header=BB6_20708 Depth=3
	s_or_b64 exec, exec, s[28:29]
                                        ; implicit-def: $vgpr2
                                        ; implicit-def: $vgpr0_vgpr1
.LBB6_21410:                            ;   in Loop: Header=BB6_20708 Depth=3
	s_andn2_saveexec_b64 s[28:29], s[30:31]
	s_cbranch_execz .LBB6_21416
; %bb.21411:                            ;   in Loop: Header=BB6_20708 Depth=3
	v_cmp_ne_u64_e32 vcc, 0, v[0:1]
                                        ; implicit-def: $vgpr30
	s_and_saveexec_b64 s[62:63], vcc
	s_xor_b64 vcc, exec, s[62:63]
; %bb.21412:                            ;   in Loop: Header=BB6_20708 Depth=3
	v_or_b32_sdwa v30, v2, s44 dst_sel:DWORD dst_unused:UNUSED_PAD src0_sel:BYTE_3 src1_sel:DWORD
                                        ; implicit-def: $vgpr2
; %bb.21413:                            ;   in Loop: Header=BB6_20708 Depth=3
	s_andn2_saveexec_b64 s[30:31], vcc
; %bb.21414:                            ;   in Loop: Header=BB6_20708 Depth=3
	v_cmp_lt_i32_e32 vcc, -1, v2
	v_bfrev_b32_e32 v0, 0.5
	v_mov_b32_e32 v1, 0x7c
	v_cndmask_b32_e32 v30, v0, v1, vcc
; %bb.21415:                            ;   in Loop: Header=BB6_20708 Depth=3
	s_or_b64 exec, exec, s[30:31]
.LBB6_21416:                            ;   in Loop: Header=BB6_20708 Depth=3
	s_or_b64 exec, exec, s[28:29]
	v_lshrrev_b16_e32 v0, 8, v10
	v_cmp_ne_u16_e32 vcc, 0, v0
	v_mov_b32_e32 v1, 0
	s_and_saveexec_b64 s[28:29], vcc
	s_cbranch_execz .LBB6_21424
; %bb.21417:                            ;   in Loop: Header=BB6_20708 Depth=3
	v_cmp_ne_u16_e32 vcc, s97, v0
	v_bfrev_b32_e32 v1, 1
	s_and_saveexec_b64 s[30:31], vcc
	s_cbranch_execz .LBB6_21423
; %bb.21418:                            ;   in Loop: Header=BB6_20708 Depth=3
	v_and_b32_e32 v1, 0x7c, v0
	v_and_b32_e32 v2, 3, v0
	v_cmp_ne_u32_e32 vcc, s86, v1
                                        ; implicit-def: $vgpr1
	s_and_saveexec_b64 s[62:63], vcc
	s_xor_b64 s[34:35], exec, s[62:63]
	s_cbranch_execz .LBB6_21420
; %bb.21419:                            ;   in Loop: Header=BB6_20708 Depth=3
	v_ffbh_u32_e32 v6, v2
	v_min_u32_e32 v6, 32, v6
	v_mov_b32_e32 v1, v33
	v_subrev_u32_e32 v8, 29, v6
	v_bfe_u32 v3, v0, 2, 5
	v_lshlrev_b64 v[0:1], v8, v[0:1]
	v_cmp_eq_u32_e32 vcc, 0, v3
	v_and_b32_e32 v0, 3, v0
	v_sub_u32_e32 v1, 30, v6
	v_cndmask_b32_e32 v0, v2, v0, vcc
	v_lshlrev_b32_e32 v2, 16, v10
	v_cndmask_b32_e32 v1, v3, v1, vcc
	v_and_b32_e32 v2, 0x80000000, v2
	v_lshl_add_u32 v1, v1, 23, v2
	v_lshl_or_b32 v0, v0, 21, v1
	v_add_u32_e32 v1, 0x38000000, v0
                                        ; implicit-def: $vgpr2
.LBB6_21420:                            ;   in Loop: Header=BB6_20708 Depth=3
	s_andn2_saveexec_b64 s[34:35], s[34:35]
; %bb.21421:                            ;   in Loop: Header=BB6_20708 Depth=3
	v_cmp_lt_i16_e32 vcc, -1, v10
	v_mov_b32_e32 v0, 0xff800000
	v_mov_b32_e32 v1, 0x7f800000
	v_cndmask_b32_e32 v0, v0, v1, vcc
	v_cmp_eq_u32_e32 vcc, 0, v2
	v_mov_b32_e32 v1, 0x7f800001
	v_cndmask_b32_e32 v1, v1, v0, vcc
; %bb.21422:                            ;   in Loop: Header=BB6_20708 Depth=3
	s_or_b64 exec, exec, s[34:35]
.LBB6_21423:                            ;   in Loop: Header=BB6_20708 Depth=3
	s_or_b64 exec, exec, s[30:31]
.LBB6_21424:                            ;   in Loop: Header=BB6_20708 Depth=3
	s_or_b64 exec, exec, s[28:29]
	v_mul_f32_e32 v2, v12, v1
	v_and_b32_e32 v8, 0x7f800000, v2
	v_mov_b32_e32 v9, v33
	v_cmp_ne_u64_e32 vcc, s[76:77], v[8:9]
	v_and_b32_e32 v0, 0x7fffff, v2
	v_mov_b32_e32 v1, v33
                                        ; implicit-def: $vgpr3
                                        ; kill: killed $vgpr3
	s_and_saveexec_b64 s[28:29], vcc
	s_xor_b64 s[30:31], exec, s[28:29]
	s_cbranch_execz .LBB6_21438
; %bb.21425:                            ;   in Loop: Header=BB6_20708 Depth=3
	v_and_b32_e32 v8, 0x7fffffff, v2
	v_mov_b32_e32 v9, v33
	v_cmp_gt_u64_e32 vcc, s[78:79], v[8:9]
	v_and_b32_sdwa v3, v2, s97 dst_sel:DWORD dst_unused:UNUSED_PAD src0_sel:BYTE_3 src1_sel:DWORD
                                        ; implicit-def: $vgpr5
                                        ; kill: killed $vgpr5
	s_and_saveexec_b64 s[28:29], vcc
	s_xor_b64 s[34:35], exec, s[28:29]
	s_cbranch_execz .LBB6_21435
; %bb.21426:                            ;   in Loop: Header=BB6_20708 Depth=3
	v_mov_b32_e32 v5, 0
	v_cmp_ne_u32_e32 vcc, 0, v2
	buffer_store_dword v5, off, s[0:3], s33 offset:324 ; 4-byte Folded Spill
	s_and_saveexec_b64 s[36:37], vcc
	s_cbranch_execz .LBB6_21434
; %bb.21427:                            ;   in Loop: Header=BB6_20708 Depth=3
	v_bfe_u32 v6, v2, 23, 8
	v_cmp_gt_u32_e64 s[28:29], s47, v6
	v_sub_u32_e32 v2, 0x71, v6
	v_cmp_eq_u32_e32 vcc, 0, v6
	v_cndmask_b32_e64 v2, 0, v2, s[28:29]
	v_mov_b32_e32 v8, 0x70
	v_cndmask_b32_e32 v8, v2, v8, vcc
	v_add_u32_e32 v2, 21, v8
	v_or_b32_e32 v9, 0x800000, v0
	v_lshlrev_b64 v[13:14], v2, -1
	v_cndmask_b32_e32 v0, v9, v0, vcc
	v_add_u32_e32 v2, 20, v8
	v_bfi_b32 v13, v13, 0, v0
	v_lshlrev_b64 v[15:16], v2, 1
	v_lshrrev_b64 v[0:1], v8, v[0:1]
	v_bfi_b32 v14, v14, 0, 0
	v_cmp_eq_u64_e64 s[28:29], v[13:14], v[15:16]
	v_mov_b32_e32 v2, v1
	v_mov_b32_e32 v1, v0
	s_and_saveexec_b64 s[38:39], s[28:29]
; %bb.21428:                            ;   in Loop: Header=BB6_20708 Depth=3
	v_bfe_u32 v1, v0, 21, 1
	v_add_co_u32_e64 v1, s[28:29], v0, v1
	v_add_co_u32_e64 v1, s[28:29], -1, v1
; %bb.21429:                            ;   in Loop: Header=BB6_20708 Depth=3
	s_or_b64 exec, exec, s[38:39]
	v_add_u32_e32 v2, 0xffffff81, v6
	v_mov_b32_e32 v6, 0xffffff82
	v_cndmask_b32_e32 v2, v2, v6, vcc
	v_lshrrev_b32_e32 v6, 23, v0
	v_add3_u32 v8, v8, v2, v6
	v_add_u32_e32 v6, 14, v8
	v_and_b32_e32 v1, 0x1fffff, v1
	v_add_u32_e32 v0, v1, v0
	v_mov_b32_e32 v1, v33
	v_cmp_ne_u32_e32 vcc, 0, v6
                                        ; implicit-def: $vgpr2
	s_and_saveexec_b64 s[28:29], vcc
	s_xor_b64 s[28:29], exec, s[28:29]
; %bb.21430:                            ;   in Loop: Header=BB6_20708 Depth=3
	v_cmp_lt_u64_e32 vcc, s[88:89], v[0:1]
	v_add_u32_e32 v2, 15, v8
	v_cndmask_b32_e32 v2, v6, v2, vcc
	v_cndmask_b32_e64 v6, 0, 1, vcc
	v_lshrrev_b64 v[0:1], v6, v[0:1]
; %bb.21431:                            ;   in Loop: Header=BB6_20708 Depth=3
	s_andn2_saveexec_b64 s[28:29], s[28:29]
; %bb.21432:                            ;   in Loop: Header=BB6_20708 Depth=3
	v_bfe_u32 v2, v0, 23, 1
; %bb.21433:                            ;   in Loop: Header=BB6_20708 Depth=3
	s_or_b64 exec, exec, s[28:29]
	v_lshrrev_b64 v[0:1], 21, v[0:1]
	v_cmp_gt_i32_e32 vcc, 32, v2
	v_cndmask_b32_e32 v1, 0, v1, vcc
	v_cndmask_b32_e32 v0, 3, v0, vcc
	v_cmp_eq_u64_e64 s[28:29], 0, v[0:1]
	v_min_i32_e32 v1, 31, v2
	v_lshlrev_b32_e32 v1, 2, v1
	v_cmp_eq_u32_e32 vcc, 0, v2
	v_and_b32_e32 v1, 0xfc, v1
	v_and_or_b32 v0, v0, 3, v1
	s_and_b64 s[28:29], vcc, s[28:29]
	v_cndmask_b32_e64 v0, v0, 0, s[28:29]
	v_or_b32_e32 v0, v0, v3
	buffer_store_dword v0, off, s[0:3], s33 offset:324 ; 4-byte Folded Spill
.LBB6_21434:                            ;   in Loop: Header=BB6_20708 Depth=3
	s_or_b64 exec, exec, s[36:37]
                                        ; implicit-def: $vgpr3
.LBB6_21435:                            ;   in Loop: Header=BB6_20708 Depth=3
	s_andn2_saveexec_b64 s[28:29], s[34:35]
	s_cbranch_execz .LBB6_21437
; %bb.21436:                            ;   in Loop: Header=BB6_20708 Depth=3
	v_or_b32_e32 v0, 0x7b, v3
	buffer_store_dword v0, off, s[0:3], s33 offset:324 ; 4-byte Folded Spill
.LBB6_21437:                            ;   in Loop: Header=BB6_20708 Depth=3
	s_or_b64 exec, exec, s[28:29]
                                        ; implicit-def: $vgpr2
                                        ; implicit-def: $vgpr0_vgpr1
.LBB6_21438:                            ;   in Loop: Header=BB6_20708 Depth=3
	s_andn2_saveexec_b64 s[28:29], s[30:31]
	s_cbranch_execz .LBB6_21444
; %bb.21439:                            ;   in Loop: Header=BB6_20708 Depth=3
	v_cmp_ne_u64_e32 vcc, 0, v[0:1]
                                        ; implicit-def: $vgpr0
                                        ; kill: killed $vgpr0
	s_and_saveexec_b64 s[62:63], vcc
	s_xor_b64 vcc, exec, s[62:63]
	s_cbranch_execz .LBB6_21441
; %bb.21440:                            ;   in Loop: Header=BB6_20708 Depth=3
	v_or_b32_sdwa v0, v2, s44 dst_sel:DWORD dst_unused:UNUSED_PAD src0_sel:BYTE_3 src1_sel:DWORD
	buffer_store_dword v0, off, s[0:3], s33 offset:324 ; 4-byte Folded Spill
                                        ; implicit-def: $vgpr2
.LBB6_21441:                            ;   in Loop: Header=BB6_20708 Depth=3
	s_andn2_saveexec_b64 s[30:31], vcc
	s_cbranch_execz .LBB6_21443
; %bb.21442:                            ;   in Loop: Header=BB6_20708 Depth=3
	v_cmp_lt_i32_e32 vcc, -1, v2
	v_bfrev_b32_e32 v0, 0.5
	v_mov_b32_e32 v1, 0x7c
	v_cndmask_b32_e32 v0, v0, v1, vcc
	buffer_store_dword v0, off, s[0:3], s33 offset:324 ; 4-byte Folded Spill
.LBB6_21443:                            ;   in Loop: Header=BB6_20708 Depth=3
	s_or_b64 exec, exec, s[30:31]
.LBB6_21444:                            ;   in Loop: Header=BB6_20708 Depth=3
	s_or_b64 exec, exec, s[28:29]
	v_lshrrev_b32_e32 v0, 16, v10
	v_cmp_ne_u16_sdwa s[62:63], v0, v33 src0_sel:BYTE_0 src1_sel:DWORD
	v_mov_b32_e32 v1, 0
	s_and_saveexec_b64 s[28:29], s[62:63]
	s_cbranch_execz .LBB6_21452
; %bb.21445:                            ;   in Loop: Header=BB6_20708 Depth=3
	v_cmp_ne_u16_sdwa s[62:63], v0, s97 src0_sel:BYTE_0 src1_sel:DWORD
	v_bfrev_b32_e32 v1, 1
	s_and_saveexec_b64 s[30:31], s[62:63]
	s_cbranch_execz .LBB6_21451
; %bb.21446:                            ;   in Loop: Header=BB6_20708 Depth=3
	v_and_b32_e32 v1, 0x7c0000, v10
	v_bfe_u32 v2, v10, 16, 2
	v_cmp_ne_u32_e32 vcc, s45, v1
                                        ; implicit-def: $vgpr1
	s_and_saveexec_b64 s[62:63], vcc
	s_xor_b64 s[34:35], exec, s[62:63]
	s_cbranch_execz .LBB6_21448
; %bb.21447:                            ;   in Loop: Header=BB6_20708 Depth=3
	v_ffbh_u32_e32 v1, v2
	v_min_u32_e32 v6, 32, v1
	v_subrev_u32_e32 v1, 29, v6
	v_lshlrev_b64 v[0:1], v1, v[0:1]
	v_bfe_u32 v3, v10, 18, 5
	v_and_b32_e32 v0, 3, v0
	v_cmp_eq_u32_e32 vcc, 0, v3
	v_sub_u32_e32 v1, 30, v6
	v_cndmask_b32_e32 v0, v2, v0, vcc
	v_lshlrev_b32_e32 v2, 8, v10
	v_cndmask_b32_e32 v1, v3, v1, vcc
	v_and_b32_e32 v2, 0x80000000, v2
	v_lshl_add_u32 v1, v1, 23, v2
	v_lshl_or_b32 v0, v0, 21, v1
	v_add_u32_e32 v1, 0x38000000, v0
                                        ; implicit-def: $vgpr2
                                        ; implicit-def: $vgpr0
.LBB6_21448:                            ;   in Loop: Header=BB6_20708 Depth=3
	s_andn2_saveexec_b64 s[34:35], s[34:35]
; %bb.21449:                            ;   in Loop: Header=BB6_20708 Depth=3
	v_mov_b32_e32 v1, -1
	v_cmp_gt_i16_sdwa vcc, sext(v0), v1 src0_sel:BYTE_0 src1_sel:DWORD
	v_mov_b32_e32 v0, 0xff800000
	v_mov_b32_e32 v1, 0x7f800000
	v_cndmask_b32_e32 v0, v0, v1, vcc
	v_cmp_eq_u32_e32 vcc, 0, v2
	v_mov_b32_e32 v1, 0x7f800001
	v_cndmask_b32_e32 v1, v1, v0, vcc
; %bb.21450:                            ;   in Loop: Header=BB6_20708 Depth=3
	s_or_b64 exec, exec, s[34:35]
.LBB6_21451:                            ;   in Loop: Header=BB6_20708 Depth=3
	s_or_b64 exec, exec, s[30:31]
.LBB6_21452:                            ;   in Loop: Header=BB6_20708 Depth=3
	s_or_b64 exec, exec, s[28:29]
	v_mul_f32_e32 v2, v12, v1
	v_and_b32_e32 v8, 0x7f800000, v2
	v_mov_b32_e32 v9, v33
	v_cmp_ne_u64_e32 vcc, s[76:77], v[8:9]
	v_and_b32_e32 v0, 0x7fffff, v2
	v_mov_b32_e32 v1, v33
                                        ; implicit-def: $vgpr3
                                        ; kill: killed $vgpr3
	s_and_saveexec_b64 s[28:29], vcc
	s_xor_b64 s[30:31], exec, s[28:29]
	s_cbranch_execz .LBB6_21466
; %bb.21453:                            ;   in Loop: Header=BB6_20708 Depth=3
	v_and_b32_e32 v8, 0x7fffffff, v2
	v_mov_b32_e32 v9, v33
	v_cmp_gt_u64_e32 vcc, s[78:79], v[8:9]
	v_and_b32_sdwa v3, v2, s97 dst_sel:DWORD dst_unused:UNUSED_PAD src0_sel:BYTE_3 src1_sel:DWORD
                                        ; implicit-def: $vgpr5
                                        ; kill: killed $vgpr5
	s_and_saveexec_b64 s[28:29], vcc
	s_xor_b64 s[34:35], exec, s[28:29]
	s_cbranch_execz .LBB6_21463
; %bb.21454:                            ;   in Loop: Header=BB6_20708 Depth=3
	v_mov_b32_e32 v5, 0
	v_cmp_ne_u32_e32 vcc, 0, v2
	buffer_store_dword v5, off, s[0:3], s33 offset:332 ; 4-byte Folded Spill
	s_and_saveexec_b64 s[36:37], vcc
	s_cbranch_execz .LBB6_21462
; %bb.21455:                            ;   in Loop: Header=BB6_20708 Depth=3
	v_bfe_u32 v6, v2, 23, 8
	v_cmp_gt_u32_e64 s[28:29], s47, v6
	v_sub_u32_e32 v2, 0x71, v6
	v_cmp_eq_u32_e32 vcc, 0, v6
	v_cndmask_b32_e64 v2, 0, v2, s[28:29]
	v_mov_b32_e32 v8, 0x70
	v_cndmask_b32_e32 v8, v2, v8, vcc
	v_add_u32_e32 v2, 21, v8
	v_or_b32_e32 v9, 0x800000, v0
	v_lshlrev_b64 v[13:14], v2, -1
	v_cndmask_b32_e32 v0, v9, v0, vcc
	v_add_u32_e32 v2, 20, v8
	v_bfi_b32 v13, v13, 0, v0
	v_lshlrev_b64 v[15:16], v2, 1
	v_lshrrev_b64 v[0:1], v8, v[0:1]
	v_bfi_b32 v14, v14, 0, 0
	v_cmp_eq_u64_e64 s[28:29], v[13:14], v[15:16]
	v_mov_b32_e32 v2, v1
	v_mov_b32_e32 v1, v0
	s_and_saveexec_b64 s[38:39], s[28:29]
; %bb.21456:                            ;   in Loop: Header=BB6_20708 Depth=3
	v_bfe_u32 v1, v0, 21, 1
	v_add_co_u32_e64 v1, s[28:29], v0, v1
	v_add_co_u32_e64 v1, s[28:29], -1, v1
; %bb.21457:                            ;   in Loop: Header=BB6_20708 Depth=3
	s_or_b64 exec, exec, s[38:39]
	v_add_u32_e32 v2, 0xffffff81, v6
	v_mov_b32_e32 v6, 0xffffff82
	v_cndmask_b32_e32 v2, v2, v6, vcc
	v_lshrrev_b32_e32 v6, 23, v0
	v_add3_u32 v8, v8, v2, v6
	v_add_u32_e32 v6, 14, v8
	v_and_b32_e32 v1, 0x1fffff, v1
	v_add_u32_e32 v0, v1, v0
	v_mov_b32_e32 v1, v33
	v_cmp_ne_u32_e32 vcc, 0, v6
                                        ; implicit-def: $vgpr2
	s_and_saveexec_b64 s[28:29], vcc
	s_xor_b64 s[28:29], exec, s[28:29]
; %bb.21458:                            ;   in Loop: Header=BB6_20708 Depth=3
	v_cmp_lt_u64_e32 vcc, s[88:89], v[0:1]
	v_add_u32_e32 v2, 15, v8
	v_cndmask_b32_e32 v2, v6, v2, vcc
	v_cndmask_b32_e64 v6, 0, 1, vcc
	v_lshrrev_b64 v[0:1], v6, v[0:1]
; %bb.21459:                            ;   in Loop: Header=BB6_20708 Depth=3
	s_andn2_saveexec_b64 s[28:29], s[28:29]
; %bb.21460:                            ;   in Loop: Header=BB6_20708 Depth=3
	v_bfe_u32 v2, v0, 23, 1
; %bb.21461:                            ;   in Loop: Header=BB6_20708 Depth=3
	s_or_b64 exec, exec, s[28:29]
	v_lshrrev_b64 v[0:1], 21, v[0:1]
	v_cmp_gt_i32_e32 vcc, 32, v2
	v_cndmask_b32_e32 v1, 0, v1, vcc
	v_cndmask_b32_e32 v0, 3, v0, vcc
	v_cmp_eq_u64_e64 s[28:29], 0, v[0:1]
	v_min_i32_e32 v1, 31, v2
	v_lshlrev_b32_e32 v1, 2, v1
	v_cmp_eq_u32_e32 vcc, 0, v2
	v_and_b32_e32 v1, 0xfc, v1
	v_and_or_b32 v0, v0, 3, v1
	s_and_b64 s[28:29], vcc, s[28:29]
	v_cndmask_b32_e64 v0, v0, 0, s[28:29]
	v_or_b32_e32 v0, v0, v3
	buffer_store_dword v0, off, s[0:3], s33 offset:332 ; 4-byte Folded Spill
.LBB6_21462:                            ;   in Loop: Header=BB6_20708 Depth=3
	s_or_b64 exec, exec, s[36:37]
                                        ; implicit-def: $vgpr3
.LBB6_21463:                            ;   in Loop: Header=BB6_20708 Depth=3
	s_andn2_saveexec_b64 s[28:29], s[34:35]
	s_cbranch_execz .LBB6_21465
; %bb.21464:                            ;   in Loop: Header=BB6_20708 Depth=3
	v_or_b32_e32 v0, 0x7b, v3
	buffer_store_dword v0, off, s[0:3], s33 offset:332 ; 4-byte Folded Spill
.LBB6_21465:                            ;   in Loop: Header=BB6_20708 Depth=3
	s_or_b64 exec, exec, s[28:29]
                                        ; implicit-def: $vgpr2
                                        ; implicit-def: $vgpr0_vgpr1
.LBB6_21466:                            ;   in Loop: Header=BB6_20708 Depth=3
	s_andn2_saveexec_b64 s[28:29], s[30:31]
	s_cbranch_execz .LBB6_21472
; %bb.21467:                            ;   in Loop: Header=BB6_20708 Depth=3
	v_cmp_ne_u64_e32 vcc, 0, v[0:1]
                                        ; implicit-def: $vgpr0
                                        ; kill: killed $vgpr0
	s_and_saveexec_b64 s[62:63], vcc
	s_xor_b64 vcc, exec, s[62:63]
	s_cbranch_execz .LBB6_21469
; %bb.21468:                            ;   in Loop: Header=BB6_20708 Depth=3
	v_or_b32_sdwa v0, v2, s44 dst_sel:DWORD dst_unused:UNUSED_PAD src0_sel:BYTE_3 src1_sel:DWORD
	buffer_store_dword v0, off, s[0:3], s33 offset:332 ; 4-byte Folded Spill
                                        ; implicit-def: $vgpr2
.LBB6_21469:                            ;   in Loop: Header=BB6_20708 Depth=3
	s_andn2_saveexec_b64 s[30:31], vcc
	s_cbranch_execz .LBB6_21471
; %bb.21470:                            ;   in Loop: Header=BB6_20708 Depth=3
	v_cmp_lt_i32_e32 vcc, -1, v2
	v_bfrev_b32_e32 v0, 0.5
	v_mov_b32_e32 v1, 0x7c
	v_cndmask_b32_e32 v0, v0, v1, vcc
	buffer_store_dword v0, off, s[0:3], s33 offset:332 ; 4-byte Folded Spill
.LBB6_21471:                            ;   in Loop: Header=BB6_20708 Depth=3
	s_or_b64 exec, exec, s[30:31]
.LBB6_21472:                            ;   in Loop: Header=BB6_20708 Depth=3
	s_or_b64 exec, exec, s[28:29]
	v_cmp_lt_u32_e32 vcc, s57, v10
	v_mov_b32_e32 v1, 0
	s_and_saveexec_b64 s[28:29], vcc
	s_cbranch_execz .LBB6_21480
; %bb.21473:                            ;   in Loop: Header=BB6_20708 Depth=3
	v_lshrrev_b32_e32 v0, 24, v10
	v_cmp_ne_u32_e32 vcc, s97, v0
	v_bfrev_b32_e32 v1, 1
	s_and_saveexec_b64 s[30:31], vcc
	s_cbranch_execz .LBB6_21479
; %bb.21474:                            ;   in Loop: Header=BB6_20708 Depth=3
	v_and_b32_e32 v1, 0x7c000000, v10
	v_bfe_u32 v2, v10, 24, 2
	v_cmp_ne_u32_e32 vcc, s68, v1
                                        ; implicit-def: $vgpr1
	s_and_saveexec_b64 s[62:63], vcc
	s_xor_b64 s[34:35], exec, s[62:63]
	s_cbranch_execz .LBB6_21476
; %bb.21475:                            ;   in Loop: Header=BB6_20708 Depth=3
	v_ffbh_u32_e32 v1, v2
	v_min_u32_e32 v6, 32, v1
	v_subrev_u32_e32 v1, 29, v6
	v_lshlrev_b64 v[0:1], v1, v[0:1]
	v_bfe_u32 v3, v10, 26, 5
	v_sub_u32_e32 v1, 30, v6
	v_and_b32_e32 v0, 3, v0
	v_cmp_eq_u32_e32 vcc, 0, v3
	v_cndmask_b32_e32 v1, v3, v1, vcc
	v_cndmask_b32_e32 v0, v2, v0, vcc
	v_and_b32_e32 v2, 0x80000000, v10
	v_lshl_add_u32 v1, v1, 23, v2
	v_lshl_or_b32 v0, v0, 21, v1
	v_add_u32_e32 v1, 0x38000000, v0
                                        ; implicit-def: $vgpr2
.LBB6_21476:                            ;   in Loop: Header=BB6_20708 Depth=3
	s_andn2_saveexec_b64 s[34:35], s[34:35]
; %bb.21477:                            ;   in Loop: Header=BB6_20708 Depth=3
	v_cmp_lt_i32_e32 vcc, -1, v10
	v_mov_b32_e32 v0, 0xff800000
	v_mov_b32_e32 v1, 0x7f800000
	v_cndmask_b32_e32 v0, v0, v1, vcc
	v_cmp_eq_u32_e32 vcc, 0, v2
	v_mov_b32_e32 v1, 0x7f800001
	v_cndmask_b32_e32 v1, v1, v0, vcc
; %bb.21478:                            ;   in Loop: Header=BB6_20708 Depth=3
	s_or_b64 exec, exec, s[34:35]
.LBB6_21479:                            ;   in Loop: Header=BB6_20708 Depth=3
	s_or_b64 exec, exec, s[30:31]
.LBB6_21480:                            ;   in Loop: Header=BB6_20708 Depth=3
	s_or_b64 exec, exec, s[28:29]
	v_mul_f32_e32 v2, v12, v1
	v_and_b32_e32 v8, 0x7f800000, v2
	v_mov_b32_e32 v9, v33
	v_cmp_ne_u64_e32 vcc, s[76:77], v[8:9]
	v_and_b32_e32 v0, 0x7fffff, v2
	v_mov_b32_e32 v1, v33
                                        ; implicit-def: $vgpr3
                                        ; kill: killed $vgpr3
	s_and_saveexec_b64 s[28:29], vcc
	s_xor_b64 s[30:31], exec, s[28:29]
	s_cbranch_execz .LBB6_21494
; %bb.21481:                            ;   in Loop: Header=BB6_20708 Depth=3
	v_and_b32_e32 v8, 0x7fffffff, v2
	v_mov_b32_e32 v9, v33
	v_cmp_gt_u64_e32 vcc, s[78:79], v[8:9]
	v_and_b32_sdwa v3, v2, s97 dst_sel:DWORD dst_unused:UNUSED_PAD src0_sel:BYTE_3 src1_sel:DWORD
                                        ; implicit-def: $vgpr5
                                        ; kill: killed $vgpr5
	s_and_saveexec_b64 s[28:29], vcc
	s_xor_b64 s[34:35], exec, s[28:29]
	s_cbranch_execz .LBB6_21491
; %bb.21482:                            ;   in Loop: Header=BB6_20708 Depth=3
	v_mov_b32_e32 v5, 0
	v_cmp_ne_u32_e32 vcc, 0, v2
	buffer_store_dword v5, off, s[0:3], s33 offset:348 ; 4-byte Folded Spill
	s_and_saveexec_b64 s[36:37], vcc
	s_cbranch_execz .LBB6_21490
; %bb.21483:                            ;   in Loop: Header=BB6_20708 Depth=3
	v_bfe_u32 v6, v2, 23, 8
	v_cmp_gt_u32_e64 s[28:29], s47, v6
	v_sub_u32_e32 v2, 0x71, v6
	v_cmp_eq_u32_e32 vcc, 0, v6
	v_cndmask_b32_e64 v2, 0, v2, s[28:29]
	v_mov_b32_e32 v8, 0x70
	v_cndmask_b32_e32 v8, v2, v8, vcc
	v_add_u32_e32 v2, 21, v8
	v_or_b32_e32 v9, 0x800000, v0
	v_lshlrev_b64 v[13:14], v2, -1
	v_cndmask_b32_e32 v0, v9, v0, vcc
	v_add_u32_e32 v2, 20, v8
	v_bfi_b32 v13, v13, 0, v0
	v_lshlrev_b64 v[15:16], v2, 1
	v_lshrrev_b64 v[0:1], v8, v[0:1]
	v_bfi_b32 v14, v14, 0, 0
	v_cmp_eq_u64_e64 s[28:29], v[13:14], v[15:16]
	v_mov_b32_e32 v2, v1
	v_mov_b32_e32 v1, v0
	s_and_saveexec_b64 s[38:39], s[28:29]
; %bb.21484:                            ;   in Loop: Header=BB6_20708 Depth=3
	v_bfe_u32 v1, v0, 21, 1
	v_add_co_u32_e64 v1, s[28:29], v0, v1
	v_add_co_u32_e64 v1, s[28:29], -1, v1
; %bb.21485:                            ;   in Loop: Header=BB6_20708 Depth=3
	s_or_b64 exec, exec, s[38:39]
	v_add_u32_e32 v2, 0xffffff81, v6
	v_mov_b32_e32 v6, 0xffffff82
	v_cndmask_b32_e32 v2, v2, v6, vcc
	v_lshrrev_b32_e32 v6, 23, v0
	v_add3_u32 v8, v8, v2, v6
	v_add_u32_e32 v6, 14, v8
	v_and_b32_e32 v1, 0x1fffff, v1
	v_add_u32_e32 v0, v1, v0
	v_mov_b32_e32 v1, v33
	v_cmp_ne_u32_e32 vcc, 0, v6
                                        ; implicit-def: $vgpr2
	s_and_saveexec_b64 s[28:29], vcc
	s_xor_b64 s[28:29], exec, s[28:29]
; %bb.21486:                            ;   in Loop: Header=BB6_20708 Depth=3
	v_cmp_lt_u64_e32 vcc, s[88:89], v[0:1]
	v_add_u32_e32 v2, 15, v8
	v_cndmask_b32_e32 v2, v6, v2, vcc
	v_cndmask_b32_e64 v6, 0, 1, vcc
	v_lshrrev_b64 v[0:1], v6, v[0:1]
; %bb.21487:                            ;   in Loop: Header=BB6_20708 Depth=3
	s_andn2_saveexec_b64 s[28:29], s[28:29]
; %bb.21488:                            ;   in Loop: Header=BB6_20708 Depth=3
	v_bfe_u32 v2, v0, 23, 1
; %bb.21489:                            ;   in Loop: Header=BB6_20708 Depth=3
	s_or_b64 exec, exec, s[28:29]
	v_lshrrev_b64 v[0:1], 21, v[0:1]
	v_cmp_gt_i32_e32 vcc, 32, v2
	v_cndmask_b32_e32 v1, 0, v1, vcc
	v_cndmask_b32_e32 v0, 3, v0, vcc
	v_cmp_eq_u64_e64 s[28:29], 0, v[0:1]
	v_min_i32_e32 v1, 31, v2
	v_lshlrev_b32_e32 v1, 2, v1
	v_cmp_eq_u32_e32 vcc, 0, v2
	v_and_b32_e32 v1, 0xfc, v1
	v_and_or_b32 v0, v0, 3, v1
	s_and_b64 s[28:29], vcc, s[28:29]
	v_cndmask_b32_e64 v0, v0, 0, s[28:29]
	v_or_b32_e32 v0, v0, v3
	buffer_store_dword v0, off, s[0:3], s33 offset:348 ; 4-byte Folded Spill
.LBB6_21490:                            ;   in Loop: Header=BB6_20708 Depth=3
	s_or_b64 exec, exec, s[36:37]
                                        ; implicit-def: $vgpr3
.LBB6_21491:                            ;   in Loop: Header=BB6_20708 Depth=3
	s_andn2_saveexec_b64 s[28:29], s[34:35]
	s_cbranch_execz .LBB6_21493
; %bb.21492:                            ;   in Loop: Header=BB6_20708 Depth=3
	v_or_b32_e32 v0, 0x7b, v3
	buffer_store_dword v0, off, s[0:3], s33 offset:348 ; 4-byte Folded Spill
.LBB6_21493:                            ;   in Loop: Header=BB6_20708 Depth=3
	s_or_b64 exec, exec, s[28:29]
                                        ; implicit-def: $vgpr2
                                        ; implicit-def: $vgpr0_vgpr1
.LBB6_21494:                            ;   in Loop: Header=BB6_20708 Depth=3
	s_andn2_saveexec_b64 s[28:29], s[30:31]
	s_cbranch_execz .LBB6_21500
; %bb.21495:                            ;   in Loop: Header=BB6_20708 Depth=3
	v_cmp_ne_u64_e32 vcc, 0, v[0:1]
                                        ; implicit-def: $vgpr0
                                        ; kill: killed $vgpr0
	s_and_saveexec_b64 s[62:63], vcc
	s_xor_b64 vcc, exec, s[62:63]
	s_cbranch_execz .LBB6_21497
; %bb.21496:                            ;   in Loop: Header=BB6_20708 Depth=3
	v_or_b32_sdwa v0, v2, s44 dst_sel:DWORD dst_unused:UNUSED_PAD src0_sel:BYTE_3 src1_sel:DWORD
	buffer_store_dword v0, off, s[0:3], s33 offset:348 ; 4-byte Folded Spill
                                        ; implicit-def: $vgpr2
.LBB6_21497:                            ;   in Loop: Header=BB6_20708 Depth=3
	s_andn2_saveexec_b64 s[30:31], vcc
	s_cbranch_execz .LBB6_21499
; %bb.21498:                            ;   in Loop: Header=BB6_20708 Depth=3
	v_cmp_lt_i32_e32 vcc, -1, v2
	v_bfrev_b32_e32 v0, 0.5
	v_mov_b32_e32 v1, 0x7c
	v_cndmask_b32_e32 v0, v0, v1, vcc
	buffer_store_dword v0, off, s[0:3], s33 offset:348 ; 4-byte Folded Spill
.LBB6_21499:                            ;   in Loop: Header=BB6_20708 Depth=3
	s_or_b64 exec, exec, s[30:31]
.LBB6_21500:                            ;   in Loop: Header=BB6_20708 Depth=3
	s_or_b64 exec, exec, s[28:29]
	v_mov_b32_e32 v0, v11
	v_mov_b32_e32 v1, v33
	v_cmp_ne_u16_sdwa s[62:63], v11, v33 src0_sel:BYTE_0 src1_sel:DWORD
	v_mov_b32_e32 v2, 0
	s_and_saveexec_b64 s[28:29], s[62:63]
	s_cbranch_execz .LBB6_21508
; %bb.21501:                            ;   in Loop: Header=BB6_20708 Depth=3
	v_cmp_ne_u16_sdwa s[62:63], v11, s97 src0_sel:BYTE_0 src1_sel:DWORD
	v_bfrev_b32_e32 v2, 1
	s_and_saveexec_b64 s[30:31], s[62:63]
	s_cbranch_execz .LBB6_21507
; %bb.21502:                            ;   in Loop: Header=BB6_20708 Depth=3
	v_and_b32_e32 v2, 0x7c, v11
	v_and_b32_e32 v3, 3, v11
	v_cmp_ne_u32_e32 vcc, s86, v2
                                        ; implicit-def: $vgpr2
	s_and_saveexec_b64 s[62:63], vcc
	s_xor_b64 s[34:35], exec, s[62:63]
	s_cbranch_execz .LBB6_21504
; %bb.21503:                            ;   in Loop: Header=BB6_20708 Depth=3
	v_ffbh_u32_e32 v2, v3
	v_min_u32_e32 v8, 32, v2
	v_subrev_u32_e32 v2, 29, v8
	v_lshlrev_b64 v[1:2], v2, v[0:1]
	v_bfe_u32 v6, v11, 2, 5
	v_and_b32_e32 v1, 3, v1
	v_cmp_eq_u32_e32 vcc, 0, v6
	v_sub_u32_e32 v2, 30, v8
	v_cndmask_b32_e32 v1, v3, v1, vcc
	v_lshlrev_b32_e32 v3, 24, v11
	v_cndmask_b32_e32 v2, v6, v2, vcc
	v_and_b32_e32 v3, 0x80000000, v3
	v_lshl_add_u32 v2, v2, 23, v3
	v_lshl_or_b32 v1, v1, 21, v2
	v_add_u32_e32 v2, 0x38000000, v1
                                        ; implicit-def: $vgpr3
.LBB6_21504:                            ;   in Loop: Header=BB6_20708 Depth=3
	s_andn2_saveexec_b64 s[34:35], s[34:35]
; %bb.21505:                            ;   in Loop: Header=BB6_20708 Depth=3
	v_mov_b32_e32 v1, -1
	v_cmp_gt_i16_sdwa vcc, sext(v11), v1 src0_sel:BYTE_0 src1_sel:DWORD
	v_mov_b32_e32 v1, 0xff800000
	v_mov_b32_e32 v2, 0x7f800000
	v_cndmask_b32_e32 v1, v1, v2, vcc
	v_cmp_eq_u32_e32 vcc, 0, v3
	v_mov_b32_e32 v2, 0x7f800001
	v_cndmask_b32_e32 v2, v2, v1, vcc
; %bb.21506:                            ;   in Loop: Header=BB6_20708 Depth=3
	s_or_b64 exec, exec, s[34:35]
.LBB6_21507:                            ;   in Loop: Header=BB6_20708 Depth=3
	s_or_b64 exec, exec, s[30:31]
.LBB6_21508:                            ;   in Loop: Header=BB6_20708 Depth=3
	s_or_b64 exec, exec, s[28:29]
	v_mul_f32_e32 v3, v12, v2
	v_and_b32_e32 v8, 0x7f800000, v3
	v_mov_b32_e32 v9, v33
	v_cmp_ne_u64_e32 vcc, s[76:77], v[8:9]
	v_and_b32_e32 v1, 0x7fffff, v3
	v_mov_b32_e32 v2, v33
                                        ; implicit-def: $vgpr6
	s_and_saveexec_b64 s[28:29], vcc
	s_xor_b64 s[30:31], exec, s[28:29]
	s_cbranch_execz .LBB6_21522
; %bb.21509:                            ;   in Loop: Header=BB6_20708 Depth=3
	v_and_b32_e32 v8, 0x7fffffff, v3
	v_mov_b32_e32 v9, v33
	v_cmp_gt_u64_e32 vcc, s[78:79], v[8:9]
	v_and_b32_sdwa v8, v3, s97 dst_sel:DWORD dst_unused:UNUSED_PAD src0_sel:BYTE_3 src1_sel:DWORD
                                        ; implicit-def: $vgpr6
	s_and_saveexec_b64 s[28:29], vcc
	s_xor_b64 s[34:35], exec, s[28:29]
	s_cbranch_execz .LBB6_21519
; %bb.21510:                            ;   in Loop: Header=BB6_20708 Depth=3
	v_mov_b32_e32 v6, 0
	v_cmp_ne_u32_e32 vcc, 0, v3
	s_and_saveexec_b64 s[36:37], vcc
	s_cbranch_execz .LBB6_21518
; %bb.21511:                            ;   in Loop: Header=BB6_20708 Depth=3
	v_bfe_u32 v6, v3, 23, 8
	v_cmp_gt_u32_e64 s[28:29], s47, v6
	v_sub_u32_e32 v3, 0x71, v6
	v_cmp_eq_u32_e32 vcc, 0, v6
	v_cndmask_b32_e64 v3, 0, v3, s[28:29]
	v_mov_b32_e32 v9, 0x70
	v_cndmask_b32_e32 v9, v3, v9, vcc
	v_or_b32_e32 v13, 0x800000, v1
	v_add_u32_e32 v3, 21, v9
	v_cndmask_b32_e32 v1, v13, v1, vcc
	v_lshlrev_b64 v[13:14], v3, -1
	v_add_u32_e32 v3, 20, v9
	v_bfi_b32 v13, v13, 0, v1
	v_lshlrev_b64 v[15:16], v3, 1
	v_lshrrev_b64 v[1:2], v9, v[1:2]
	v_bfi_b32 v14, v14, 0, 0
	v_cmp_eq_u64_e64 s[28:29], v[13:14], v[15:16]
	v_mov_b32_e32 v3, v2
	v_mov_b32_e32 v2, v1
	s_and_saveexec_b64 s[38:39], s[28:29]
; %bb.21512:                            ;   in Loop: Header=BB6_20708 Depth=3
	v_bfe_u32 v2, v1, 21, 1
	v_add_co_u32_e64 v2, s[28:29], v1, v2
	v_add_co_u32_e64 v2, s[28:29], -1, v2
; %bb.21513:                            ;   in Loop: Header=BB6_20708 Depth=3
	s_or_b64 exec, exec, s[38:39]
	v_add_u32_e32 v3, 0xffffff81, v6
	v_mov_b32_e32 v6, 0xffffff82
	v_cndmask_b32_e32 v3, v3, v6, vcc
	v_lshrrev_b32_e32 v6, 23, v1
	v_add3_u32 v9, v9, v3, v6
	v_add_u32_e32 v6, 14, v9
	v_and_b32_e32 v2, 0x1fffff, v2
	v_add_u32_e32 v1, v2, v1
	v_mov_b32_e32 v2, v33
	v_cmp_ne_u32_e32 vcc, 0, v6
                                        ; implicit-def: $vgpr3
	s_and_saveexec_b64 s[28:29], vcc
	s_xor_b64 s[28:29], exec, s[28:29]
; %bb.21514:                            ;   in Loop: Header=BB6_20708 Depth=3
	v_cmp_lt_u64_e32 vcc, s[88:89], v[1:2]
	v_add_u32_e32 v3, 15, v9
	v_cndmask_b32_e32 v3, v6, v3, vcc
	v_cndmask_b32_e64 v6, 0, 1, vcc
	v_lshrrev_b64 v[1:2], v6, v[1:2]
; %bb.21515:                            ;   in Loop: Header=BB6_20708 Depth=3
	s_andn2_saveexec_b64 s[28:29], s[28:29]
; %bb.21516:                            ;   in Loop: Header=BB6_20708 Depth=3
	v_bfe_u32 v3, v1, 23, 1
; %bb.21517:                            ;   in Loop: Header=BB6_20708 Depth=3
	s_or_b64 exec, exec, s[28:29]
	v_lshrrev_b64 v[1:2], 21, v[1:2]
	v_cmp_gt_i32_e32 vcc, 32, v3
	v_cndmask_b32_e32 v2, 0, v2, vcc
	v_cndmask_b32_e32 v1, 3, v1, vcc
	v_cmp_eq_u64_e64 s[28:29], 0, v[1:2]
	v_min_i32_e32 v2, 31, v3
	v_lshlrev_b32_e32 v2, 2, v2
	v_cmp_eq_u32_e32 vcc, 0, v3
	v_and_b32_e32 v2, 0xfc, v2
	v_and_or_b32 v1, v1, 3, v2
	s_and_b64 s[28:29], vcc, s[28:29]
	v_cndmask_b32_e64 v1, v1, 0, s[28:29]
	v_or_b32_e32 v6, v1, v8
.LBB6_21518:                            ;   in Loop: Header=BB6_20708 Depth=3
	s_or_b64 exec, exec, s[36:37]
                                        ; implicit-def: $vgpr8
.LBB6_21519:                            ;   in Loop: Header=BB6_20708 Depth=3
	s_andn2_saveexec_b64 s[28:29], s[34:35]
; %bb.21520:                            ;   in Loop: Header=BB6_20708 Depth=3
	v_or_b32_e32 v6, 0x7b, v8
; %bb.21521:                            ;   in Loop: Header=BB6_20708 Depth=3
	s_or_b64 exec, exec, s[28:29]
                                        ; implicit-def: $vgpr3
                                        ; implicit-def: $vgpr1_vgpr2
.LBB6_21522:                            ;   in Loop: Header=BB6_20708 Depth=3
	s_andn2_saveexec_b64 s[28:29], s[30:31]
	s_cbranch_execz .LBB6_21528
; %bb.21523:                            ;   in Loop: Header=BB6_20708 Depth=3
	v_cmp_ne_u64_e32 vcc, 0, v[1:2]
                                        ; implicit-def: $vgpr6
	s_and_saveexec_b64 s[62:63], vcc
	s_xor_b64 vcc, exec, s[62:63]
; %bb.21524:                            ;   in Loop: Header=BB6_20708 Depth=3
	v_or_b32_sdwa v6, v3, s44 dst_sel:DWORD dst_unused:UNUSED_PAD src0_sel:BYTE_3 src1_sel:DWORD
                                        ; implicit-def: $vgpr3
; %bb.21525:                            ;   in Loop: Header=BB6_20708 Depth=3
	s_andn2_saveexec_b64 s[30:31], vcc
; %bb.21526:                            ;   in Loop: Header=BB6_20708 Depth=3
	v_cmp_lt_i32_e32 vcc, -1, v3
	v_bfrev_b32_e32 v1, 0.5
	v_mov_b32_e32 v2, 0x7c
	v_cndmask_b32_e32 v6, v1, v2, vcc
; %bb.21527:                            ;   in Loop: Header=BB6_20708 Depth=3
	s_or_b64 exec, exec, s[30:31]
.LBB6_21528:                            ;   in Loop: Header=BB6_20708 Depth=3
	s_or_b64 exec, exec, s[28:29]
	v_lshrrev_b16_e32 v1, 8, v0
	v_cmp_ne_u16_e32 vcc, 0, v1
	v_mov_b32_e32 v2, 0
	s_and_saveexec_b64 s[28:29], vcc
	s_cbranch_execz .LBB6_21536
; %bb.21529:                            ;   in Loop: Header=BB6_20708 Depth=3
	v_cmp_ne_u16_e32 vcc, s97, v1
	v_bfrev_b32_e32 v2, 1
	s_and_saveexec_b64 s[30:31], vcc
	s_cbranch_execz .LBB6_21535
; %bb.21530:                            ;   in Loop: Header=BB6_20708 Depth=3
	v_and_b32_e32 v2, 0x7c, v1
	v_and_b32_e32 v3, 3, v1
	v_cmp_ne_u32_e32 vcc, s86, v2
                                        ; implicit-def: $vgpr2
	s_and_saveexec_b64 s[62:63], vcc
	s_xor_b64 s[34:35], exec, s[62:63]
	s_cbranch_execz .LBB6_21532
; %bb.21531:                            ;   in Loop: Header=BB6_20708 Depth=3
	v_ffbh_u32_e32 v9, v3
	v_min_u32_e32 v9, 32, v9
	v_mov_b32_e32 v2, v33
	v_subrev_u32_e32 v13, 29, v9
	v_bfe_u32 v8, v1, 2, 5
	v_lshlrev_b64 v[1:2], v13, v[1:2]
	v_sub_u32_e32 v2, 30, v9
	v_cmp_eq_u32_e32 vcc, 0, v8
	v_lshlrev_b32_e32 v0, 16, v0
	v_and_b32_e32 v1, 3, v1
	v_cndmask_b32_e32 v2, v8, v2, vcc
	v_and_b32_e32 v0, 0x80000000, v0
	v_cndmask_b32_e32 v1, v3, v1, vcc
	v_lshl_add_u32 v0, v2, 23, v0
	v_lshl_or_b32 v0, v1, 21, v0
	v_add_u32_e32 v2, 0x38000000, v0
                                        ; implicit-def: $vgpr3
                                        ; implicit-def: $vgpr0_vgpr1
.LBB6_21532:                            ;   in Loop: Header=BB6_20708 Depth=3
	s_andn2_saveexec_b64 s[34:35], s[34:35]
; %bb.21533:                            ;   in Loop: Header=BB6_20708 Depth=3
	v_cmp_lt_i16_e32 vcc, -1, v0
	v_mov_b32_e32 v0, 0xff800000
	v_mov_b32_e32 v1, 0x7f800000
	v_cndmask_b32_e32 v0, v0, v1, vcc
	v_cmp_eq_u32_e32 vcc, 0, v3
	v_mov_b32_e32 v1, 0x7f800001
	v_cndmask_b32_e32 v2, v1, v0, vcc
; %bb.21534:                            ;   in Loop: Header=BB6_20708 Depth=3
	s_or_b64 exec, exec, s[34:35]
.LBB6_21535:                            ;   in Loop: Header=BB6_20708 Depth=3
	s_or_b64 exec, exec, s[30:31]
.LBB6_21536:                            ;   in Loop: Header=BB6_20708 Depth=3
	s_or_b64 exec, exec, s[28:29]
	v_mul_f32_e32 v2, v12, v2
	v_and_b32_e32 v8, 0x7f800000, v2
	v_mov_b32_e32 v9, v33
	v_cmp_ne_u64_e32 vcc, s[76:77], v[8:9]
	v_and_b32_e32 v0, 0x7fffff, v2
	v_mov_b32_e32 v1, v33
                                        ; implicit-def: $vgpr3
                                        ; kill: killed $vgpr3
	s_and_saveexec_b64 s[28:29], vcc
	s_xor_b64 s[30:31], exec, s[28:29]
	s_cbranch_execz .LBB6_21550
; %bb.21537:                            ;   in Loop: Header=BB6_20708 Depth=3
	v_and_b32_e32 v8, 0x7fffffff, v2
	v_mov_b32_e32 v9, v33
	v_cmp_gt_u64_e32 vcc, s[78:79], v[8:9]
	v_and_b32_sdwa v3, v2, s97 dst_sel:DWORD dst_unused:UNUSED_PAD src0_sel:BYTE_3 src1_sel:DWORD
                                        ; implicit-def: $vgpr5
                                        ; kill: killed $vgpr5
	s_and_saveexec_b64 s[28:29], vcc
	s_xor_b64 s[34:35], exec, s[28:29]
	s_cbranch_execz .LBB6_21547
; %bb.21538:                            ;   in Loop: Header=BB6_20708 Depth=3
	v_mov_b32_e32 v5, 0
	v_cmp_ne_u32_e32 vcc, 0, v2
	buffer_store_dword v5, off, s[0:3], s33 offset:308 ; 4-byte Folded Spill
	s_and_saveexec_b64 s[36:37], vcc
	s_cbranch_execz .LBB6_21546
; %bb.21539:                            ;   in Loop: Header=BB6_20708 Depth=3
	v_bfe_u32 v8, v2, 23, 8
	v_cmp_gt_u32_e64 s[28:29], s47, v8
	v_sub_u32_e32 v2, 0x71, v8
	v_cmp_eq_u32_e32 vcc, 0, v8
	v_cndmask_b32_e64 v2, 0, v2, s[28:29]
	v_mov_b32_e32 v9, 0x70
	v_cndmask_b32_e32 v9, v2, v9, vcc
	v_or_b32_e32 v13, 0x800000, v0
	v_add_u32_e32 v2, 21, v9
	v_cndmask_b32_e32 v0, v13, v0, vcc
	v_lshlrev_b64 v[13:14], v2, -1
	v_add_u32_e32 v2, 20, v9
	v_bfi_b32 v13, v13, 0, v0
	v_lshlrev_b64 v[15:16], v2, 1
	v_lshrrev_b64 v[0:1], v9, v[0:1]
	v_bfi_b32 v14, v14, 0, 0
	v_cmp_eq_u64_e64 s[28:29], v[13:14], v[15:16]
	v_mov_b32_e32 v2, v1
	v_mov_b32_e32 v1, v0
	s_and_saveexec_b64 s[38:39], s[28:29]
; %bb.21540:                            ;   in Loop: Header=BB6_20708 Depth=3
	v_bfe_u32 v1, v0, 21, 1
	v_add_co_u32_e64 v1, s[28:29], v0, v1
	v_add_co_u32_e64 v1, s[28:29], -1, v1
; %bb.21541:                            ;   in Loop: Header=BB6_20708 Depth=3
	s_or_b64 exec, exec, s[38:39]
	v_add_u32_e32 v2, 0xffffff81, v8
	v_mov_b32_e32 v8, 0xffffff82
	v_cndmask_b32_e32 v2, v2, v8, vcc
	v_lshrrev_b32_e32 v8, 23, v0
	v_add3_u32 v9, v9, v2, v8
	v_add_u32_e32 v8, 14, v9
	v_and_b32_e32 v1, 0x1fffff, v1
	v_add_u32_e32 v0, v1, v0
	v_mov_b32_e32 v1, v33
	v_cmp_ne_u32_e32 vcc, 0, v8
                                        ; implicit-def: $vgpr2
	s_and_saveexec_b64 s[28:29], vcc
	s_xor_b64 s[28:29], exec, s[28:29]
; %bb.21542:                            ;   in Loop: Header=BB6_20708 Depth=3
	v_cmp_lt_u64_e32 vcc, s[88:89], v[0:1]
	v_add_u32_e32 v2, 15, v9
	v_cndmask_b32_e32 v2, v8, v2, vcc
	v_cndmask_b32_e64 v8, 0, 1, vcc
	v_lshrrev_b64 v[0:1], v8, v[0:1]
; %bb.21543:                            ;   in Loop: Header=BB6_20708 Depth=3
	s_andn2_saveexec_b64 s[28:29], s[28:29]
; %bb.21544:                            ;   in Loop: Header=BB6_20708 Depth=3
	v_bfe_u32 v2, v0, 23, 1
; %bb.21545:                            ;   in Loop: Header=BB6_20708 Depth=3
	s_or_b64 exec, exec, s[28:29]
	v_lshrrev_b64 v[0:1], 21, v[0:1]
	v_cmp_gt_i32_e32 vcc, 32, v2
	v_cndmask_b32_e32 v1, 0, v1, vcc
	v_cndmask_b32_e32 v0, 3, v0, vcc
	v_cmp_eq_u64_e64 s[28:29], 0, v[0:1]
	v_min_i32_e32 v1, 31, v2
	v_lshlrev_b32_e32 v1, 2, v1
	v_cmp_eq_u32_e32 vcc, 0, v2
	v_and_b32_e32 v1, 0xfc, v1
	v_and_or_b32 v0, v0, 3, v1
	s_and_b64 s[28:29], vcc, s[28:29]
	v_cndmask_b32_e64 v0, v0, 0, s[28:29]
	v_or_b32_e32 v0, v0, v3
	buffer_store_dword v0, off, s[0:3], s33 offset:308 ; 4-byte Folded Spill
.LBB6_21546:                            ;   in Loop: Header=BB6_20708 Depth=3
	s_or_b64 exec, exec, s[36:37]
                                        ; implicit-def: $vgpr3
.LBB6_21547:                            ;   in Loop: Header=BB6_20708 Depth=3
	s_andn2_saveexec_b64 s[28:29], s[34:35]
	s_cbranch_execz .LBB6_21549
; %bb.21548:                            ;   in Loop: Header=BB6_20708 Depth=3
	v_or_b32_e32 v0, 0x7b, v3
	buffer_store_dword v0, off, s[0:3], s33 offset:308 ; 4-byte Folded Spill
.LBB6_21549:                            ;   in Loop: Header=BB6_20708 Depth=3
	s_or_b64 exec, exec, s[28:29]
                                        ; implicit-def: $vgpr2
                                        ; implicit-def: $vgpr0_vgpr1
.LBB6_21550:                            ;   in Loop: Header=BB6_20708 Depth=3
	s_andn2_saveexec_b64 s[28:29], s[30:31]
	s_cbranch_execz .LBB6_21556
; %bb.21551:                            ;   in Loop: Header=BB6_20708 Depth=3
	v_cmp_ne_u64_e32 vcc, 0, v[0:1]
                                        ; implicit-def: $vgpr0
                                        ; kill: killed $vgpr0
	s_and_saveexec_b64 s[62:63], vcc
	s_xor_b64 vcc, exec, s[62:63]
	s_cbranch_execz .LBB6_21553
; %bb.21552:                            ;   in Loop: Header=BB6_20708 Depth=3
	v_or_b32_sdwa v0, v2, s44 dst_sel:DWORD dst_unused:UNUSED_PAD src0_sel:BYTE_3 src1_sel:DWORD
	buffer_store_dword v0, off, s[0:3], s33 offset:308 ; 4-byte Folded Spill
                                        ; implicit-def: $vgpr2
.LBB6_21553:                            ;   in Loop: Header=BB6_20708 Depth=3
	s_andn2_saveexec_b64 s[30:31], vcc
	s_cbranch_execz .LBB6_21555
; %bb.21554:                            ;   in Loop: Header=BB6_20708 Depth=3
	v_cmp_lt_i32_e32 vcc, -1, v2
	v_bfrev_b32_e32 v0, 0.5
	v_mov_b32_e32 v1, 0x7c
	v_cndmask_b32_e32 v0, v0, v1, vcc
	buffer_store_dword v0, off, s[0:3], s33 offset:308 ; 4-byte Folded Spill
.LBB6_21555:                            ;   in Loop: Header=BB6_20708 Depth=3
	s_or_b64 exec, exec, s[30:31]
.LBB6_21556:                            ;   in Loop: Header=BB6_20708 Depth=3
	s_or_b64 exec, exec, s[28:29]
	v_lshrrev_b32_e32 v0, 16, v11
	v_cmp_ne_u16_sdwa s[62:63], v0, v33 src0_sel:BYTE_0 src1_sel:DWORD
	v_mov_b32_e32 v1, 0
	s_and_saveexec_b64 s[28:29], s[62:63]
	s_cbranch_execz .LBB6_21564
; %bb.21557:                            ;   in Loop: Header=BB6_20708 Depth=3
	v_cmp_ne_u16_sdwa s[62:63], v0, s97 src0_sel:BYTE_0 src1_sel:DWORD
	v_bfrev_b32_e32 v1, 1
	s_and_saveexec_b64 s[30:31], s[62:63]
	s_cbranch_execz .LBB6_21563
; %bb.21558:                            ;   in Loop: Header=BB6_20708 Depth=3
	v_and_b32_e32 v1, 0x7c0000, v11
	v_bfe_u32 v2, v11, 16, 2
	v_cmp_ne_u32_e32 vcc, s45, v1
                                        ; implicit-def: $vgpr1
	s_and_saveexec_b64 s[62:63], vcc
	s_xor_b64 s[34:35], exec, s[62:63]
	s_cbranch_execz .LBB6_21560
; %bb.21559:                            ;   in Loop: Header=BB6_20708 Depth=3
	v_ffbh_u32_e32 v1, v2
	v_min_u32_e32 v8, 32, v1
	v_subrev_u32_e32 v1, 29, v8
	v_lshlrev_b64 v[0:1], v1, v[0:1]
	v_bfe_u32 v3, v11, 18, 5
	v_and_b32_e32 v0, 3, v0
	v_cmp_eq_u32_e32 vcc, 0, v3
	v_sub_u32_e32 v1, 30, v8
	v_cndmask_b32_e32 v0, v2, v0, vcc
	v_lshlrev_b32_e32 v2, 8, v11
	v_cndmask_b32_e32 v1, v3, v1, vcc
	v_and_b32_e32 v2, 0x80000000, v2
	v_lshl_add_u32 v1, v1, 23, v2
	v_lshl_or_b32 v0, v0, 21, v1
	v_add_u32_e32 v1, 0x38000000, v0
                                        ; implicit-def: $vgpr2
                                        ; implicit-def: $vgpr0
.LBB6_21560:                            ;   in Loop: Header=BB6_20708 Depth=3
	s_andn2_saveexec_b64 s[34:35], s[34:35]
; %bb.21561:                            ;   in Loop: Header=BB6_20708 Depth=3
	v_mov_b32_e32 v1, -1
	v_cmp_gt_i16_sdwa vcc, sext(v0), v1 src0_sel:BYTE_0 src1_sel:DWORD
	v_mov_b32_e32 v0, 0xff800000
	v_mov_b32_e32 v1, 0x7f800000
	v_cndmask_b32_e32 v0, v0, v1, vcc
	v_cmp_eq_u32_e32 vcc, 0, v2
	v_mov_b32_e32 v1, 0x7f800001
	v_cndmask_b32_e32 v1, v1, v0, vcc
; %bb.21562:                            ;   in Loop: Header=BB6_20708 Depth=3
	s_or_b64 exec, exec, s[34:35]
.LBB6_21563:                            ;   in Loop: Header=BB6_20708 Depth=3
	s_or_b64 exec, exec, s[30:31]
.LBB6_21564:                            ;   in Loop: Header=BB6_20708 Depth=3
	s_or_b64 exec, exec, s[28:29]
	v_mul_f32_e32 v2, v12, v1
	v_and_b32_e32 v8, 0x7f800000, v2
	v_mov_b32_e32 v9, v33
	v_cmp_ne_u64_e32 vcc, s[76:77], v[8:9]
	v_and_b32_e32 v0, 0x7fffff, v2
	v_mov_b32_e32 v1, v33
                                        ; implicit-def: $vgpr3
                                        ; kill: killed $vgpr3
	s_and_saveexec_b64 s[28:29], vcc
	s_xor_b64 s[30:31], exec, s[28:29]
	s_cbranch_execz .LBB6_21578
; %bb.21565:                            ;   in Loop: Header=BB6_20708 Depth=3
	v_and_b32_e32 v8, 0x7fffffff, v2
	v_mov_b32_e32 v9, v33
	v_cmp_gt_u64_e32 vcc, s[78:79], v[8:9]
	v_and_b32_sdwa v3, v2, s97 dst_sel:DWORD dst_unused:UNUSED_PAD src0_sel:BYTE_3 src1_sel:DWORD
                                        ; implicit-def: $vgpr5
                                        ; kill: killed $vgpr5
	s_and_saveexec_b64 s[28:29], vcc
	s_xor_b64 s[34:35], exec, s[28:29]
	s_cbranch_execz .LBB6_21575
; %bb.21566:                            ;   in Loop: Header=BB6_20708 Depth=3
	v_mov_b32_e32 v5, 0
	v_cmp_ne_u32_e32 vcc, 0, v2
	buffer_store_dword v5, off, s[0:3], s33 offset:320 ; 4-byte Folded Spill
	s_and_saveexec_b64 s[36:37], vcc
	s_cbranch_execz .LBB6_21574
; %bb.21567:                            ;   in Loop: Header=BB6_20708 Depth=3
	v_bfe_u32 v8, v2, 23, 8
	v_cmp_gt_u32_e64 s[28:29], s47, v8
	v_sub_u32_e32 v2, 0x71, v8
	v_cmp_eq_u32_e32 vcc, 0, v8
	v_cndmask_b32_e64 v2, 0, v2, s[28:29]
	v_mov_b32_e32 v9, 0x70
	v_cndmask_b32_e32 v9, v2, v9, vcc
	v_or_b32_e32 v13, 0x800000, v0
	v_add_u32_e32 v2, 21, v9
	v_cndmask_b32_e32 v0, v13, v0, vcc
	v_lshlrev_b64 v[13:14], v2, -1
	v_add_u32_e32 v2, 20, v9
	v_bfi_b32 v13, v13, 0, v0
	v_lshlrev_b64 v[15:16], v2, 1
	v_lshrrev_b64 v[0:1], v9, v[0:1]
	v_bfi_b32 v14, v14, 0, 0
	v_cmp_eq_u64_e64 s[28:29], v[13:14], v[15:16]
	v_mov_b32_e32 v2, v1
	v_mov_b32_e32 v1, v0
	s_and_saveexec_b64 s[38:39], s[28:29]
; %bb.21568:                            ;   in Loop: Header=BB6_20708 Depth=3
	v_bfe_u32 v1, v0, 21, 1
	v_add_co_u32_e64 v1, s[28:29], v0, v1
	v_add_co_u32_e64 v1, s[28:29], -1, v1
; %bb.21569:                            ;   in Loop: Header=BB6_20708 Depth=3
	s_or_b64 exec, exec, s[38:39]
	v_add_u32_e32 v2, 0xffffff81, v8
	v_mov_b32_e32 v8, 0xffffff82
	v_cndmask_b32_e32 v2, v2, v8, vcc
	v_lshrrev_b32_e32 v8, 23, v0
	v_add3_u32 v9, v9, v2, v8
	v_add_u32_e32 v8, 14, v9
	v_and_b32_e32 v1, 0x1fffff, v1
	v_add_u32_e32 v0, v1, v0
	v_mov_b32_e32 v1, v33
	v_cmp_ne_u32_e32 vcc, 0, v8
                                        ; implicit-def: $vgpr2
	s_and_saveexec_b64 s[28:29], vcc
	s_xor_b64 s[28:29], exec, s[28:29]
; %bb.21570:                            ;   in Loop: Header=BB6_20708 Depth=3
	v_cmp_lt_u64_e32 vcc, s[88:89], v[0:1]
	v_add_u32_e32 v2, 15, v9
	v_cndmask_b32_e32 v2, v8, v2, vcc
	v_cndmask_b32_e64 v8, 0, 1, vcc
	v_lshrrev_b64 v[0:1], v8, v[0:1]
; %bb.21571:                            ;   in Loop: Header=BB6_20708 Depth=3
	s_andn2_saveexec_b64 s[28:29], s[28:29]
; %bb.21572:                            ;   in Loop: Header=BB6_20708 Depth=3
	v_bfe_u32 v2, v0, 23, 1
; %bb.21573:                            ;   in Loop: Header=BB6_20708 Depth=3
	s_or_b64 exec, exec, s[28:29]
	v_lshrrev_b64 v[0:1], 21, v[0:1]
	v_cmp_gt_i32_e32 vcc, 32, v2
	v_cndmask_b32_e32 v1, 0, v1, vcc
	v_cndmask_b32_e32 v0, 3, v0, vcc
	v_cmp_eq_u64_e64 s[28:29], 0, v[0:1]
	v_min_i32_e32 v1, 31, v2
	v_lshlrev_b32_e32 v1, 2, v1
	v_cmp_eq_u32_e32 vcc, 0, v2
	v_and_b32_e32 v1, 0xfc, v1
	v_and_or_b32 v0, v0, 3, v1
	s_and_b64 s[28:29], vcc, s[28:29]
	v_cndmask_b32_e64 v0, v0, 0, s[28:29]
	v_or_b32_e32 v0, v0, v3
	buffer_store_dword v0, off, s[0:3], s33 offset:320 ; 4-byte Folded Spill
.LBB6_21574:                            ;   in Loop: Header=BB6_20708 Depth=3
	s_or_b64 exec, exec, s[36:37]
                                        ; implicit-def: $vgpr3
.LBB6_21575:                            ;   in Loop: Header=BB6_20708 Depth=3
	s_andn2_saveexec_b64 s[28:29], s[34:35]
	s_cbranch_execz .LBB6_21577
; %bb.21576:                            ;   in Loop: Header=BB6_20708 Depth=3
	v_or_b32_e32 v0, 0x7b, v3
	buffer_store_dword v0, off, s[0:3], s33 offset:320 ; 4-byte Folded Spill
.LBB6_21577:                            ;   in Loop: Header=BB6_20708 Depth=3
	s_or_b64 exec, exec, s[28:29]
                                        ; implicit-def: $vgpr2
                                        ; implicit-def: $vgpr0_vgpr1
.LBB6_21578:                            ;   in Loop: Header=BB6_20708 Depth=3
	s_andn2_saveexec_b64 s[28:29], s[30:31]
	s_cbranch_execz .LBB6_21584
; %bb.21579:                            ;   in Loop: Header=BB6_20708 Depth=3
	v_cmp_ne_u64_e32 vcc, 0, v[0:1]
                                        ; implicit-def: $vgpr0
                                        ; kill: killed $vgpr0
	s_and_saveexec_b64 s[62:63], vcc
	s_xor_b64 vcc, exec, s[62:63]
	s_cbranch_execz .LBB6_21581
; %bb.21580:                            ;   in Loop: Header=BB6_20708 Depth=3
	v_or_b32_sdwa v0, v2, s44 dst_sel:DWORD dst_unused:UNUSED_PAD src0_sel:BYTE_3 src1_sel:DWORD
	buffer_store_dword v0, off, s[0:3], s33 offset:320 ; 4-byte Folded Spill
                                        ; implicit-def: $vgpr2
.LBB6_21581:                            ;   in Loop: Header=BB6_20708 Depth=3
	s_andn2_saveexec_b64 s[30:31], vcc
	s_cbranch_execz .LBB6_21583
; %bb.21582:                            ;   in Loop: Header=BB6_20708 Depth=3
	v_cmp_lt_i32_e32 vcc, -1, v2
	v_bfrev_b32_e32 v0, 0.5
	v_mov_b32_e32 v1, 0x7c
	v_cndmask_b32_e32 v0, v0, v1, vcc
	buffer_store_dword v0, off, s[0:3], s33 offset:320 ; 4-byte Folded Spill
.LBB6_21583:                            ;   in Loop: Header=BB6_20708 Depth=3
	s_or_b64 exec, exec, s[30:31]
.LBB6_21584:                            ;   in Loop: Header=BB6_20708 Depth=3
	s_or_b64 exec, exec, s[28:29]
	v_cmp_lt_u64_e32 vcc, s[56:57], v[10:11]
	v_mov_b32_e32 v1, 0
	s_and_saveexec_b64 s[28:29], vcc
	s_cbranch_execz .LBB6_21592
; %bb.21585:                            ;   in Loop: Header=BB6_20708 Depth=3
	v_lshrrev_b32_e32 v0, 24, v11
	v_cmp_ne_u32_e32 vcc, s97, v0
	v_bfrev_b32_e32 v1, 1
	s_and_saveexec_b64 s[30:31], vcc
	s_cbranch_execz .LBB6_21591
; %bb.21586:                            ;   in Loop: Header=BB6_20708 Depth=3
	v_and_b32_e32 v1, 0x7c000000, v11
	v_bfe_u32 v2, v11, 24, 2
	v_cmp_ne_u32_e32 vcc, s68, v1
                                        ; implicit-def: $vgpr1
	s_and_saveexec_b64 s[62:63], vcc
	s_xor_b64 s[34:35], exec, s[62:63]
	s_cbranch_execz .LBB6_21588
; %bb.21587:                            ;   in Loop: Header=BB6_20708 Depth=3
	v_ffbh_u32_e32 v1, v2
	v_min_u32_e32 v8, 32, v1
	v_subrev_u32_e32 v1, 29, v8
	v_lshlrev_b64 v[0:1], v1, v[0:1]
	v_bfe_u32 v3, v11, 26, 5
	v_sub_u32_e32 v1, 30, v8
	v_and_b32_e32 v0, 3, v0
	v_cmp_eq_u32_e32 vcc, 0, v3
	v_cndmask_b32_e32 v1, v3, v1, vcc
	v_cndmask_b32_e32 v0, v2, v0, vcc
	v_and_b32_e32 v2, 0x80000000, v11
	v_lshl_add_u32 v1, v1, 23, v2
	v_lshl_or_b32 v0, v0, 21, v1
	v_add_u32_e32 v1, 0x38000000, v0
                                        ; implicit-def: $vgpr2
                                        ; implicit-def: $vgpr10_vgpr11
.LBB6_21588:                            ;   in Loop: Header=BB6_20708 Depth=3
	s_andn2_saveexec_b64 s[34:35], s[34:35]
; %bb.21589:                            ;   in Loop: Header=BB6_20708 Depth=3
	v_cmp_lt_i64_e32 vcc, -1, v[10:11]
	v_mov_b32_e32 v0, 0xff800000
	v_mov_b32_e32 v1, 0x7f800000
	v_cndmask_b32_e32 v0, v0, v1, vcc
	v_cmp_eq_u32_e32 vcc, 0, v2
	v_mov_b32_e32 v1, 0x7f800001
	v_cndmask_b32_e32 v1, v1, v0, vcc
; %bb.21590:                            ;   in Loop: Header=BB6_20708 Depth=3
	s_or_b64 exec, exec, s[34:35]
.LBB6_21591:                            ;   in Loop: Header=BB6_20708 Depth=3
	s_or_b64 exec, exec, s[30:31]
.LBB6_21592:                            ;   in Loop: Header=BB6_20708 Depth=3
	s_or_b64 exec, exec, s[28:29]
	v_mul_f32_e32 v2, v12, v1
	v_and_b32_e32 v8, 0x7f800000, v2
	v_mov_b32_e32 v9, v33
	v_cmp_ne_u64_e32 vcc, s[76:77], v[8:9]
	v_and_b32_e32 v0, 0x7fffff, v2
	v_mov_b32_e32 v1, v33
                                        ; implicit-def: $vgpr3
                                        ; kill: killed $vgpr3
	s_and_saveexec_b64 s[28:29], vcc
	s_xor_b64 s[30:31], exec, s[28:29]
	s_cbranch_execz .LBB6_21606
; %bb.21593:                            ;   in Loop: Header=BB6_20708 Depth=3
	v_and_b32_e32 v8, 0x7fffffff, v2
	v_mov_b32_e32 v9, v33
	v_cmp_gt_u64_e32 vcc, s[78:79], v[8:9]
	v_and_b32_sdwa v3, v2, s97 dst_sel:DWORD dst_unused:UNUSED_PAD src0_sel:BYTE_3 src1_sel:DWORD
                                        ; implicit-def: $vgpr5
                                        ; kill: killed $vgpr5
	s_and_saveexec_b64 s[28:29], vcc
	s_xor_b64 s[34:35], exec, s[28:29]
	s_cbranch_execz .LBB6_21603
; %bb.21594:                            ;   in Loop: Header=BB6_20708 Depth=3
	v_mov_b32_e32 v5, 0
	v_cmp_ne_u32_e32 vcc, 0, v2
	buffer_store_dword v5, off, s[0:3], s33 offset:336 ; 4-byte Folded Spill
	s_and_saveexec_b64 s[36:37], vcc
	s_cbranch_execz .LBB6_21602
; %bb.21595:                            ;   in Loop: Header=BB6_20708 Depth=3
	v_bfe_u32 v8, v2, 23, 8
	v_cmp_gt_u32_e64 s[28:29], s47, v8
	v_sub_u32_e32 v2, 0x71, v8
	v_cmp_eq_u32_e32 vcc, 0, v8
	v_cndmask_b32_e64 v2, 0, v2, s[28:29]
	v_mov_b32_e32 v9, 0x70
	v_cndmask_b32_e32 v9, v2, v9, vcc
	v_or_b32_e32 v10, 0x800000, v0
	v_add_u32_e32 v2, 21, v9
	v_cndmask_b32_e32 v0, v10, v0, vcc
	v_lshlrev_b64 v[10:11], v2, -1
	v_add_u32_e32 v2, 20, v9
	v_bfi_b32 v10, v10, 0, v0
	v_lshlrev_b64 v[13:14], v2, 1
	v_lshrrev_b64 v[0:1], v9, v[0:1]
	v_bfi_b32 v11, v11, 0, 0
	v_cmp_eq_u64_e64 s[28:29], v[10:11], v[13:14]
	v_mov_b32_e32 v2, v1
	v_mov_b32_e32 v1, v0
	s_and_saveexec_b64 s[38:39], s[28:29]
; %bb.21596:                            ;   in Loop: Header=BB6_20708 Depth=3
	v_bfe_u32 v1, v0, 21, 1
	v_add_co_u32_e64 v1, s[28:29], v0, v1
	v_add_co_u32_e64 v1, s[28:29], -1, v1
; %bb.21597:                            ;   in Loop: Header=BB6_20708 Depth=3
	s_or_b64 exec, exec, s[38:39]
	v_add_u32_e32 v2, 0xffffff81, v8
	v_mov_b32_e32 v8, 0xffffff82
	v_cndmask_b32_e32 v2, v2, v8, vcc
	v_lshrrev_b32_e32 v8, 23, v0
	v_add3_u32 v9, v9, v2, v8
	v_add_u32_e32 v8, 14, v9
	v_and_b32_e32 v1, 0x1fffff, v1
	v_add_u32_e32 v0, v1, v0
	v_mov_b32_e32 v1, v33
	v_cmp_ne_u32_e32 vcc, 0, v8
                                        ; implicit-def: $vgpr2
	s_and_saveexec_b64 s[28:29], vcc
	s_xor_b64 s[28:29], exec, s[28:29]
; %bb.21598:                            ;   in Loop: Header=BB6_20708 Depth=3
	v_cmp_lt_u64_e32 vcc, s[88:89], v[0:1]
	v_add_u32_e32 v2, 15, v9
	v_cndmask_b32_e32 v2, v8, v2, vcc
	v_cndmask_b32_e64 v8, 0, 1, vcc
	v_lshrrev_b64 v[0:1], v8, v[0:1]
; %bb.21599:                            ;   in Loop: Header=BB6_20708 Depth=3
	s_andn2_saveexec_b64 s[28:29], s[28:29]
; %bb.21600:                            ;   in Loop: Header=BB6_20708 Depth=3
	v_bfe_u32 v2, v0, 23, 1
; %bb.21601:                            ;   in Loop: Header=BB6_20708 Depth=3
	s_or_b64 exec, exec, s[28:29]
	v_lshrrev_b64 v[0:1], 21, v[0:1]
	v_cmp_gt_i32_e32 vcc, 32, v2
	v_cndmask_b32_e32 v1, 0, v1, vcc
	v_cndmask_b32_e32 v0, 3, v0, vcc
	v_cmp_eq_u64_e64 s[28:29], 0, v[0:1]
	v_min_i32_e32 v1, 31, v2
	v_lshlrev_b32_e32 v1, 2, v1
	v_cmp_eq_u32_e32 vcc, 0, v2
	v_and_b32_e32 v1, 0xfc, v1
	v_and_or_b32 v0, v0, 3, v1
	s_and_b64 s[28:29], vcc, s[28:29]
	v_cndmask_b32_e64 v0, v0, 0, s[28:29]
	v_or_b32_e32 v0, v0, v3
	buffer_store_dword v0, off, s[0:3], s33 offset:336 ; 4-byte Folded Spill
.LBB6_21602:                            ;   in Loop: Header=BB6_20708 Depth=3
	s_or_b64 exec, exec, s[36:37]
                                        ; implicit-def: $vgpr3
.LBB6_21603:                            ;   in Loop: Header=BB6_20708 Depth=3
	s_andn2_saveexec_b64 s[28:29], s[34:35]
	s_cbranch_execz .LBB6_21605
; %bb.21604:                            ;   in Loop: Header=BB6_20708 Depth=3
	v_or_b32_e32 v0, 0x7b, v3
	buffer_store_dword v0, off, s[0:3], s33 offset:336 ; 4-byte Folded Spill
.LBB6_21605:                            ;   in Loop: Header=BB6_20708 Depth=3
	s_or_b64 exec, exec, s[28:29]
                                        ; implicit-def: $vgpr2
                                        ; implicit-def: $vgpr0_vgpr1
.LBB6_21606:                            ;   in Loop: Header=BB6_20708 Depth=3
	s_andn2_saveexec_b64 s[28:29], s[30:31]
	s_cbranch_execz .LBB6_21612
; %bb.21607:                            ;   in Loop: Header=BB6_20708 Depth=3
	v_cmp_ne_u64_e32 vcc, 0, v[0:1]
                                        ; implicit-def: $vgpr0
                                        ; kill: killed $vgpr0
	s_and_saveexec_b64 s[62:63], vcc
	s_xor_b64 vcc, exec, s[62:63]
	s_cbranch_execz .LBB6_21609
; %bb.21608:                            ;   in Loop: Header=BB6_20708 Depth=3
	v_or_b32_sdwa v0, v2, s44 dst_sel:DWORD dst_unused:UNUSED_PAD src0_sel:BYTE_3 src1_sel:DWORD
	buffer_store_dword v0, off, s[0:3], s33 offset:336 ; 4-byte Folded Spill
                                        ; implicit-def: $vgpr2
.LBB6_21609:                            ;   in Loop: Header=BB6_20708 Depth=3
	s_andn2_saveexec_b64 s[30:31], vcc
	s_cbranch_execz .LBB6_21611
; %bb.21610:                            ;   in Loop: Header=BB6_20708 Depth=3
	v_cmp_lt_i32_e32 vcc, -1, v2
	v_bfrev_b32_e32 v0, 0.5
	v_mov_b32_e32 v1, 0x7c
	v_cndmask_b32_e32 v0, v0, v1, vcc
	buffer_store_dword v0, off, s[0:3], s33 offset:336 ; 4-byte Folded Spill
.LBB6_21611:                            ;   in Loop: Header=BB6_20708 Depth=3
	s_or_b64 exec, exec, s[30:31]
.LBB6_21612:                            ;   in Loop: Header=BB6_20708 Depth=3
	s_or_b64 exec, exec, s[28:29]
	global_load_dwordx4 v[8:11], v[26:27], off offset:2048 glc slc
	v_mov_b32_e32 v0, 0
	s_waitcnt vmcnt(0)
	v_cmp_ne_u16_sdwa s[62:63], v8, v33 src0_sel:BYTE_0 src1_sel:DWORD
	s_and_saveexec_b64 s[28:29], s[62:63]
	s_cbranch_execz .LBB6_21620
; %bb.21613:                            ;   in Loop: Header=BB6_20708 Depth=3
	v_cmp_ne_u16_sdwa s[62:63], sext(v8), s46 src0_sel:BYTE_0 src1_sel:DWORD
	v_bfrev_b32_e32 v0, 1
	s_and_saveexec_b64 s[30:31], s[62:63]
	s_cbranch_execz .LBB6_21619
; %bb.21614:                            ;   in Loop: Header=BB6_20708 Depth=3
	v_and_b32_e32 v0, 0x7c, v8
	v_and_b32_e32 v1, 3, v8
	v_cmp_ne_u32_e32 vcc, s86, v0
                                        ; implicit-def: $vgpr0
	s_and_saveexec_b64 s[62:63], vcc
	s_xor_b64 s[34:35], exec, s[62:63]
	s_cbranch_execz .LBB6_21616
; %bb.21615:                            ;   in Loop: Header=BB6_20708 Depth=3
	v_ffbh_u32_e32 v2, v1
	v_min_u32_e32 v13, 32, v2
	v_subrev_u32_e32 v2, 29, v13
	v_lshlrev_b64 v[2:3], v2, v[8:9]
	v_bfe_u32 v0, v8, 2, 5
	v_and_b32_e32 v2, 3, v2
	v_cmp_eq_u32_e32 vcc, 0, v0
	v_sub_u32_e32 v3, 30, v13
	v_cndmask_b32_e32 v1, v1, v2, vcc
	v_lshlrev_b32_e32 v2, 24, v8
	v_cndmask_b32_e32 v0, v0, v3, vcc
	v_and_b32_e32 v2, 0x80000000, v2
	v_lshl_add_u32 v0, v0, 23, v2
	v_lshl_or_b32 v0, v1, 21, v0
	v_add_u32_e32 v0, 0x38000000, v0
                                        ; implicit-def: $vgpr1
.LBB6_21616:                            ;   in Loop: Header=BB6_20708 Depth=3
	s_andn2_saveexec_b64 s[34:35], s[34:35]
; %bb.21617:                            ;   in Loop: Header=BB6_20708 Depth=3
	v_mov_b32_e32 v0, -1
	v_cmp_gt_i16_sdwa vcc, sext(v8), v0 src0_sel:BYTE_0 src1_sel:DWORD
	v_mov_b32_e32 v0, 0xff800000
	v_mov_b32_e32 v2, 0x7f800000
	v_cndmask_b32_e32 v0, v0, v2, vcc
	v_cmp_eq_u32_e32 vcc, 0, v1
	v_mov_b32_e32 v1, 0x7f800001
	v_cndmask_b32_e32 v0, v1, v0, vcc
; %bb.21618:                            ;   in Loop: Header=BB6_20708 Depth=3
	s_or_b64 exec, exec, s[34:35]
.LBB6_21619:                            ;   in Loop: Header=BB6_20708 Depth=3
	s_or_b64 exec, exec, s[30:31]
.LBB6_21620:                            ;   in Loop: Header=BB6_20708 Depth=3
	s_or_b64 exec, exec, s[28:29]
	v_mul_f32_e32 v2, v12, v0
	v_and_b32_e32 v13, 0x7f800000, v2
	v_mov_b32_e32 v14, v33
	v_cmp_ne_u64_e32 vcc, s[76:77], v[13:14]
	v_and_b32_e32 v0, 0x7fffff, v2
	v_mov_b32_e32 v1, v33
                                        ; implicit-def: $vgpr47
	s_and_saveexec_b64 s[28:29], vcc
	s_xor_b64 s[30:31], exec, s[28:29]
	s_cbranch_execz .LBB6_21634
; %bb.21621:                            ;   in Loop: Header=BB6_20708 Depth=3
	v_and_b32_e32 v13, 0x7fffffff, v2
	v_mov_b32_e32 v14, v33
	v_cmp_gt_u64_e32 vcc, s[78:79], v[13:14]
	v_and_b32_sdwa v3, v2, s97 dst_sel:DWORD dst_unused:UNUSED_PAD src0_sel:BYTE_3 src1_sel:DWORD
                                        ; implicit-def: $vgpr47
	s_and_saveexec_b64 s[28:29], vcc
	s_xor_b64 s[34:35], exec, s[28:29]
	s_cbranch_execz .LBB6_21631
; %bb.21622:                            ;   in Loop: Header=BB6_20708 Depth=3
	v_mov_b32_e32 v47, 0
	v_cmp_ne_u32_e32 vcc, 0, v2
	s_and_saveexec_b64 s[36:37], vcc
	s_cbranch_execz .LBB6_21630
; %bb.21623:                            ;   in Loop: Header=BB6_20708 Depth=3
	v_bfe_u32 v13, v2, 23, 8
	v_cmp_gt_u32_e64 s[28:29], s47, v13
	v_sub_u32_e32 v2, 0x71, v13
	v_cmp_eq_u32_e32 vcc, 0, v13
	v_cndmask_b32_e64 v2, 0, v2, s[28:29]
	v_mov_b32_e32 v14, 0x70
	v_cndmask_b32_e32 v14, v2, v14, vcc
	v_or_b32_e32 v15, 0x800000, v0
	v_add_u32_e32 v2, 21, v14
	v_cndmask_b32_e32 v0, v15, v0, vcc
	v_lshlrev_b64 v[15:16], v2, -1
	v_add_u32_e32 v2, 20, v14
	v_bfi_b32 v15, v15, 0, v0
	v_lshlrev_b64 v[17:18], v2, 1
	v_lshrrev_b64 v[0:1], v14, v[0:1]
	v_bfi_b32 v16, v16, 0, 0
	v_cmp_eq_u64_e64 s[28:29], v[15:16], v[17:18]
	v_mov_b32_e32 v2, v1
	v_mov_b32_e32 v1, v0
	s_and_saveexec_b64 s[38:39], s[28:29]
; %bb.21624:                            ;   in Loop: Header=BB6_20708 Depth=3
	v_bfe_u32 v1, v0, 21, 1
	v_add_co_u32_e64 v1, s[28:29], v0, v1
	v_add_co_u32_e64 v1, s[28:29], -1, v1
; %bb.21625:                            ;   in Loop: Header=BB6_20708 Depth=3
	s_or_b64 exec, exec, s[38:39]
	v_add_u32_e32 v2, 0xffffff81, v13
	v_mov_b32_e32 v13, 0xffffff82
	v_cndmask_b32_e32 v2, v2, v13, vcc
	v_lshrrev_b32_e32 v13, 23, v0
	v_add3_u32 v14, v14, v2, v13
	v_add_u32_e32 v13, 14, v14
	v_and_b32_e32 v1, 0x1fffff, v1
	v_add_u32_e32 v0, v1, v0
	v_mov_b32_e32 v1, v33
	v_cmp_ne_u32_e32 vcc, 0, v13
                                        ; implicit-def: $vgpr2
	s_and_saveexec_b64 s[28:29], vcc
	s_xor_b64 s[28:29], exec, s[28:29]
; %bb.21626:                            ;   in Loop: Header=BB6_20708 Depth=3
	v_cmp_lt_u64_e32 vcc, s[88:89], v[0:1]
	v_add_u32_e32 v2, 15, v14
	v_cndmask_b32_e32 v2, v13, v2, vcc
	v_cndmask_b32_e64 v13, 0, 1, vcc
	v_lshrrev_b64 v[0:1], v13, v[0:1]
; %bb.21627:                            ;   in Loop: Header=BB6_20708 Depth=3
	s_andn2_saveexec_b64 s[28:29], s[28:29]
; %bb.21628:                            ;   in Loop: Header=BB6_20708 Depth=3
	v_bfe_u32 v2, v0, 23, 1
; %bb.21629:                            ;   in Loop: Header=BB6_20708 Depth=3
	s_or_b64 exec, exec, s[28:29]
	v_lshrrev_b64 v[0:1], 21, v[0:1]
	v_cmp_gt_i32_e32 vcc, 32, v2
	v_cndmask_b32_e32 v1, 0, v1, vcc
	v_cndmask_b32_e32 v0, 3, v0, vcc
	v_cmp_eq_u64_e64 s[28:29], 0, v[0:1]
	v_min_i32_e32 v1, 31, v2
	v_lshlrev_b32_e32 v1, 2, v1
	v_cmp_eq_u32_e32 vcc, 0, v2
	v_and_b32_e32 v1, 0xfc, v1
	v_and_or_b32 v0, v0, 3, v1
	s_and_b64 s[28:29], vcc, s[28:29]
	v_cndmask_b32_e64 v0, v0, 0, s[28:29]
	v_or_b32_e32 v47, v0, v3
.LBB6_21630:                            ;   in Loop: Header=BB6_20708 Depth=3
	s_or_b64 exec, exec, s[36:37]
                                        ; implicit-def: $vgpr3
.LBB6_21631:                            ;   in Loop: Header=BB6_20708 Depth=3
	s_andn2_saveexec_b64 s[28:29], s[34:35]
; %bb.21632:                            ;   in Loop: Header=BB6_20708 Depth=3
	v_or_b32_e32 v47, 0x7b, v3
; %bb.21633:                            ;   in Loop: Header=BB6_20708 Depth=3
	s_or_b64 exec, exec, s[28:29]
                                        ; implicit-def: $vgpr2
                                        ; implicit-def: $vgpr0_vgpr1
.LBB6_21634:                            ;   in Loop: Header=BB6_20708 Depth=3
	s_andn2_saveexec_b64 s[28:29], s[30:31]
	s_cbranch_execz .LBB6_21640
; %bb.21635:                            ;   in Loop: Header=BB6_20708 Depth=3
	v_cmp_ne_u64_e32 vcc, 0, v[0:1]
                                        ; implicit-def: $vgpr47
	s_and_saveexec_b64 s[62:63], vcc
	s_xor_b64 vcc, exec, s[62:63]
; %bb.21636:                            ;   in Loop: Header=BB6_20708 Depth=3
	v_or_b32_sdwa v47, v2, s44 dst_sel:DWORD dst_unused:UNUSED_PAD src0_sel:BYTE_3 src1_sel:DWORD
                                        ; implicit-def: $vgpr2
; %bb.21637:                            ;   in Loop: Header=BB6_20708 Depth=3
	s_andn2_saveexec_b64 s[30:31], vcc
; %bb.21638:                            ;   in Loop: Header=BB6_20708 Depth=3
	v_cmp_lt_i32_e32 vcc, -1, v2
	v_bfrev_b32_e32 v0, 0.5
	v_mov_b32_e32 v1, 0x7c
	v_cndmask_b32_e32 v47, v0, v1, vcc
; %bb.21639:                            ;   in Loop: Header=BB6_20708 Depth=3
	s_or_b64 exec, exec, s[30:31]
.LBB6_21640:                            ;   in Loop: Header=BB6_20708 Depth=3
	s_or_b64 exec, exec, s[28:29]
	v_lshrrev_b16_e32 v0, 8, v8
	v_cmp_ne_u16_e32 vcc, 0, v0
	v_mov_b32_e32 v1, 0
	s_and_saveexec_b64 s[28:29], vcc
	s_cbranch_execz .LBB6_21648
; %bb.21641:                            ;   in Loop: Header=BB6_20708 Depth=3
	v_cmp_ne_u16_e32 vcc, s97, v0
	v_bfrev_b32_e32 v1, 1
	s_and_saveexec_b64 s[30:31], vcc
	s_cbranch_execz .LBB6_21647
; %bb.21642:                            ;   in Loop: Header=BB6_20708 Depth=3
	v_and_b32_e32 v1, 0x7c, v0
	v_and_b32_e32 v2, 3, v0
	v_cmp_ne_u32_e32 vcc, s86, v1
                                        ; implicit-def: $vgpr1
	s_and_saveexec_b64 s[62:63], vcc
	s_xor_b64 s[34:35], exec, s[62:63]
	s_cbranch_execz .LBB6_21644
; %bb.21643:                            ;   in Loop: Header=BB6_20708 Depth=3
	v_ffbh_u32_e32 v13, v2
	v_min_u32_e32 v13, 32, v13
	v_mov_b32_e32 v1, v33
	v_subrev_u32_e32 v14, 29, v13
	v_bfe_u32 v3, v0, 2, 5
	v_lshlrev_b64 v[0:1], v14, v[0:1]
	v_cmp_eq_u32_e32 vcc, 0, v3
	v_and_b32_e32 v0, 3, v0
	v_sub_u32_e32 v1, 30, v13
	v_cndmask_b32_e32 v0, v2, v0, vcc
	v_lshlrev_b32_e32 v2, 16, v8
	v_cndmask_b32_e32 v1, v3, v1, vcc
	v_and_b32_e32 v2, 0x80000000, v2
	v_lshl_add_u32 v1, v1, 23, v2
	v_lshl_or_b32 v0, v0, 21, v1
	v_add_u32_e32 v1, 0x38000000, v0
                                        ; implicit-def: $vgpr2
.LBB6_21644:                            ;   in Loop: Header=BB6_20708 Depth=3
	s_andn2_saveexec_b64 s[34:35], s[34:35]
; %bb.21645:                            ;   in Loop: Header=BB6_20708 Depth=3
	v_cmp_lt_i16_e32 vcc, -1, v8
	v_mov_b32_e32 v0, 0xff800000
	v_mov_b32_e32 v1, 0x7f800000
	v_cndmask_b32_e32 v0, v0, v1, vcc
	v_cmp_eq_u32_e32 vcc, 0, v2
	v_mov_b32_e32 v1, 0x7f800001
	v_cndmask_b32_e32 v1, v1, v0, vcc
; %bb.21646:                            ;   in Loop: Header=BB6_20708 Depth=3
	s_or_b64 exec, exec, s[34:35]
.LBB6_21647:                            ;   in Loop: Header=BB6_20708 Depth=3
	s_or_b64 exec, exec, s[30:31]
.LBB6_21648:                            ;   in Loop: Header=BB6_20708 Depth=3
	s_or_b64 exec, exec, s[28:29]
	v_mul_f32_e32 v2, v12, v1
	v_and_b32_e32 v13, 0x7f800000, v2
	v_mov_b32_e32 v14, v33
	v_cmp_ne_u64_e32 vcc, s[76:77], v[13:14]
	v_and_b32_e32 v0, 0x7fffff, v2
	v_mov_b32_e32 v1, v33
                                        ; implicit-def: $vgpr44
	s_and_saveexec_b64 s[28:29], vcc
	s_xor_b64 s[30:31], exec, s[28:29]
	s_cbranch_execz .LBB6_21662
; %bb.21649:                            ;   in Loop: Header=BB6_20708 Depth=3
	v_and_b32_e32 v13, 0x7fffffff, v2
	v_mov_b32_e32 v14, v33
	v_cmp_gt_u64_e32 vcc, s[78:79], v[13:14]
	v_and_b32_sdwa v3, v2, s97 dst_sel:DWORD dst_unused:UNUSED_PAD src0_sel:BYTE_3 src1_sel:DWORD
                                        ; implicit-def: $vgpr44
	s_and_saveexec_b64 s[28:29], vcc
	s_xor_b64 s[34:35], exec, s[28:29]
	s_cbranch_execz .LBB6_21659
; %bb.21650:                            ;   in Loop: Header=BB6_20708 Depth=3
	v_mov_b32_e32 v44, 0
	v_cmp_ne_u32_e32 vcc, 0, v2
	s_and_saveexec_b64 s[36:37], vcc
	s_cbranch_execz .LBB6_21658
; %bb.21651:                            ;   in Loop: Header=BB6_20708 Depth=3
	v_bfe_u32 v13, v2, 23, 8
	v_cmp_gt_u32_e64 s[28:29], s47, v13
	v_sub_u32_e32 v2, 0x71, v13
	v_cmp_eq_u32_e32 vcc, 0, v13
	v_cndmask_b32_e64 v2, 0, v2, s[28:29]
	v_mov_b32_e32 v14, 0x70
	v_cndmask_b32_e32 v14, v2, v14, vcc
	v_or_b32_e32 v15, 0x800000, v0
	v_add_u32_e32 v2, 21, v14
	v_cndmask_b32_e32 v0, v15, v0, vcc
	v_lshlrev_b64 v[15:16], v2, -1
	v_add_u32_e32 v2, 20, v14
	v_bfi_b32 v15, v15, 0, v0
	v_lshlrev_b64 v[17:18], v2, 1
	v_lshrrev_b64 v[0:1], v14, v[0:1]
	v_bfi_b32 v16, v16, 0, 0
	v_cmp_eq_u64_e64 s[28:29], v[15:16], v[17:18]
	v_mov_b32_e32 v2, v1
	v_mov_b32_e32 v1, v0
	s_and_saveexec_b64 s[38:39], s[28:29]
; %bb.21652:                            ;   in Loop: Header=BB6_20708 Depth=3
	v_bfe_u32 v1, v0, 21, 1
	v_add_co_u32_e64 v1, s[28:29], v0, v1
	v_add_co_u32_e64 v1, s[28:29], -1, v1
; %bb.21653:                            ;   in Loop: Header=BB6_20708 Depth=3
	s_or_b64 exec, exec, s[38:39]
	v_add_u32_e32 v2, 0xffffff81, v13
	v_mov_b32_e32 v13, 0xffffff82
	v_cndmask_b32_e32 v2, v2, v13, vcc
	v_lshrrev_b32_e32 v13, 23, v0
	v_add3_u32 v14, v14, v2, v13
	v_add_u32_e32 v13, 14, v14
	v_and_b32_e32 v1, 0x1fffff, v1
	v_add_u32_e32 v0, v1, v0
	v_mov_b32_e32 v1, v33
	v_cmp_ne_u32_e32 vcc, 0, v13
                                        ; implicit-def: $vgpr2
	s_and_saveexec_b64 s[28:29], vcc
	s_xor_b64 s[28:29], exec, s[28:29]
; %bb.21654:                            ;   in Loop: Header=BB6_20708 Depth=3
	v_cmp_lt_u64_e32 vcc, s[88:89], v[0:1]
	v_add_u32_e32 v2, 15, v14
	v_cndmask_b32_e32 v2, v13, v2, vcc
	v_cndmask_b32_e64 v13, 0, 1, vcc
	v_lshrrev_b64 v[0:1], v13, v[0:1]
; %bb.21655:                            ;   in Loop: Header=BB6_20708 Depth=3
	s_andn2_saveexec_b64 s[28:29], s[28:29]
; %bb.21656:                            ;   in Loop: Header=BB6_20708 Depth=3
	v_bfe_u32 v2, v0, 23, 1
; %bb.21657:                            ;   in Loop: Header=BB6_20708 Depth=3
	s_or_b64 exec, exec, s[28:29]
	v_lshrrev_b64 v[0:1], 21, v[0:1]
	v_cmp_gt_i32_e32 vcc, 32, v2
	v_cndmask_b32_e32 v1, 0, v1, vcc
	v_cndmask_b32_e32 v0, 3, v0, vcc
	v_cmp_eq_u64_e64 s[28:29], 0, v[0:1]
	v_min_i32_e32 v1, 31, v2
	v_lshlrev_b32_e32 v1, 2, v1
	v_cmp_eq_u32_e32 vcc, 0, v2
	v_and_b32_e32 v1, 0xfc, v1
	v_and_or_b32 v0, v0, 3, v1
	s_and_b64 s[28:29], vcc, s[28:29]
	v_cndmask_b32_e64 v0, v0, 0, s[28:29]
	v_or_b32_e32 v44, v0, v3
.LBB6_21658:                            ;   in Loop: Header=BB6_20708 Depth=3
	s_or_b64 exec, exec, s[36:37]
                                        ; implicit-def: $vgpr3
.LBB6_21659:                            ;   in Loop: Header=BB6_20708 Depth=3
	s_andn2_saveexec_b64 s[28:29], s[34:35]
; %bb.21660:                            ;   in Loop: Header=BB6_20708 Depth=3
	v_or_b32_e32 v44, 0x7b, v3
; %bb.21661:                            ;   in Loop: Header=BB6_20708 Depth=3
	s_or_b64 exec, exec, s[28:29]
                                        ; implicit-def: $vgpr2
                                        ; implicit-def: $vgpr0_vgpr1
.LBB6_21662:                            ;   in Loop: Header=BB6_20708 Depth=3
	s_andn2_saveexec_b64 s[28:29], s[30:31]
	s_cbranch_execz .LBB6_21668
; %bb.21663:                            ;   in Loop: Header=BB6_20708 Depth=3
	v_cmp_ne_u64_e32 vcc, 0, v[0:1]
                                        ; implicit-def: $vgpr44
	s_and_saveexec_b64 s[62:63], vcc
	s_xor_b64 vcc, exec, s[62:63]
; %bb.21664:                            ;   in Loop: Header=BB6_20708 Depth=3
	v_or_b32_sdwa v44, v2, s44 dst_sel:DWORD dst_unused:UNUSED_PAD src0_sel:BYTE_3 src1_sel:DWORD
                                        ; implicit-def: $vgpr2
; %bb.21665:                            ;   in Loop: Header=BB6_20708 Depth=3
	s_andn2_saveexec_b64 s[30:31], vcc
; %bb.21666:                            ;   in Loop: Header=BB6_20708 Depth=3
	v_cmp_lt_i32_e32 vcc, -1, v2
	v_bfrev_b32_e32 v0, 0.5
	v_mov_b32_e32 v1, 0x7c
	v_cndmask_b32_e32 v44, v0, v1, vcc
; %bb.21667:                            ;   in Loop: Header=BB6_20708 Depth=3
	s_or_b64 exec, exec, s[30:31]
.LBB6_21668:                            ;   in Loop: Header=BB6_20708 Depth=3
	s_or_b64 exec, exec, s[28:29]
	v_lshrrev_b32_e32 v0, 16, v8
	v_cmp_ne_u16_sdwa s[62:63], v0, v33 src0_sel:BYTE_0 src1_sel:DWORD
	v_mov_b32_e32 v1, 0
	s_and_saveexec_b64 s[28:29], s[62:63]
	s_cbranch_execz .LBB6_21676
; %bb.21669:                            ;   in Loop: Header=BB6_20708 Depth=3
	v_cmp_ne_u16_sdwa s[62:63], v0, s97 src0_sel:BYTE_0 src1_sel:DWORD
	v_bfrev_b32_e32 v1, 1
	s_and_saveexec_b64 s[30:31], s[62:63]
	s_cbranch_execz .LBB6_21675
; %bb.21670:                            ;   in Loop: Header=BB6_20708 Depth=3
	v_and_b32_e32 v1, 0x7c0000, v8
	v_bfe_u32 v2, v8, 16, 2
	v_cmp_ne_u32_e32 vcc, s45, v1
                                        ; implicit-def: $vgpr1
	s_and_saveexec_b64 s[62:63], vcc
	s_xor_b64 s[34:35], exec, s[62:63]
	s_cbranch_execz .LBB6_21672
; %bb.21671:                            ;   in Loop: Header=BB6_20708 Depth=3
	v_ffbh_u32_e32 v1, v2
	v_min_u32_e32 v13, 32, v1
	v_subrev_u32_e32 v1, 29, v13
	v_lshlrev_b64 v[0:1], v1, v[0:1]
	v_bfe_u32 v3, v8, 18, 5
	v_and_b32_e32 v0, 3, v0
	v_cmp_eq_u32_e32 vcc, 0, v3
	v_sub_u32_e32 v1, 30, v13
	v_cndmask_b32_e32 v0, v2, v0, vcc
	v_lshlrev_b32_e32 v2, 8, v8
	v_cndmask_b32_e32 v1, v3, v1, vcc
	v_and_b32_e32 v2, 0x80000000, v2
	v_lshl_add_u32 v1, v1, 23, v2
	v_lshl_or_b32 v0, v0, 21, v1
	v_add_u32_e32 v1, 0x38000000, v0
                                        ; implicit-def: $vgpr2
                                        ; implicit-def: $vgpr0
.LBB6_21672:                            ;   in Loop: Header=BB6_20708 Depth=3
	s_andn2_saveexec_b64 s[34:35], s[34:35]
; %bb.21673:                            ;   in Loop: Header=BB6_20708 Depth=3
	v_mov_b32_e32 v1, -1
	v_cmp_gt_i16_sdwa vcc, sext(v0), v1 src0_sel:BYTE_0 src1_sel:DWORD
	v_mov_b32_e32 v0, 0xff800000
	v_mov_b32_e32 v1, 0x7f800000
	v_cndmask_b32_e32 v0, v0, v1, vcc
	v_cmp_eq_u32_e32 vcc, 0, v2
	v_mov_b32_e32 v1, 0x7f800001
	v_cndmask_b32_e32 v1, v1, v0, vcc
; %bb.21674:                            ;   in Loop: Header=BB6_20708 Depth=3
	s_or_b64 exec, exec, s[34:35]
.LBB6_21675:                            ;   in Loop: Header=BB6_20708 Depth=3
	s_or_b64 exec, exec, s[30:31]
.LBB6_21676:                            ;   in Loop: Header=BB6_20708 Depth=3
	s_or_b64 exec, exec, s[28:29]
	v_mul_f32_e32 v2, v12, v1
	v_and_b32_e32 v13, 0x7f800000, v2
	v_mov_b32_e32 v14, v33
	v_cmp_ne_u64_e32 vcc, s[76:77], v[13:14]
	v_and_b32_e32 v0, 0x7fffff, v2
	v_mov_b32_e32 v1, v33
                                        ; implicit-def: $vgpr3
                                        ; kill: killed $vgpr3
	s_and_saveexec_b64 s[28:29], vcc
	s_xor_b64 s[30:31], exec, s[28:29]
	s_cbranch_execz .LBB6_21690
; %bb.21677:                            ;   in Loop: Header=BB6_20708 Depth=3
	v_and_b32_e32 v13, 0x7fffffff, v2
	v_mov_b32_e32 v14, v33
	v_cmp_gt_u64_e32 vcc, s[78:79], v[13:14]
	v_and_b32_sdwa v3, v2, s97 dst_sel:DWORD dst_unused:UNUSED_PAD src0_sel:BYTE_3 src1_sel:DWORD
                                        ; implicit-def: $vgpr5
                                        ; kill: killed $vgpr5
	s_and_saveexec_b64 s[28:29], vcc
	s_xor_b64 s[34:35], exec, s[28:29]
	s_cbranch_execz .LBB6_21687
; %bb.21678:                            ;   in Loop: Header=BB6_20708 Depth=3
	v_mov_b32_e32 v5, 0
	v_cmp_ne_u32_e32 vcc, 0, v2
	buffer_store_dword v5, off, s[0:3], s33 offset:304 ; 4-byte Folded Spill
	s_and_saveexec_b64 s[36:37], vcc
	s_cbranch_execz .LBB6_21686
; %bb.21679:                            ;   in Loop: Header=BB6_20708 Depth=3
	v_bfe_u32 v13, v2, 23, 8
	v_cmp_gt_u32_e64 s[28:29], s47, v13
	v_sub_u32_e32 v2, 0x71, v13
	v_cmp_eq_u32_e32 vcc, 0, v13
	v_cndmask_b32_e64 v2, 0, v2, s[28:29]
	v_mov_b32_e32 v14, 0x70
	v_cndmask_b32_e32 v14, v2, v14, vcc
	v_or_b32_e32 v15, 0x800000, v0
	v_add_u32_e32 v2, 21, v14
	v_cndmask_b32_e32 v0, v15, v0, vcc
	v_lshlrev_b64 v[15:16], v2, -1
	v_add_u32_e32 v2, 20, v14
	v_bfi_b32 v15, v15, 0, v0
	v_lshlrev_b64 v[17:18], v2, 1
	v_lshrrev_b64 v[0:1], v14, v[0:1]
	v_bfi_b32 v16, v16, 0, 0
	v_cmp_eq_u64_e64 s[28:29], v[15:16], v[17:18]
	v_mov_b32_e32 v2, v1
	v_mov_b32_e32 v1, v0
	s_and_saveexec_b64 s[38:39], s[28:29]
; %bb.21680:                            ;   in Loop: Header=BB6_20708 Depth=3
	v_bfe_u32 v1, v0, 21, 1
	v_add_co_u32_e64 v1, s[28:29], v0, v1
	v_add_co_u32_e64 v1, s[28:29], -1, v1
; %bb.21681:                            ;   in Loop: Header=BB6_20708 Depth=3
	s_or_b64 exec, exec, s[38:39]
	v_add_u32_e32 v2, 0xffffff81, v13
	v_mov_b32_e32 v13, 0xffffff82
	v_cndmask_b32_e32 v2, v2, v13, vcc
	v_lshrrev_b32_e32 v13, 23, v0
	v_add3_u32 v14, v14, v2, v13
	v_add_u32_e32 v13, 14, v14
	v_and_b32_e32 v1, 0x1fffff, v1
	v_add_u32_e32 v0, v1, v0
	v_mov_b32_e32 v1, v33
	v_cmp_ne_u32_e32 vcc, 0, v13
                                        ; implicit-def: $vgpr2
	s_and_saveexec_b64 s[28:29], vcc
	s_xor_b64 s[28:29], exec, s[28:29]
; %bb.21682:                            ;   in Loop: Header=BB6_20708 Depth=3
	v_cmp_lt_u64_e32 vcc, s[88:89], v[0:1]
	v_add_u32_e32 v2, 15, v14
	v_cndmask_b32_e32 v2, v13, v2, vcc
	v_cndmask_b32_e64 v13, 0, 1, vcc
	v_lshrrev_b64 v[0:1], v13, v[0:1]
; %bb.21683:                            ;   in Loop: Header=BB6_20708 Depth=3
	s_andn2_saveexec_b64 s[28:29], s[28:29]
; %bb.21684:                            ;   in Loop: Header=BB6_20708 Depth=3
	v_bfe_u32 v2, v0, 23, 1
; %bb.21685:                            ;   in Loop: Header=BB6_20708 Depth=3
	s_or_b64 exec, exec, s[28:29]
	v_lshrrev_b64 v[0:1], 21, v[0:1]
	v_cmp_gt_i32_e32 vcc, 32, v2
	v_cndmask_b32_e32 v1, 0, v1, vcc
	v_cndmask_b32_e32 v0, 3, v0, vcc
	v_cmp_eq_u64_e64 s[28:29], 0, v[0:1]
	v_min_i32_e32 v1, 31, v2
	v_lshlrev_b32_e32 v1, 2, v1
	v_cmp_eq_u32_e32 vcc, 0, v2
	v_and_b32_e32 v1, 0xfc, v1
	v_and_or_b32 v0, v0, 3, v1
	s_and_b64 s[28:29], vcc, s[28:29]
	v_cndmask_b32_e64 v0, v0, 0, s[28:29]
	v_or_b32_e32 v0, v0, v3
	buffer_store_dword v0, off, s[0:3], s33 offset:304 ; 4-byte Folded Spill
.LBB6_21686:                            ;   in Loop: Header=BB6_20708 Depth=3
	s_or_b64 exec, exec, s[36:37]
                                        ; implicit-def: $vgpr3
.LBB6_21687:                            ;   in Loop: Header=BB6_20708 Depth=3
	s_andn2_saveexec_b64 s[28:29], s[34:35]
	s_cbranch_execz .LBB6_21689
; %bb.21688:                            ;   in Loop: Header=BB6_20708 Depth=3
	v_or_b32_e32 v0, 0x7b, v3
	buffer_store_dword v0, off, s[0:3], s33 offset:304 ; 4-byte Folded Spill
.LBB6_21689:                            ;   in Loop: Header=BB6_20708 Depth=3
	s_or_b64 exec, exec, s[28:29]
                                        ; implicit-def: $vgpr2
                                        ; implicit-def: $vgpr0_vgpr1
.LBB6_21690:                            ;   in Loop: Header=BB6_20708 Depth=3
	s_andn2_saveexec_b64 s[28:29], s[30:31]
	s_cbranch_execz .LBB6_21696
; %bb.21691:                            ;   in Loop: Header=BB6_20708 Depth=3
	v_cmp_ne_u64_e32 vcc, 0, v[0:1]
                                        ; implicit-def: $vgpr0
                                        ; kill: killed $vgpr0
	s_and_saveexec_b64 s[62:63], vcc
	s_xor_b64 vcc, exec, s[62:63]
	s_cbranch_execz .LBB6_21693
; %bb.21692:                            ;   in Loop: Header=BB6_20708 Depth=3
	v_or_b32_sdwa v0, v2, s44 dst_sel:DWORD dst_unused:UNUSED_PAD src0_sel:BYTE_3 src1_sel:DWORD
	buffer_store_dword v0, off, s[0:3], s33 offset:304 ; 4-byte Folded Spill
                                        ; implicit-def: $vgpr2
.LBB6_21693:                            ;   in Loop: Header=BB6_20708 Depth=3
	s_andn2_saveexec_b64 s[30:31], vcc
	s_cbranch_execz .LBB6_21695
; %bb.21694:                            ;   in Loop: Header=BB6_20708 Depth=3
	v_cmp_lt_i32_e32 vcc, -1, v2
	v_bfrev_b32_e32 v0, 0.5
	v_mov_b32_e32 v1, 0x7c
	v_cndmask_b32_e32 v0, v0, v1, vcc
	buffer_store_dword v0, off, s[0:3], s33 offset:304 ; 4-byte Folded Spill
.LBB6_21695:                            ;   in Loop: Header=BB6_20708 Depth=3
	s_or_b64 exec, exec, s[30:31]
.LBB6_21696:                            ;   in Loop: Header=BB6_20708 Depth=3
	s_or_b64 exec, exec, s[28:29]
	v_cmp_lt_u32_e32 vcc, s57, v8
	v_mov_b32_e32 v1, 0
	s_and_saveexec_b64 s[28:29], vcc
	s_cbranch_execz .LBB6_21704
; %bb.21697:                            ;   in Loop: Header=BB6_20708 Depth=3
	v_lshrrev_b32_e32 v0, 24, v8
	v_cmp_ne_u32_e32 vcc, s97, v0
	v_bfrev_b32_e32 v1, 1
	s_and_saveexec_b64 s[30:31], vcc
	s_cbranch_execz .LBB6_21703
; %bb.21698:                            ;   in Loop: Header=BB6_20708 Depth=3
	v_and_b32_e32 v1, 0x7c000000, v8
	v_bfe_u32 v2, v8, 24, 2
	v_cmp_ne_u32_e32 vcc, s68, v1
                                        ; implicit-def: $vgpr1
	s_and_saveexec_b64 s[62:63], vcc
	s_xor_b64 s[34:35], exec, s[62:63]
	s_cbranch_execz .LBB6_21700
; %bb.21699:                            ;   in Loop: Header=BB6_20708 Depth=3
	v_ffbh_u32_e32 v1, v2
	v_min_u32_e32 v13, 32, v1
	v_subrev_u32_e32 v1, 29, v13
	v_lshlrev_b64 v[0:1], v1, v[0:1]
	v_bfe_u32 v3, v8, 26, 5
	v_sub_u32_e32 v1, 30, v13
	v_and_b32_e32 v0, 3, v0
	v_cmp_eq_u32_e32 vcc, 0, v3
	v_cndmask_b32_e32 v1, v3, v1, vcc
	v_cndmask_b32_e32 v0, v2, v0, vcc
	v_and_b32_e32 v2, 0x80000000, v8
	v_lshl_add_u32 v1, v1, 23, v2
	v_lshl_or_b32 v0, v0, 21, v1
	v_add_u32_e32 v1, 0x38000000, v0
                                        ; implicit-def: $vgpr2
.LBB6_21700:                            ;   in Loop: Header=BB6_20708 Depth=3
	s_andn2_saveexec_b64 s[34:35], s[34:35]
; %bb.21701:                            ;   in Loop: Header=BB6_20708 Depth=3
	v_cmp_lt_i32_e32 vcc, -1, v8
	v_mov_b32_e32 v0, 0xff800000
	v_mov_b32_e32 v1, 0x7f800000
	v_cndmask_b32_e32 v0, v0, v1, vcc
	v_cmp_eq_u32_e32 vcc, 0, v2
	v_mov_b32_e32 v1, 0x7f800001
	v_cndmask_b32_e32 v1, v1, v0, vcc
; %bb.21702:                            ;   in Loop: Header=BB6_20708 Depth=3
	s_or_b64 exec, exec, s[34:35]
.LBB6_21703:                            ;   in Loop: Header=BB6_20708 Depth=3
	s_or_b64 exec, exec, s[30:31]
.LBB6_21704:                            ;   in Loop: Header=BB6_20708 Depth=3
	s_or_b64 exec, exec, s[28:29]
	v_mul_f32_e32 v2, v12, v1
	v_and_b32_e32 v13, 0x7f800000, v2
	v_mov_b32_e32 v14, v33
	v_cmp_ne_u64_e32 vcc, s[76:77], v[13:14]
	v_and_b32_e32 v0, 0x7fffff, v2
	v_mov_b32_e32 v1, v33
                                        ; implicit-def: $vgpr3
                                        ; kill: killed $vgpr3
	s_and_saveexec_b64 s[28:29], vcc
	s_xor_b64 s[30:31], exec, s[28:29]
	s_cbranch_execz .LBB6_21718
; %bb.21705:                            ;   in Loop: Header=BB6_20708 Depth=3
	v_and_b32_e32 v13, 0x7fffffff, v2
	v_mov_b32_e32 v14, v33
	v_cmp_gt_u64_e32 vcc, s[78:79], v[13:14]
	v_and_b32_sdwa v3, v2, s97 dst_sel:DWORD dst_unused:UNUSED_PAD src0_sel:BYTE_3 src1_sel:DWORD
                                        ; implicit-def: $vgpr5
                                        ; kill: killed $vgpr5
	s_and_saveexec_b64 s[28:29], vcc
	s_xor_b64 s[34:35], exec, s[28:29]
	s_cbranch_execz .LBB6_21715
; %bb.21706:                            ;   in Loop: Header=BB6_20708 Depth=3
	v_mov_b32_e32 v5, 0
	v_cmp_ne_u32_e32 vcc, 0, v2
	buffer_store_dword v5, off, s[0:3], s33 offset:316 ; 4-byte Folded Spill
	s_and_saveexec_b64 s[36:37], vcc
	s_cbranch_execz .LBB6_21714
; %bb.21707:                            ;   in Loop: Header=BB6_20708 Depth=3
	v_bfe_u32 v13, v2, 23, 8
	v_cmp_gt_u32_e64 s[28:29], s47, v13
	v_sub_u32_e32 v2, 0x71, v13
	v_cmp_eq_u32_e32 vcc, 0, v13
	v_cndmask_b32_e64 v2, 0, v2, s[28:29]
	v_mov_b32_e32 v14, 0x70
	v_cndmask_b32_e32 v14, v2, v14, vcc
	v_or_b32_e32 v15, 0x800000, v0
	v_add_u32_e32 v2, 21, v14
	v_cndmask_b32_e32 v0, v15, v0, vcc
	v_lshlrev_b64 v[15:16], v2, -1
	v_add_u32_e32 v2, 20, v14
	v_bfi_b32 v15, v15, 0, v0
	v_lshlrev_b64 v[17:18], v2, 1
	v_lshrrev_b64 v[0:1], v14, v[0:1]
	v_bfi_b32 v16, v16, 0, 0
	v_cmp_eq_u64_e64 s[28:29], v[15:16], v[17:18]
	v_mov_b32_e32 v2, v1
	v_mov_b32_e32 v1, v0
	s_and_saveexec_b64 s[38:39], s[28:29]
; %bb.21708:                            ;   in Loop: Header=BB6_20708 Depth=3
	v_bfe_u32 v1, v0, 21, 1
	v_add_co_u32_e64 v1, s[28:29], v0, v1
	v_add_co_u32_e64 v1, s[28:29], -1, v1
; %bb.21709:                            ;   in Loop: Header=BB6_20708 Depth=3
	s_or_b64 exec, exec, s[38:39]
	v_add_u32_e32 v2, 0xffffff81, v13
	v_mov_b32_e32 v13, 0xffffff82
	v_cndmask_b32_e32 v2, v2, v13, vcc
	v_lshrrev_b32_e32 v13, 23, v0
	v_add3_u32 v14, v14, v2, v13
	v_add_u32_e32 v13, 14, v14
	v_and_b32_e32 v1, 0x1fffff, v1
	v_add_u32_e32 v0, v1, v0
	v_mov_b32_e32 v1, v33
	v_cmp_ne_u32_e32 vcc, 0, v13
                                        ; implicit-def: $vgpr2
	s_and_saveexec_b64 s[28:29], vcc
	s_xor_b64 s[28:29], exec, s[28:29]
; %bb.21710:                            ;   in Loop: Header=BB6_20708 Depth=3
	v_cmp_lt_u64_e32 vcc, s[88:89], v[0:1]
	v_add_u32_e32 v2, 15, v14
	v_cndmask_b32_e32 v2, v13, v2, vcc
	v_cndmask_b32_e64 v13, 0, 1, vcc
	v_lshrrev_b64 v[0:1], v13, v[0:1]
; %bb.21711:                            ;   in Loop: Header=BB6_20708 Depth=3
	s_andn2_saveexec_b64 s[28:29], s[28:29]
; %bb.21712:                            ;   in Loop: Header=BB6_20708 Depth=3
	v_bfe_u32 v2, v0, 23, 1
; %bb.21713:                            ;   in Loop: Header=BB6_20708 Depth=3
	s_or_b64 exec, exec, s[28:29]
	v_lshrrev_b64 v[0:1], 21, v[0:1]
	v_cmp_gt_i32_e32 vcc, 32, v2
	v_cndmask_b32_e32 v1, 0, v1, vcc
	v_cndmask_b32_e32 v0, 3, v0, vcc
	v_cmp_eq_u64_e64 s[28:29], 0, v[0:1]
	v_min_i32_e32 v1, 31, v2
	v_lshlrev_b32_e32 v1, 2, v1
	v_cmp_eq_u32_e32 vcc, 0, v2
	v_and_b32_e32 v1, 0xfc, v1
	v_and_or_b32 v0, v0, 3, v1
	s_and_b64 s[28:29], vcc, s[28:29]
	v_cndmask_b32_e64 v0, v0, 0, s[28:29]
	v_or_b32_e32 v0, v0, v3
	buffer_store_dword v0, off, s[0:3], s33 offset:316 ; 4-byte Folded Spill
.LBB6_21714:                            ;   in Loop: Header=BB6_20708 Depth=3
	s_or_b64 exec, exec, s[36:37]
                                        ; implicit-def: $vgpr3
.LBB6_21715:                            ;   in Loop: Header=BB6_20708 Depth=3
	s_andn2_saveexec_b64 s[28:29], s[34:35]
	s_cbranch_execz .LBB6_21717
; %bb.21716:                            ;   in Loop: Header=BB6_20708 Depth=3
	v_or_b32_e32 v0, 0x7b, v3
	buffer_store_dword v0, off, s[0:3], s33 offset:316 ; 4-byte Folded Spill
.LBB6_21717:                            ;   in Loop: Header=BB6_20708 Depth=3
	s_or_b64 exec, exec, s[28:29]
                                        ; implicit-def: $vgpr2
                                        ; implicit-def: $vgpr0_vgpr1
.LBB6_21718:                            ;   in Loop: Header=BB6_20708 Depth=3
	s_andn2_saveexec_b64 s[28:29], s[30:31]
	s_cbranch_execz .LBB6_21724
; %bb.21719:                            ;   in Loop: Header=BB6_20708 Depth=3
	v_cmp_ne_u64_e32 vcc, 0, v[0:1]
                                        ; implicit-def: $vgpr0
                                        ; kill: killed $vgpr0
	s_and_saveexec_b64 s[62:63], vcc
	s_xor_b64 vcc, exec, s[62:63]
	s_cbranch_execz .LBB6_21721
; %bb.21720:                            ;   in Loop: Header=BB6_20708 Depth=3
	v_or_b32_sdwa v0, v2, s44 dst_sel:DWORD dst_unused:UNUSED_PAD src0_sel:BYTE_3 src1_sel:DWORD
	buffer_store_dword v0, off, s[0:3], s33 offset:316 ; 4-byte Folded Spill
                                        ; implicit-def: $vgpr2
.LBB6_21721:                            ;   in Loop: Header=BB6_20708 Depth=3
	s_andn2_saveexec_b64 s[30:31], vcc
	s_cbranch_execz .LBB6_21723
; %bb.21722:                            ;   in Loop: Header=BB6_20708 Depth=3
	v_cmp_lt_i32_e32 vcc, -1, v2
	v_bfrev_b32_e32 v0, 0.5
	v_mov_b32_e32 v1, 0x7c
	v_cndmask_b32_e32 v0, v0, v1, vcc
	buffer_store_dword v0, off, s[0:3], s33 offset:316 ; 4-byte Folded Spill
.LBB6_21723:                            ;   in Loop: Header=BB6_20708 Depth=3
	s_or_b64 exec, exec, s[30:31]
.LBB6_21724:                            ;   in Loop: Header=BB6_20708 Depth=3
	s_or_b64 exec, exec, s[28:29]
	v_mov_b32_e32 v0, v9
	v_mov_b32_e32 v1, v33
	v_cmp_ne_u16_sdwa s[62:63], v9, v33 src0_sel:BYTE_0 src1_sel:DWORD
	v_mov_b32_e32 v2, 0
	s_and_saveexec_b64 s[28:29], s[62:63]
	s_cbranch_execz .LBB6_21732
; %bb.21725:                            ;   in Loop: Header=BB6_20708 Depth=3
	v_cmp_ne_u16_sdwa s[62:63], v9, s97 src0_sel:BYTE_0 src1_sel:DWORD
	v_bfrev_b32_e32 v2, 1
	s_and_saveexec_b64 s[30:31], s[62:63]
	s_cbranch_execz .LBB6_21731
; %bb.21726:                            ;   in Loop: Header=BB6_20708 Depth=3
	v_and_b32_e32 v2, 0x7c, v9
	v_and_b32_e32 v3, 3, v9
	v_cmp_ne_u32_e32 vcc, s86, v2
                                        ; implicit-def: $vgpr2
	s_and_saveexec_b64 s[62:63], vcc
	s_xor_b64 s[34:35], exec, s[62:63]
	s_cbranch_execz .LBB6_21728
; %bb.21727:                            ;   in Loop: Header=BB6_20708 Depth=3
	v_ffbh_u32_e32 v2, v3
	v_min_u32_e32 v14, 32, v2
	v_subrev_u32_e32 v2, 29, v14
	v_lshlrev_b64 v[1:2], v2, v[0:1]
	v_bfe_u32 v13, v9, 2, 5
	v_and_b32_e32 v1, 3, v1
	v_cmp_eq_u32_e32 vcc, 0, v13
	v_sub_u32_e32 v2, 30, v14
	v_cndmask_b32_e32 v1, v3, v1, vcc
	v_lshlrev_b32_e32 v3, 24, v9
	v_cndmask_b32_e32 v2, v13, v2, vcc
	v_and_b32_e32 v3, 0x80000000, v3
	v_lshl_add_u32 v2, v2, 23, v3
	v_lshl_or_b32 v1, v1, 21, v2
	v_add_u32_e32 v2, 0x38000000, v1
                                        ; implicit-def: $vgpr3
.LBB6_21728:                            ;   in Loop: Header=BB6_20708 Depth=3
	s_andn2_saveexec_b64 s[34:35], s[34:35]
; %bb.21729:                            ;   in Loop: Header=BB6_20708 Depth=3
	v_mov_b32_e32 v1, -1
	v_cmp_gt_i16_sdwa vcc, sext(v9), v1 src0_sel:BYTE_0 src1_sel:DWORD
	v_mov_b32_e32 v1, 0xff800000
	v_mov_b32_e32 v2, 0x7f800000
	v_cndmask_b32_e32 v1, v1, v2, vcc
	v_cmp_eq_u32_e32 vcc, 0, v3
	v_mov_b32_e32 v2, 0x7f800001
	v_cndmask_b32_e32 v2, v2, v1, vcc
; %bb.21730:                            ;   in Loop: Header=BB6_20708 Depth=3
	s_or_b64 exec, exec, s[34:35]
.LBB6_21731:                            ;   in Loop: Header=BB6_20708 Depth=3
	s_or_b64 exec, exec, s[30:31]
.LBB6_21732:                            ;   in Loop: Header=BB6_20708 Depth=3
	s_or_b64 exec, exec, s[28:29]
	v_mul_f32_e32 v3, v12, v2
	v_and_b32_e32 v13, 0x7f800000, v3
	v_mov_b32_e32 v14, v33
	v_cmp_ne_u64_e32 vcc, s[76:77], v[13:14]
	v_and_b32_e32 v1, 0x7fffff, v3
	v_mov_b32_e32 v2, v33
                                        ; implicit-def: $vgpr42
	s_and_saveexec_b64 s[28:29], vcc
	s_xor_b64 s[30:31], exec, s[28:29]
	s_cbranch_execz .LBB6_21746
; %bb.21733:                            ;   in Loop: Header=BB6_20708 Depth=3
	v_and_b32_e32 v13, 0x7fffffff, v3
	v_mov_b32_e32 v14, v33
	v_cmp_gt_u64_e32 vcc, s[78:79], v[13:14]
	v_and_b32_sdwa v13, v3, s97 dst_sel:DWORD dst_unused:UNUSED_PAD src0_sel:BYTE_3 src1_sel:DWORD
                                        ; implicit-def: $vgpr42
	s_and_saveexec_b64 s[28:29], vcc
	s_xor_b64 s[34:35], exec, s[28:29]
	s_cbranch_execz .LBB6_21743
; %bb.21734:                            ;   in Loop: Header=BB6_20708 Depth=3
	v_mov_b32_e32 v42, 0
	v_cmp_ne_u32_e32 vcc, 0, v3
	s_and_saveexec_b64 s[36:37], vcc
	s_cbranch_execz .LBB6_21742
; %bb.21735:                            ;   in Loop: Header=BB6_20708 Depth=3
	v_bfe_u32 v14, v3, 23, 8
	v_cmp_gt_u32_e64 s[28:29], s47, v14
	v_sub_u32_e32 v3, 0x71, v14
	v_cmp_eq_u32_e32 vcc, 0, v14
	v_cndmask_b32_e64 v3, 0, v3, s[28:29]
	v_mov_b32_e32 v15, 0x70
	v_cndmask_b32_e32 v15, v3, v15, vcc
	v_or_b32_e32 v16, 0x800000, v1
	v_add_u32_e32 v3, 21, v15
	v_cndmask_b32_e32 v1, v16, v1, vcc
	v_lshlrev_b64 v[16:17], v3, -1
	v_add_u32_e32 v3, 20, v15
	v_bfi_b32 v16, v16, 0, v1
	v_lshlrev_b64 v[18:19], v3, 1
	v_lshrrev_b64 v[1:2], v15, v[1:2]
	v_bfi_b32 v17, v17, 0, 0
	v_cmp_eq_u64_e64 s[28:29], v[16:17], v[18:19]
	v_mov_b32_e32 v3, v2
	v_mov_b32_e32 v2, v1
	s_and_saveexec_b64 s[38:39], s[28:29]
; %bb.21736:                            ;   in Loop: Header=BB6_20708 Depth=3
	v_bfe_u32 v2, v1, 21, 1
	v_add_co_u32_e64 v2, s[28:29], v1, v2
	v_add_co_u32_e64 v2, s[28:29], -1, v2
; %bb.21737:                            ;   in Loop: Header=BB6_20708 Depth=3
	s_or_b64 exec, exec, s[38:39]
	v_add_u32_e32 v3, 0xffffff81, v14
	v_mov_b32_e32 v14, 0xffffff82
	v_cndmask_b32_e32 v3, v3, v14, vcc
	v_lshrrev_b32_e32 v14, 23, v1
	v_add3_u32 v15, v15, v3, v14
	v_add_u32_e32 v14, 14, v15
	v_and_b32_e32 v2, 0x1fffff, v2
	v_add_u32_e32 v1, v2, v1
	v_mov_b32_e32 v2, v33
	v_cmp_ne_u32_e32 vcc, 0, v14
                                        ; implicit-def: $vgpr3
	s_and_saveexec_b64 s[28:29], vcc
	s_xor_b64 s[28:29], exec, s[28:29]
; %bb.21738:                            ;   in Loop: Header=BB6_20708 Depth=3
	v_cmp_lt_u64_e32 vcc, s[88:89], v[1:2]
	v_add_u32_e32 v3, 15, v15
	v_cndmask_b32_e32 v3, v14, v3, vcc
	v_cndmask_b32_e64 v14, 0, 1, vcc
	v_lshrrev_b64 v[1:2], v14, v[1:2]
; %bb.21739:                            ;   in Loop: Header=BB6_20708 Depth=3
	s_andn2_saveexec_b64 s[28:29], s[28:29]
; %bb.21740:                            ;   in Loop: Header=BB6_20708 Depth=3
	v_bfe_u32 v3, v1, 23, 1
; %bb.21741:                            ;   in Loop: Header=BB6_20708 Depth=3
	s_or_b64 exec, exec, s[28:29]
	v_lshrrev_b64 v[1:2], 21, v[1:2]
	v_cmp_gt_i32_e32 vcc, 32, v3
	v_cndmask_b32_e32 v2, 0, v2, vcc
	v_cndmask_b32_e32 v1, 3, v1, vcc
	v_cmp_eq_u64_e64 s[28:29], 0, v[1:2]
	v_min_i32_e32 v2, 31, v3
	v_lshlrev_b32_e32 v2, 2, v2
	v_cmp_eq_u32_e32 vcc, 0, v3
	v_and_b32_e32 v2, 0xfc, v2
	v_and_or_b32 v1, v1, 3, v2
	s_and_b64 s[28:29], vcc, s[28:29]
	v_cndmask_b32_e64 v1, v1, 0, s[28:29]
	v_or_b32_e32 v42, v1, v13
.LBB6_21742:                            ;   in Loop: Header=BB6_20708 Depth=3
	s_or_b64 exec, exec, s[36:37]
                                        ; implicit-def: $vgpr13
.LBB6_21743:                            ;   in Loop: Header=BB6_20708 Depth=3
	s_andn2_saveexec_b64 s[28:29], s[34:35]
; %bb.21744:                            ;   in Loop: Header=BB6_20708 Depth=3
	v_or_b32_e32 v42, 0x7b, v13
; %bb.21745:                            ;   in Loop: Header=BB6_20708 Depth=3
	s_or_b64 exec, exec, s[28:29]
                                        ; implicit-def: $vgpr3
                                        ; implicit-def: $vgpr1_vgpr2
.LBB6_21746:                            ;   in Loop: Header=BB6_20708 Depth=3
	s_andn2_saveexec_b64 s[28:29], s[30:31]
	s_cbranch_execz .LBB6_21752
; %bb.21747:                            ;   in Loop: Header=BB6_20708 Depth=3
	v_cmp_ne_u64_e32 vcc, 0, v[1:2]
                                        ; implicit-def: $vgpr42
	s_and_saveexec_b64 s[62:63], vcc
	s_xor_b64 vcc, exec, s[62:63]
; %bb.21748:                            ;   in Loop: Header=BB6_20708 Depth=3
	v_or_b32_sdwa v42, v3, s44 dst_sel:DWORD dst_unused:UNUSED_PAD src0_sel:BYTE_3 src1_sel:DWORD
                                        ; implicit-def: $vgpr3
; %bb.21749:                            ;   in Loop: Header=BB6_20708 Depth=3
	s_andn2_saveexec_b64 s[30:31], vcc
; %bb.21750:                            ;   in Loop: Header=BB6_20708 Depth=3
	v_cmp_lt_i32_e32 vcc, -1, v3
	v_bfrev_b32_e32 v1, 0.5
	v_mov_b32_e32 v2, 0x7c
	v_cndmask_b32_e32 v42, v1, v2, vcc
; %bb.21751:                            ;   in Loop: Header=BB6_20708 Depth=3
	s_or_b64 exec, exec, s[30:31]
.LBB6_21752:                            ;   in Loop: Header=BB6_20708 Depth=3
	s_or_b64 exec, exec, s[28:29]
	v_lshrrev_b16_e32 v1, 8, v0
	v_cmp_ne_u16_e32 vcc, 0, v1
	v_mov_b32_e32 v2, 0
	s_and_saveexec_b64 s[28:29], vcc
	s_cbranch_execz .LBB6_21760
; %bb.21753:                            ;   in Loop: Header=BB6_20708 Depth=3
	v_cmp_ne_u16_e32 vcc, s97, v1
	v_bfrev_b32_e32 v2, 1
	s_and_saveexec_b64 s[30:31], vcc
	s_cbranch_execz .LBB6_21759
; %bb.21754:                            ;   in Loop: Header=BB6_20708 Depth=3
	v_and_b32_e32 v2, 0x7c, v1
	v_and_b32_e32 v3, 3, v1
	v_cmp_ne_u32_e32 vcc, s86, v2
                                        ; implicit-def: $vgpr2
	s_and_saveexec_b64 s[62:63], vcc
	s_xor_b64 s[34:35], exec, s[62:63]
	s_cbranch_execz .LBB6_21756
; %bb.21755:                            ;   in Loop: Header=BB6_20708 Depth=3
	v_ffbh_u32_e32 v14, v3
	v_min_u32_e32 v14, 32, v14
	v_mov_b32_e32 v2, v33
	v_subrev_u32_e32 v15, 29, v14
	v_bfe_u32 v13, v1, 2, 5
	v_lshlrev_b64 v[1:2], v15, v[1:2]
	v_sub_u32_e32 v2, 30, v14
	v_cmp_eq_u32_e32 vcc, 0, v13
	v_lshlrev_b32_e32 v0, 16, v0
	v_and_b32_e32 v1, 3, v1
	v_cndmask_b32_e32 v2, v13, v2, vcc
	v_and_b32_e32 v0, 0x80000000, v0
	v_cndmask_b32_e32 v1, v3, v1, vcc
	v_lshl_add_u32 v0, v2, 23, v0
	v_lshl_or_b32 v0, v1, 21, v0
	v_add_u32_e32 v2, 0x38000000, v0
                                        ; implicit-def: $vgpr3
                                        ; implicit-def: $vgpr0_vgpr1
.LBB6_21756:                            ;   in Loop: Header=BB6_20708 Depth=3
	s_andn2_saveexec_b64 s[34:35], s[34:35]
; %bb.21757:                            ;   in Loop: Header=BB6_20708 Depth=3
	v_cmp_lt_i16_e32 vcc, -1, v0
	v_mov_b32_e32 v0, 0xff800000
	v_mov_b32_e32 v1, 0x7f800000
	v_cndmask_b32_e32 v0, v0, v1, vcc
	v_cmp_eq_u32_e32 vcc, 0, v3
	v_mov_b32_e32 v1, 0x7f800001
	v_cndmask_b32_e32 v2, v1, v0, vcc
; %bb.21758:                            ;   in Loop: Header=BB6_20708 Depth=3
	s_or_b64 exec, exec, s[34:35]
.LBB6_21759:                            ;   in Loop: Header=BB6_20708 Depth=3
	s_or_b64 exec, exec, s[30:31]
.LBB6_21760:                            ;   in Loop: Header=BB6_20708 Depth=3
	s_or_b64 exec, exec, s[28:29]
	v_mul_f32_e32 v2, v12, v2
	v_and_b32_e32 v13, 0x7f800000, v2
	v_mov_b32_e32 v14, v33
	v_cmp_ne_u64_e32 vcc, s[76:77], v[13:14]
	v_and_b32_e32 v0, 0x7fffff, v2
	v_mov_b32_e32 v1, v33
                                        ; implicit-def: $vgpr3
                                        ; kill: killed $vgpr3
	s_and_saveexec_b64 s[28:29], vcc
	s_xor_b64 s[30:31], exec, s[28:29]
	s_cbranch_execz .LBB6_21774
; %bb.21761:                            ;   in Loop: Header=BB6_20708 Depth=3
	v_and_b32_e32 v13, 0x7fffffff, v2
	v_mov_b32_e32 v14, v33
	v_cmp_gt_u64_e32 vcc, s[78:79], v[13:14]
	v_and_b32_sdwa v3, v2, s97 dst_sel:DWORD dst_unused:UNUSED_PAD src0_sel:BYTE_3 src1_sel:DWORD
                                        ; implicit-def: $vgpr5
                                        ; kill: killed $vgpr5
	s_and_saveexec_b64 s[28:29], vcc
	s_xor_b64 s[34:35], exec, s[28:29]
	s_cbranch_execz .LBB6_21771
; %bb.21762:                            ;   in Loop: Header=BB6_20708 Depth=3
	v_mov_b32_e32 v5, 0
	v_cmp_ne_u32_e32 vcc, 0, v2
	buffer_store_dword v5, off, s[0:3], s33 offset:260 ; 4-byte Folded Spill
	s_and_saveexec_b64 s[36:37], vcc
	s_cbranch_execz .LBB6_21770
; %bb.21763:                            ;   in Loop: Header=BB6_20708 Depth=3
	v_bfe_u32 v13, v2, 23, 8
	v_cmp_gt_u32_e64 s[28:29], s47, v13
	v_sub_u32_e32 v2, 0x71, v13
	v_cmp_eq_u32_e32 vcc, 0, v13
	v_cndmask_b32_e64 v2, 0, v2, s[28:29]
	v_mov_b32_e32 v14, 0x70
	v_cndmask_b32_e32 v14, v2, v14, vcc
	v_or_b32_e32 v15, 0x800000, v0
	v_add_u32_e32 v2, 21, v14
	v_cndmask_b32_e32 v0, v15, v0, vcc
	v_lshlrev_b64 v[15:16], v2, -1
	v_add_u32_e32 v2, 20, v14
	v_bfi_b32 v15, v15, 0, v0
	v_lshlrev_b64 v[17:18], v2, 1
	v_lshrrev_b64 v[0:1], v14, v[0:1]
	v_bfi_b32 v16, v16, 0, 0
	v_cmp_eq_u64_e64 s[28:29], v[15:16], v[17:18]
	v_mov_b32_e32 v2, v1
	v_mov_b32_e32 v1, v0
	s_and_saveexec_b64 s[38:39], s[28:29]
; %bb.21764:                            ;   in Loop: Header=BB6_20708 Depth=3
	v_bfe_u32 v1, v0, 21, 1
	v_add_co_u32_e64 v1, s[28:29], v0, v1
	v_add_co_u32_e64 v1, s[28:29], -1, v1
; %bb.21765:                            ;   in Loop: Header=BB6_20708 Depth=3
	s_or_b64 exec, exec, s[38:39]
	v_add_u32_e32 v2, 0xffffff81, v13
	v_mov_b32_e32 v13, 0xffffff82
	v_cndmask_b32_e32 v2, v2, v13, vcc
	v_lshrrev_b32_e32 v13, 23, v0
	v_add3_u32 v14, v14, v2, v13
	v_add_u32_e32 v13, 14, v14
	v_and_b32_e32 v1, 0x1fffff, v1
	v_add_u32_e32 v0, v1, v0
	v_mov_b32_e32 v1, v33
	v_cmp_ne_u32_e32 vcc, 0, v13
                                        ; implicit-def: $vgpr2
	s_and_saveexec_b64 s[28:29], vcc
	s_xor_b64 s[28:29], exec, s[28:29]
; %bb.21766:                            ;   in Loop: Header=BB6_20708 Depth=3
	v_cmp_lt_u64_e32 vcc, s[88:89], v[0:1]
	v_add_u32_e32 v2, 15, v14
	v_cndmask_b32_e32 v2, v13, v2, vcc
	v_cndmask_b32_e64 v13, 0, 1, vcc
	v_lshrrev_b64 v[0:1], v13, v[0:1]
; %bb.21767:                            ;   in Loop: Header=BB6_20708 Depth=3
	s_andn2_saveexec_b64 s[28:29], s[28:29]
; %bb.21768:                            ;   in Loop: Header=BB6_20708 Depth=3
	v_bfe_u32 v2, v0, 23, 1
; %bb.21769:                            ;   in Loop: Header=BB6_20708 Depth=3
	s_or_b64 exec, exec, s[28:29]
	v_lshrrev_b64 v[0:1], 21, v[0:1]
	v_cmp_gt_i32_e32 vcc, 32, v2
	v_cndmask_b32_e32 v1, 0, v1, vcc
	v_cndmask_b32_e32 v0, 3, v0, vcc
	v_cmp_eq_u64_e64 s[28:29], 0, v[0:1]
	v_min_i32_e32 v1, 31, v2
	v_lshlrev_b32_e32 v1, 2, v1
	v_cmp_eq_u32_e32 vcc, 0, v2
	v_and_b32_e32 v1, 0xfc, v1
	v_and_or_b32 v0, v0, 3, v1
	s_and_b64 s[28:29], vcc, s[28:29]
	v_cndmask_b32_e64 v0, v0, 0, s[28:29]
	v_or_b32_e32 v0, v0, v3
	buffer_store_dword v0, off, s[0:3], s33 offset:260 ; 4-byte Folded Spill
.LBB6_21770:                            ;   in Loop: Header=BB6_20708 Depth=3
	s_or_b64 exec, exec, s[36:37]
                                        ; implicit-def: $vgpr3
.LBB6_21771:                            ;   in Loop: Header=BB6_20708 Depth=3
	s_andn2_saveexec_b64 s[28:29], s[34:35]
	s_cbranch_execz .LBB6_21773
; %bb.21772:                            ;   in Loop: Header=BB6_20708 Depth=3
	v_or_b32_e32 v0, 0x7b, v3
	buffer_store_dword v0, off, s[0:3], s33 offset:260 ; 4-byte Folded Spill
.LBB6_21773:                            ;   in Loop: Header=BB6_20708 Depth=3
	s_or_b64 exec, exec, s[28:29]
                                        ; implicit-def: $vgpr2
                                        ; implicit-def: $vgpr0_vgpr1
.LBB6_21774:                            ;   in Loop: Header=BB6_20708 Depth=3
	s_andn2_saveexec_b64 s[28:29], s[30:31]
	s_cbranch_execz .LBB6_21780
; %bb.21775:                            ;   in Loop: Header=BB6_20708 Depth=3
	v_cmp_ne_u64_e32 vcc, 0, v[0:1]
                                        ; implicit-def: $vgpr0
                                        ; kill: killed $vgpr0
	s_and_saveexec_b64 s[62:63], vcc
	s_xor_b64 vcc, exec, s[62:63]
	s_cbranch_execz .LBB6_21777
; %bb.21776:                            ;   in Loop: Header=BB6_20708 Depth=3
	v_or_b32_sdwa v0, v2, s44 dst_sel:DWORD dst_unused:UNUSED_PAD src0_sel:BYTE_3 src1_sel:DWORD
	buffer_store_dword v0, off, s[0:3], s33 offset:260 ; 4-byte Folded Spill
                                        ; implicit-def: $vgpr2
.LBB6_21777:                            ;   in Loop: Header=BB6_20708 Depth=3
	s_andn2_saveexec_b64 s[30:31], vcc
	s_cbranch_execz .LBB6_21779
; %bb.21778:                            ;   in Loop: Header=BB6_20708 Depth=3
	v_cmp_lt_i32_e32 vcc, -1, v2
	v_bfrev_b32_e32 v0, 0.5
	v_mov_b32_e32 v1, 0x7c
	v_cndmask_b32_e32 v0, v0, v1, vcc
	buffer_store_dword v0, off, s[0:3], s33 offset:260 ; 4-byte Folded Spill
.LBB6_21779:                            ;   in Loop: Header=BB6_20708 Depth=3
	s_or_b64 exec, exec, s[30:31]
.LBB6_21780:                            ;   in Loop: Header=BB6_20708 Depth=3
	s_or_b64 exec, exec, s[28:29]
	v_lshrrev_b32_e32 v0, 16, v9
	v_cmp_ne_u16_sdwa s[62:63], v0, v33 src0_sel:BYTE_0 src1_sel:DWORD
	v_mov_b32_e32 v1, 0
	s_and_saveexec_b64 s[28:29], s[62:63]
	s_cbranch_execz .LBB6_21788
; %bb.21781:                            ;   in Loop: Header=BB6_20708 Depth=3
	v_cmp_ne_u16_sdwa s[62:63], v0, s97 src0_sel:BYTE_0 src1_sel:DWORD
	v_bfrev_b32_e32 v1, 1
	s_and_saveexec_b64 s[30:31], s[62:63]
	s_cbranch_execz .LBB6_21787
; %bb.21782:                            ;   in Loop: Header=BB6_20708 Depth=3
	v_and_b32_e32 v1, 0x7c0000, v9
	v_bfe_u32 v2, v9, 16, 2
	v_cmp_ne_u32_e32 vcc, s45, v1
                                        ; implicit-def: $vgpr1
	s_and_saveexec_b64 s[62:63], vcc
	s_xor_b64 s[34:35], exec, s[62:63]
	s_cbranch_execz .LBB6_21784
; %bb.21783:                            ;   in Loop: Header=BB6_20708 Depth=3
	v_ffbh_u32_e32 v1, v2
	v_min_u32_e32 v13, 32, v1
	v_subrev_u32_e32 v1, 29, v13
	v_lshlrev_b64 v[0:1], v1, v[0:1]
	v_bfe_u32 v3, v9, 18, 5
	v_and_b32_e32 v0, 3, v0
	v_cmp_eq_u32_e32 vcc, 0, v3
	v_sub_u32_e32 v1, 30, v13
	v_cndmask_b32_e32 v0, v2, v0, vcc
	v_lshlrev_b32_e32 v2, 8, v9
	v_cndmask_b32_e32 v1, v3, v1, vcc
	v_and_b32_e32 v2, 0x80000000, v2
	v_lshl_add_u32 v1, v1, 23, v2
	v_lshl_or_b32 v0, v0, 21, v1
	v_add_u32_e32 v1, 0x38000000, v0
                                        ; implicit-def: $vgpr2
                                        ; implicit-def: $vgpr0
.LBB6_21784:                            ;   in Loop: Header=BB6_20708 Depth=3
	s_andn2_saveexec_b64 s[34:35], s[34:35]
; %bb.21785:                            ;   in Loop: Header=BB6_20708 Depth=3
	v_mov_b32_e32 v1, -1
	v_cmp_gt_i16_sdwa vcc, sext(v0), v1 src0_sel:BYTE_0 src1_sel:DWORD
	v_mov_b32_e32 v0, 0xff800000
	v_mov_b32_e32 v1, 0x7f800000
	v_cndmask_b32_e32 v0, v0, v1, vcc
	v_cmp_eq_u32_e32 vcc, 0, v2
	v_mov_b32_e32 v1, 0x7f800001
	v_cndmask_b32_e32 v1, v1, v0, vcc
; %bb.21786:                            ;   in Loop: Header=BB6_20708 Depth=3
	s_or_b64 exec, exec, s[34:35]
.LBB6_21787:                            ;   in Loop: Header=BB6_20708 Depth=3
	s_or_b64 exec, exec, s[30:31]
.LBB6_21788:                            ;   in Loop: Header=BB6_20708 Depth=3
	s_or_b64 exec, exec, s[28:29]
	v_mul_f32_e32 v2, v12, v1
	v_and_b32_e32 v13, 0x7f800000, v2
	v_mov_b32_e32 v14, v33
	v_cmp_ne_u64_e32 vcc, s[76:77], v[13:14]
	v_and_b32_e32 v0, 0x7fffff, v2
	v_mov_b32_e32 v1, v33
                                        ; implicit-def: $vgpr3
                                        ; kill: killed $vgpr3
	s_and_saveexec_b64 s[28:29], vcc
	s_xor_b64 s[30:31], exec, s[28:29]
	s_cbranch_execz .LBB6_21802
; %bb.21789:                            ;   in Loop: Header=BB6_20708 Depth=3
	v_and_b32_e32 v13, 0x7fffffff, v2
	v_mov_b32_e32 v14, v33
	v_cmp_gt_u64_e32 vcc, s[78:79], v[13:14]
	v_and_b32_sdwa v3, v2, s97 dst_sel:DWORD dst_unused:UNUSED_PAD src0_sel:BYTE_3 src1_sel:DWORD
                                        ; implicit-def: $vgpr5
                                        ; kill: killed $vgpr5
	s_and_saveexec_b64 s[28:29], vcc
	s_xor_b64 s[34:35], exec, s[28:29]
	s_cbranch_execz .LBB6_21799
; %bb.21790:                            ;   in Loop: Header=BB6_20708 Depth=3
	v_mov_b32_e32 v5, 0
	v_cmp_ne_u32_e32 vcc, 0, v2
	buffer_store_dword v5, off, s[0:3], s33 offset:296 ; 4-byte Folded Spill
	s_and_saveexec_b64 s[36:37], vcc
	s_cbranch_execz .LBB6_21798
; %bb.21791:                            ;   in Loop: Header=BB6_20708 Depth=3
	v_bfe_u32 v13, v2, 23, 8
	v_cmp_gt_u32_e64 s[28:29], s47, v13
	v_sub_u32_e32 v2, 0x71, v13
	v_cmp_eq_u32_e32 vcc, 0, v13
	v_cndmask_b32_e64 v2, 0, v2, s[28:29]
	v_mov_b32_e32 v14, 0x70
	v_cndmask_b32_e32 v14, v2, v14, vcc
	v_or_b32_e32 v15, 0x800000, v0
	v_add_u32_e32 v2, 21, v14
	v_cndmask_b32_e32 v0, v15, v0, vcc
	v_lshlrev_b64 v[15:16], v2, -1
	v_add_u32_e32 v2, 20, v14
	v_bfi_b32 v15, v15, 0, v0
	v_lshlrev_b64 v[17:18], v2, 1
	v_lshrrev_b64 v[0:1], v14, v[0:1]
	v_bfi_b32 v16, v16, 0, 0
	v_cmp_eq_u64_e64 s[28:29], v[15:16], v[17:18]
	v_mov_b32_e32 v2, v1
	v_mov_b32_e32 v1, v0
	s_and_saveexec_b64 s[38:39], s[28:29]
; %bb.21792:                            ;   in Loop: Header=BB6_20708 Depth=3
	v_bfe_u32 v1, v0, 21, 1
	v_add_co_u32_e64 v1, s[28:29], v0, v1
	v_add_co_u32_e64 v1, s[28:29], -1, v1
; %bb.21793:                            ;   in Loop: Header=BB6_20708 Depth=3
	s_or_b64 exec, exec, s[38:39]
	v_add_u32_e32 v2, 0xffffff81, v13
	v_mov_b32_e32 v13, 0xffffff82
	v_cndmask_b32_e32 v2, v2, v13, vcc
	v_lshrrev_b32_e32 v13, 23, v0
	v_add3_u32 v14, v14, v2, v13
	v_add_u32_e32 v13, 14, v14
	v_and_b32_e32 v1, 0x1fffff, v1
	v_add_u32_e32 v0, v1, v0
	v_mov_b32_e32 v1, v33
	v_cmp_ne_u32_e32 vcc, 0, v13
                                        ; implicit-def: $vgpr2
	s_and_saveexec_b64 s[28:29], vcc
	s_xor_b64 s[28:29], exec, s[28:29]
; %bb.21794:                            ;   in Loop: Header=BB6_20708 Depth=3
	v_cmp_lt_u64_e32 vcc, s[88:89], v[0:1]
	v_add_u32_e32 v2, 15, v14
	v_cndmask_b32_e32 v2, v13, v2, vcc
	v_cndmask_b32_e64 v13, 0, 1, vcc
	v_lshrrev_b64 v[0:1], v13, v[0:1]
; %bb.21795:                            ;   in Loop: Header=BB6_20708 Depth=3
	s_andn2_saveexec_b64 s[28:29], s[28:29]
; %bb.21796:                            ;   in Loop: Header=BB6_20708 Depth=3
	v_bfe_u32 v2, v0, 23, 1
; %bb.21797:                            ;   in Loop: Header=BB6_20708 Depth=3
	s_or_b64 exec, exec, s[28:29]
	v_lshrrev_b64 v[0:1], 21, v[0:1]
	v_cmp_gt_i32_e32 vcc, 32, v2
	v_cndmask_b32_e32 v1, 0, v1, vcc
	v_cndmask_b32_e32 v0, 3, v0, vcc
	v_cmp_eq_u64_e64 s[28:29], 0, v[0:1]
	v_min_i32_e32 v1, 31, v2
	v_lshlrev_b32_e32 v1, 2, v1
	v_cmp_eq_u32_e32 vcc, 0, v2
	v_and_b32_e32 v1, 0xfc, v1
	v_and_or_b32 v0, v0, 3, v1
	s_and_b64 s[28:29], vcc, s[28:29]
	v_cndmask_b32_e64 v0, v0, 0, s[28:29]
	v_or_b32_e32 v0, v0, v3
	buffer_store_dword v0, off, s[0:3], s33 offset:296 ; 4-byte Folded Spill
.LBB6_21798:                            ;   in Loop: Header=BB6_20708 Depth=3
	s_or_b64 exec, exec, s[36:37]
                                        ; implicit-def: $vgpr3
.LBB6_21799:                            ;   in Loop: Header=BB6_20708 Depth=3
	s_andn2_saveexec_b64 s[28:29], s[34:35]
	s_cbranch_execz .LBB6_21801
; %bb.21800:                            ;   in Loop: Header=BB6_20708 Depth=3
	v_or_b32_e32 v0, 0x7b, v3
	buffer_store_dword v0, off, s[0:3], s33 offset:296 ; 4-byte Folded Spill
.LBB6_21801:                            ;   in Loop: Header=BB6_20708 Depth=3
	s_or_b64 exec, exec, s[28:29]
                                        ; implicit-def: $vgpr2
                                        ; implicit-def: $vgpr0_vgpr1
.LBB6_21802:                            ;   in Loop: Header=BB6_20708 Depth=3
	s_andn2_saveexec_b64 s[28:29], s[30:31]
	s_cbranch_execz .LBB6_21808
; %bb.21803:                            ;   in Loop: Header=BB6_20708 Depth=3
	v_cmp_ne_u64_e32 vcc, 0, v[0:1]
                                        ; implicit-def: $vgpr0
                                        ; kill: killed $vgpr0
	s_and_saveexec_b64 s[62:63], vcc
	s_xor_b64 vcc, exec, s[62:63]
	s_cbranch_execz .LBB6_21805
; %bb.21804:                            ;   in Loop: Header=BB6_20708 Depth=3
	v_or_b32_sdwa v0, v2, s44 dst_sel:DWORD dst_unused:UNUSED_PAD src0_sel:BYTE_3 src1_sel:DWORD
	buffer_store_dword v0, off, s[0:3], s33 offset:296 ; 4-byte Folded Spill
                                        ; implicit-def: $vgpr2
.LBB6_21805:                            ;   in Loop: Header=BB6_20708 Depth=3
	s_andn2_saveexec_b64 s[30:31], vcc
	s_cbranch_execz .LBB6_21807
; %bb.21806:                            ;   in Loop: Header=BB6_20708 Depth=3
	v_cmp_lt_i32_e32 vcc, -1, v2
	v_bfrev_b32_e32 v0, 0.5
	v_mov_b32_e32 v1, 0x7c
	v_cndmask_b32_e32 v0, v0, v1, vcc
	buffer_store_dword v0, off, s[0:3], s33 offset:296 ; 4-byte Folded Spill
.LBB6_21807:                            ;   in Loop: Header=BB6_20708 Depth=3
	s_or_b64 exec, exec, s[30:31]
.LBB6_21808:                            ;   in Loop: Header=BB6_20708 Depth=3
	s_or_b64 exec, exec, s[28:29]
	v_cmp_lt_u64_e32 vcc, s[56:57], v[8:9]
	v_mov_b32_e32 v1, 0
	s_and_saveexec_b64 s[28:29], vcc
	s_cbranch_execz .LBB6_21816
; %bb.21809:                            ;   in Loop: Header=BB6_20708 Depth=3
	v_lshrrev_b32_e32 v0, 24, v9
	v_cmp_ne_u32_e32 vcc, s97, v0
	v_bfrev_b32_e32 v1, 1
	s_and_saveexec_b64 s[30:31], vcc
	s_cbranch_execz .LBB6_21815
; %bb.21810:                            ;   in Loop: Header=BB6_20708 Depth=3
	v_and_b32_e32 v1, 0x7c000000, v9
	v_bfe_u32 v2, v9, 24, 2
	v_cmp_ne_u32_e32 vcc, s68, v1
                                        ; implicit-def: $vgpr1
	s_and_saveexec_b64 s[62:63], vcc
	s_xor_b64 s[34:35], exec, s[62:63]
	s_cbranch_execz .LBB6_21812
; %bb.21811:                            ;   in Loop: Header=BB6_20708 Depth=3
	v_ffbh_u32_e32 v1, v2
	v_min_u32_e32 v13, 32, v1
	v_subrev_u32_e32 v1, 29, v13
	v_lshlrev_b64 v[0:1], v1, v[0:1]
	v_bfe_u32 v3, v9, 26, 5
	v_sub_u32_e32 v1, 30, v13
	v_and_b32_e32 v0, 3, v0
	v_cmp_eq_u32_e32 vcc, 0, v3
	v_cndmask_b32_e32 v1, v3, v1, vcc
	v_cndmask_b32_e32 v0, v2, v0, vcc
	v_and_b32_e32 v2, 0x80000000, v9
	v_lshl_add_u32 v1, v1, 23, v2
	v_lshl_or_b32 v0, v0, 21, v1
	v_add_u32_e32 v1, 0x38000000, v0
                                        ; implicit-def: $vgpr2
.LBB6_21812:                            ;   in Loop: Header=BB6_20708 Depth=3
	s_andn2_saveexec_b64 s[34:35], s[34:35]
; %bb.21813:                            ;   in Loop: Header=BB6_20708 Depth=3
	v_cmp_lt_i64_e32 vcc, -1, v[8:9]
	v_mov_b32_e32 v0, 0xff800000
	v_mov_b32_e32 v1, 0x7f800000
	v_cndmask_b32_e32 v0, v0, v1, vcc
	v_cmp_eq_u32_e32 vcc, 0, v2
	v_mov_b32_e32 v1, 0x7f800001
	v_cndmask_b32_e32 v1, v1, v0, vcc
; %bb.21814:                            ;   in Loop: Header=BB6_20708 Depth=3
	s_or_b64 exec, exec, s[34:35]
.LBB6_21815:                            ;   in Loop: Header=BB6_20708 Depth=3
	s_or_b64 exec, exec, s[30:31]
.LBB6_21816:                            ;   in Loop: Header=BB6_20708 Depth=3
	s_or_b64 exec, exec, s[28:29]
	v_mul_f32_e32 v2, v12, v1
	v_and_b32_e32 v8, 0x7f800000, v2
	v_mov_b32_e32 v9, v33
	v_cmp_ne_u64_e32 vcc, s[76:77], v[8:9]
	v_and_b32_e32 v0, 0x7fffff, v2
	v_mov_b32_e32 v1, v33
                                        ; implicit-def: $vgpr3
                                        ; kill: killed $vgpr3
	s_and_saveexec_b64 s[28:29], vcc
	s_xor_b64 s[30:31], exec, s[28:29]
	s_cbranch_execz .LBB6_21830
; %bb.21817:                            ;   in Loop: Header=BB6_20708 Depth=3
	v_and_b32_e32 v8, 0x7fffffff, v2
	v_mov_b32_e32 v9, v33
	v_cmp_gt_u64_e32 vcc, s[78:79], v[8:9]
	v_and_b32_sdwa v3, v2, s97 dst_sel:DWORD dst_unused:UNUSED_PAD src0_sel:BYTE_3 src1_sel:DWORD
                                        ; implicit-def: $vgpr5
                                        ; kill: killed $vgpr5
	s_and_saveexec_b64 s[28:29], vcc
	s_xor_b64 s[34:35], exec, s[28:29]
	s_cbranch_execz .LBB6_21827
; %bb.21818:                            ;   in Loop: Header=BB6_20708 Depth=3
	v_mov_b32_e32 v5, 0
	v_cmp_ne_u32_e32 vcc, 0, v2
	buffer_store_dword v5, off, s[0:3], s33 offset:300 ; 4-byte Folded Spill
	s_and_saveexec_b64 s[36:37], vcc
	s_cbranch_execz .LBB6_21826
; %bb.21819:                            ;   in Loop: Header=BB6_20708 Depth=3
	v_bfe_u32 v8, v2, 23, 8
	v_cmp_gt_u32_e64 s[28:29], s47, v8
	v_sub_u32_e32 v2, 0x71, v8
	v_cmp_eq_u32_e32 vcc, 0, v8
	v_cndmask_b32_e64 v2, 0, v2, s[28:29]
	v_mov_b32_e32 v9, 0x70
	v_cndmask_b32_e32 v9, v2, v9, vcc
	v_or_b32_e32 v13, 0x800000, v0
	v_add_u32_e32 v2, 21, v9
	v_cndmask_b32_e32 v0, v13, v0, vcc
	v_lshlrev_b64 v[13:14], v2, -1
	v_add_u32_e32 v2, 20, v9
	v_bfi_b32 v13, v13, 0, v0
	v_lshlrev_b64 v[15:16], v2, 1
	v_lshrrev_b64 v[0:1], v9, v[0:1]
	v_bfi_b32 v14, v14, 0, 0
	v_cmp_eq_u64_e64 s[28:29], v[13:14], v[15:16]
	v_mov_b32_e32 v2, v1
	v_mov_b32_e32 v1, v0
	s_and_saveexec_b64 s[38:39], s[28:29]
; %bb.21820:                            ;   in Loop: Header=BB6_20708 Depth=3
	v_bfe_u32 v1, v0, 21, 1
	v_add_co_u32_e64 v1, s[28:29], v0, v1
	v_add_co_u32_e64 v1, s[28:29], -1, v1
; %bb.21821:                            ;   in Loop: Header=BB6_20708 Depth=3
	s_or_b64 exec, exec, s[38:39]
	v_add_u32_e32 v2, 0xffffff81, v8
	v_mov_b32_e32 v8, 0xffffff82
	v_cndmask_b32_e32 v2, v2, v8, vcc
	v_lshrrev_b32_e32 v8, 23, v0
	v_add3_u32 v9, v9, v2, v8
	v_add_u32_e32 v8, 14, v9
	v_and_b32_e32 v1, 0x1fffff, v1
	v_add_u32_e32 v0, v1, v0
	v_mov_b32_e32 v1, v33
	v_cmp_ne_u32_e32 vcc, 0, v8
                                        ; implicit-def: $vgpr2
	s_and_saveexec_b64 s[28:29], vcc
	s_xor_b64 s[28:29], exec, s[28:29]
; %bb.21822:                            ;   in Loop: Header=BB6_20708 Depth=3
	v_cmp_lt_u64_e32 vcc, s[88:89], v[0:1]
	v_add_u32_e32 v2, 15, v9
	v_cndmask_b32_e32 v2, v8, v2, vcc
	v_cndmask_b32_e64 v8, 0, 1, vcc
	v_lshrrev_b64 v[0:1], v8, v[0:1]
; %bb.21823:                            ;   in Loop: Header=BB6_20708 Depth=3
	s_andn2_saveexec_b64 s[28:29], s[28:29]
; %bb.21824:                            ;   in Loop: Header=BB6_20708 Depth=3
	v_bfe_u32 v2, v0, 23, 1
; %bb.21825:                            ;   in Loop: Header=BB6_20708 Depth=3
	s_or_b64 exec, exec, s[28:29]
	v_lshrrev_b64 v[0:1], 21, v[0:1]
	v_cmp_gt_i32_e32 vcc, 32, v2
	v_cndmask_b32_e32 v1, 0, v1, vcc
	v_cndmask_b32_e32 v0, 3, v0, vcc
	v_cmp_eq_u64_e64 s[28:29], 0, v[0:1]
	v_min_i32_e32 v1, 31, v2
	v_lshlrev_b32_e32 v1, 2, v1
	v_cmp_eq_u32_e32 vcc, 0, v2
	v_and_b32_e32 v1, 0xfc, v1
	v_and_or_b32 v0, v0, 3, v1
	s_and_b64 s[28:29], vcc, s[28:29]
	v_cndmask_b32_e64 v0, v0, 0, s[28:29]
	v_or_b32_e32 v0, v0, v3
	buffer_store_dword v0, off, s[0:3], s33 offset:300 ; 4-byte Folded Spill
.LBB6_21826:                            ;   in Loop: Header=BB6_20708 Depth=3
	s_or_b64 exec, exec, s[36:37]
                                        ; implicit-def: $vgpr3
.LBB6_21827:                            ;   in Loop: Header=BB6_20708 Depth=3
	s_andn2_saveexec_b64 s[28:29], s[34:35]
	s_cbranch_execz .LBB6_21829
; %bb.21828:                            ;   in Loop: Header=BB6_20708 Depth=3
	v_or_b32_e32 v0, 0x7b, v3
	buffer_store_dword v0, off, s[0:3], s33 offset:300 ; 4-byte Folded Spill
.LBB6_21829:                            ;   in Loop: Header=BB6_20708 Depth=3
	s_or_b64 exec, exec, s[28:29]
                                        ; implicit-def: $vgpr2
                                        ; implicit-def: $vgpr0_vgpr1
.LBB6_21830:                            ;   in Loop: Header=BB6_20708 Depth=3
	s_andn2_saveexec_b64 s[28:29], s[30:31]
	s_cbranch_execz .LBB6_21836
; %bb.21831:                            ;   in Loop: Header=BB6_20708 Depth=3
	v_cmp_ne_u64_e32 vcc, 0, v[0:1]
                                        ; implicit-def: $vgpr0
                                        ; kill: killed $vgpr0
	s_and_saveexec_b64 s[62:63], vcc
	s_xor_b64 vcc, exec, s[62:63]
	s_cbranch_execz .LBB6_21833
; %bb.21832:                            ;   in Loop: Header=BB6_20708 Depth=3
	v_or_b32_sdwa v0, v2, s44 dst_sel:DWORD dst_unused:UNUSED_PAD src0_sel:BYTE_3 src1_sel:DWORD
	buffer_store_dword v0, off, s[0:3], s33 offset:300 ; 4-byte Folded Spill
                                        ; implicit-def: $vgpr2
.LBB6_21833:                            ;   in Loop: Header=BB6_20708 Depth=3
	s_andn2_saveexec_b64 s[30:31], vcc
	s_cbranch_execz .LBB6_21835
; %bb.21834:                            ;   in Loop: Header=BB6_20708 Depth=3
	v_cmp_lt_i32_e32 vcc, -1, v2
	v_bfrev_b32_e32 v0, 0.5
	v_mov_b32_e32 v1, 0x7c
	v_cndmask_b32_e32 v0, v0, v1, vcc
	buffer_store_dword v0, off, s[0:3], s33 offset:300 ; 4-byte Folded Spill
.LBB6_21835:                            ;   in Loop: Header=BB6_20708 Depth=3
	s_or_b64 exec, exec, s[30:31]
.LBB6_21836:                            ;   in Loop: Header=BB6_20708 Depth=3
	s_or_b64 exec, exec, s[28:29]
	v_cmp_ne_u16_sdwa s[62:63], v10, v33 src0_sel:BYTE_0 src1_sel:DWORD
	v_mov_b32_e32 v0, 0
	s_and_saveexec_b64 s[28:29], s[62:63]
	s_cbranch_execz .LBB6_21844
; %bb.21837:                            ;   in Loop: Header=BB6_20708 Depth=3
	v_cmp_ne_u16_sdwa s[62:63], sext(v10), s46 src0_sel:BYTE_0 src1_sel:DWORD
	v_bfrev_b32_e32 v0, 1
	s_and_saveexec_b64 s[30:31], s[62:63]
	s_cbranch_execz .LBB6_21843
; %bb.21838:                            ;   in Loop: Header=BB6_20708 Depth=3
	v_and_b32_e32 v0, 0x7c, v10
	v_and_b32_e32 v1, 3, v10
	v_cmp_ne_u32_e32 vcc, s86, v0
                                        ; implicit-def: $vgpr0
	s_and_saveexec_b64 s[62:63], vcc
	s_xor_b64 s[34:35], exec, s[62:63]
	s_cbranch_execz .LBB6_21840
; %bb.21839:                            ;   in Loop: Header=BB6_20708 Depth=3
	v_ffbh_u32_e32 v2, v1
	v_min_u32_e32 v8, 32, v2
	v_subrev_u32_e32 v2, 29, v8
	v_lshlrev_b64 v[2:3], v2, v[10:11]
	v_bfe_u32 v0, v10, 2, 5
	v_and_b32_e32 v2, 3, v2
	v_cmp_eq_u32_e32 vcc, 0, v0
	v_sub_u32_e32 v3, 30, v8
	v_cndmask_b32_e32 v1, v1, v2, vcc
	v_lshlrev_b32_e32 v2, 24, v10
	v_cndmask_b32_e32 v0, v0, v3, vcc
	v_and_b32_e32 v2, 0x80000000, v2
	v_lshl_add_u32 v0, v0, 23, v2
	v_lshl_or_b32 v0, v1, 21, v0
	v_add_u32_e32 v0, 0x38000000, v0
                                        ; implicit-def: $vgpr1
.LBB6_21840:                            ;   in Loop: Header=BB6_20708 Depth=3
	s_andn2_saveexec_b64 s[34:35], s[34:35]
; %bb.21841:                            ;   in Loop: Header=BB6_20708 Depth=3
	v_mov_b32_e32 v0, -1
	v_cmp_gt_i16_sdwa vcc, sext(v10), v0 src0_sel:BYTE_0 src1_sel:DWORD
	v_mov_b32_e32 v0, 0xff800000
	v_mov_b32_e32 v2, 0x7f800000
	v_cndmask_b32_e32 v0, v0, v2, vcc
	v_cmp_eq_u32_e32 vcc, 0, v1
	v_mov_b32_e32 v1, 0x7f800001
	v_cndmask_b32_e32 v0, v1, v0, vcc
; %bb.21842:                            ;   in Loop: Header=BB6_20708 Depth=3
	s_or_b64 exec, exec, s[34:35]
.LBB6_21843:                            ;   in Loop: Header=BB6_20708 Depth=3
	s_or_b64 exec, exec, s[30:31]
.LBB6_21844:                            ;   in Loop: Header=BB6_20708 Depth=3
	s_or_b64 exec, exec, s[28:29]
	v_mul_f32_e32 v2, v12, v0
	v_and_b32_e32 v8, 0x7f800000, v2
	v_mov_b32_e32 v9, v33
	v_cmp_ne_u64_e32 vcc, s[76:77], v[8:9]
	v_and_b32_e32 v0, 0x7fffff, v2
	v_mov_b32_e32 v1, v33
                                        ; implicit-def: $vgpr53
	s_and_saveexec_b64 s[28:29], vcc
	s_xor_b64 s[30:31], exec, s[28:29]
	s_cbranch_execz .LBB6_21858
; %bb.21845:                            ;   in Loop: Header=BB6_20708 Depth=3
	v_and_b32_e32 v8, 0x7fffffff, v2
	v_mov_b32_e32 v9, v33
	v_cmp_gt_u64_e32 vcc, s[78:79], v[8:9]
	v_and_b32_sdwa v3, v2, s97 dst_sel:DWORD dst_unused:UNUSED_PAD src0_sel:BYTE_3 src1_sel:DWORD
                                        ; implicit-def: $vgpr53
	s_and_saveexec_b64 s[28:29], vcc
	s_xor_b64 s[34:35], exec, s[28:29]
	s_cbranch_execz .LBB6_21855
; %bb.21846:                            ;   in Loop: Header=BB6_20708 Depth=3
	v_mov_b32_e32 v53, 0
	v_cmp_ne_u32_e32 vcc, 0, v2
	s_and_saveexec_b64 s[36:37], vcc
	s_cbranch_execz .LBB6_21854
; %bb.21847:                            ;   in Loop: Header=BB6_20708 Depth=3
	v_bfe_u32 v8, v2, 23, 8
	v_cmp_gt_u32_e64 s[28:29], s47, v8
	v_sub_u32_e32 v2, 0x71, v8
	v_cmp_eq_u32_e32 vcc, 0, v8
	v_cndmask_b32_e64 v2, 0, v2, s[28:29]
	v_mov_b32_e32 v9, 0x70
	v_cndmask_b32_e32 v9, v2, v9, vcc
	v_or_b32_e32 v13, 0x800000, v0
	v_add_u32_e32 v2, 21, v9
	v_cndmask_b32_e32 v0, v13, v0, vcc
	v_lshlrev_b64 v[13:14], v2, -1
	v_add_u32_e32 v2, 20, v9
	v_bfi_b32 v13, v13, 0, v0
	v_lshlrev_b64 v[15:16], v2, 1
	v_lshrrev_b64 v[0:1], v9, v[0:1]
	v_bfi_b32 v14, v14, 0, 0
	v_cmp_eq_u64_e64 s[28:29], v[13:14], v[15:16]
	v_mov_b32_e32 v2, v1
	v_mov_b32_e32 v1, v0
	s_and_saveexec_b64 s[38:39], s[28:29]
; %bb.21848:                            ;   in Loop: Header=BB6_20708 Depth=3
	v_bfe_u32 v1, v0, 21, 1
	v_add_co_u32_e64 v1, s[28:29], v0, v1
	v_add_co_u32_e64 v1, s[28:29], -1, v1
; %bb.21849:                            ;   in Loop: Header=BB6_20708 Depth=3
	s_or_b64 exec, exec, s[38:39]
	v_add_u32_e32 v2, 0xffffff81, v8
	v_mov_b32_e32 v8, 0xffffff82
	v_cndmask_b32_e32 v2, v2, v8, vcc
	v_lshrrev_b32_e32 v8, 23, v0
	v_add3_u32 v9, v9, v2, v8
	v_add_u32_e32 v8, 14, v9
	v_and_b32_e32 v1, 0x1fffff, v1
	v_add_u32_e32 v0, v1, v0
	v_mov_b32_e32 v1, v33
	v_cmp_ne_u32_e32 vcc, 0, v8
                                        ; implicit-def: $vgpr2
	s_and_saveexec_b64 s[28:29], vcc
	s_xor_b64 s[28:29], exec, s[28:29]
; %bb.21850:                            ;   in Loop: Header=BB6_20708 Depth=3
	v_cmp_lt_u64_e32 vcc, s[88:89], v[0:1]
	v_add_u32_e32 v2, 15, v9
	v_cndmask_b32_e32 v2, v8, v2, vcc
	v_cndmask_b32_e64 v8, 0, 1, vcc
	v_lshrrev_b64 v[0:1], v8, v[0:1]
; %bb.21851:                            ;   in Loop: Header=BB6_20708 Depth=3
	s_andn2_saveexec_b64 s[28:29], s[28:29]
; %bb.21852:                            ;   in Loop: Header=BB6_20708 Depth=3
	v_bfe_u32 v2, v0, 23, 1
; %bb.21853:                            ;   in Loop: Header=BB6_20708 Depth=3
	s_or_b64 exec, exec, s[28:29]
	v_lshrrev_b64 v[0:1], 21, v[0:1]
	v_cmp_gt_i32_e32 vcc, 32, v2
	v_cndmask_b32_e32 v1, 0, v1, vcc
	v_cndmask_b32_e32 v0, 3, v0, vcc
	v_cmp_eq_u64_e64 s[28:29], 0, v[0:1]
	v_min_i32_e32 v1, 31, v2
	v_lshlrev_b32_e32 v1, 2, v1
	v_cmp_eq_u32_e32 vcc, 0, v2
	v_and_b32_e32 v1, 0xfc, v1
	v_and_or_b32 v0, v0, 3, v1
	s_and_b64 s[28:29], vcc, s[28:29]
	v_cndmask_b32_e64 v0, v0, 0, s[28:29]
	v_or_b32_e32 v53, v0, v3
.LBB6_21854:                            ;   in Loop: Header=BB6_20708 Depth=3
	s_or_b64 exec, exec, s[36:37]
                                        ; implicit-def: $vgpr3
.LBB6_21855:                            ;   in Loop: Header=BB6_20708 Depth=3
	s_andn2_saveexec_b64 s[28:29], s[34:35]
; %bb.21856:                            ;   in Loop: Header=BB6_20708 Depth=3
	v_or_b32_e32 v53, 0x7b, v3
; %bb.21857:                            ;   in Loop: Header=BB6_20708 Depth=3
	s_or_b64 exec, exec, s[28:29]
                                        ; implicit-def: $vgpr2
                                        ; implicit-def: $vgpr0_vgpr1
.LBB6_21858:                            ;   in Loop: Header=BB6_20708 Depth=3
	s_andn2_saveexec_b64 s[28:29], s[30:31]
	s_cbranch_execz .LBB6_21864
; %bb.21859:                            ;   in Loop: Header=BB6_20708 Depth=3
	v_cmp_ne_u64_e32 vcc, 0, v[0:1]
                                        ; implicit-def: $vgpr53
	s_and_saveexec_b64 s[62:63], vcc
	s_xor_b64 vcc, exec, s[62:63]
; %bb.21860:                            ;   in Loop: Header=BB6_20708 Depth=3
	v_or_b32_sdwa v53, v2, s44 dst_sel:DWORD dst_unused:UNUSED_PAD src0_sel:BYTE_3 src1_sel:DWORD
                                        ; implicit-def: $vgpr2
; %bb.21861:                            ;   in Loop: Header=BB6_20708 Depth=3
	s_andn2_saveexec_b64 s[30:31], vcc
; %bb.21862:                            ;   in Loop: Header=BB6_20708 Depth=3
	v_cmp_lt_i32_e32 vcc, -1, v2
	v_bfrev_b32_e32 v0, 0.5
	v_mov_b32_e32 v1, 0x7c
	v_cndmask_b32_e32 v53, v0, v1, vcc
; %bb.21863:                            ;   in Loop: Header=BB6_20708 Depth=3
	s_or_b64 exec, exec, s[30:31]
.LBB6_21864:                            ;   in Loop: Header=BB6_20708 Depth=3
	s_or_b64 exec, exec, s[28:29]
	v_lshrrev_b16_e32 v0, 8, v10
	v_cmp_ne_u16_e32 vcc, 0, v0
	v_mov_b32_e32 v1, 0
	s_and_saveexec_b64 s[28:29], vcc
	s_cbranch_execz .LBB6_21872
; %bb.21865:                            ;   in Loop: Header=BB6_20708 Depth=3
	v_cmp_ne_u16_e32 vcc, s97, v0
	v_bfrev_b32_e32 v1, 1
	s_and_saveexec_b64 s[30:31], vcc
	s_cbranch_execz .LBB6_21871
; %bb.21866:                            ;   in Loop: Header=BB6_20708 Depth=3
	v_and_b32_e32 v1, 0x7c, v0
	v_and_b32_e32 v2, 3, v0
	v_cmp_ne_u32_e32 vcc, s86, v1
                                        ; implicit-def: $vgpr1
	s_and_saveexec_b64 s[62:63], vcc
	s_xor_b64 s[34:35], exec, s[62:63]
	s_cbranch_execz .LBB6_21868
; %bb.21867:                            ;   in Loop: Header=BB6_20708 Depth=3
	v_ffbh_u32_e32 v8, v2
	v_min_u32_e32 v8, 32, v8
	v_mov_b32_e32 v1, v33
	v_subrev_u32_e32 v9, 29, v8
	v_bfe_u32 v3, v0, 2, 5
	v_lshlrev_b64 v[0:1], v9, v[0:1]
	v_cmp_eq_u32_e32 vcc, 0, v3
	v_and_b32_e32 v0, 3, v0
	v_sub_u32_e32 v1, 30, v8
	v_cndmask_b32_e32 v0, v2, v0, vcc
	v_lshlrev_b32_e32 v2, 16, v10
	v_cndmask_b32_e32 v1, v3, v1, vcc
	v_and_b32_e32 v2, 0x80000000, v2
	v_lshl_add_u32 v1, v1, 23, v2
	v_lshl_or_b32 v0, v0, 21, v1
	v_add_u32_e32 v1, 0x38000000, v0
                                        ; implicit-def: $vgpr2
.LBB6_21868:                            ;   in Loop: Header=BB6_20708 Depth=3
	s_andn2_saveexec_b64 s[34:35], s[34:35]
; %bb.21869:                            ;   in Loop: Header=BB6_20708 Depth=3
	v_cmp_lt_i16_e32 vcc, -1, v10
	v_mov_b32_e32 v0, 0xff800000
	v_mov_b32_e32 v1, 0x7f800000
	v_cndmask_b32_e32 v0, v0, v1, vcc
	v_cmp_eq_u32_e32 vcc, 0, v2
	v_mov_b32_e32 v1, 0x7f800001
	v_cndmask_b32_e32 v1, v1, v0, vcc
; %bb.21870:                            ;   in Loop: Header=BB6_20708 Depth=3
	s_or_b64 exec, exec, s[34:35]
.LBB6_21871:                            ;   in Loop: Header=BB6_20708 Depth=3
	s_or_b64 exec, exec, s[30:31]
.LBB6_21872:                            ;   in Loop: Header=BB6_20708 Depth=3
	s_or_b64 exec, exec, s[28:29]
	v_mul_f32_e32 v2, v12, v1
	v_and_b32_e32 v8, 0x7f800000, v2
	v_mov_b32_e32 v9, v33
	v_cmp_ne_u64_e32 vcc, s[76:77], v[8:9]
	v_and_b32_e32 v0, 0x7fffff, v2
	v_mov_b32_e32 v1, v33
                                        ; implicit-def: $vgpr3
                                        ; kill: killed $vgpr3
	s_and_saveexec_b64 s[28:29], vcc
	s_xor_b64 s[30:31], exec, s[28:29]
	s_cbranch_execz .LBB6_21886
; %bb.21873:                            ;   in Loop: Header=BB6_20708 Depth=3
	v_and_b32_e32 v8, 0x7fffffff, v2
	v_mov_b32_e32 v9, v33
	v_cmp_gt_u64_e32 vcc, s[78:79], v[8:9]
	v_and_b32_sdwa v3, v2, s97 dst_sel:DWORD dst_unused:UNUSED_PAD src0_sel:BYTE_3 src1_sel:DWORD
                                        ; implicit-def: $vgpr5
                                        ; kill: killed $vgpr5
	s_and_saveexec_b64 s[28:29], vcc
	s_xor_b64 s[34:35], exec, s[28:29]
	s_cbranch_execz .LBB6_21883
; %bb.21874:                            ;   in Loop: Header=BB6_20708 Depth=3
	v_mov_b32_e32 v5, 0
	v_cmp_ne_u32_e32 vcc, 0, v2
	buffer_store_dword v5, off, s[0:3], s33 offset:228 ; 4-byte Folded Spill
	s_and_saveexec_b64 s[36:37], vcc
	s_cbranch_execz .LBB6_21882
; %bb.21875:                            ;   in Loop: Header=BB6_20708 Depth=3
	v_bfe_u32 v8, v2, 23, 8
	v_cmp_gt_u32_e64 s[28:29], s47, v8
	v_sub_u32_e32 v2, 0x71, v8
	v_cmp_eq_u32_e32 vcc, 0, v8
	v_cndmask_b32_e64 v2, 0, v2, s[28:29]
	v_mov_b32_e32 v9, 0x70
	v_cndmask_b32_e32 v9, v2, v9, vcc
	v_or_b32_e32 v13, 0x800000, v0
	v_add_u32_e32 v2, 21, v9
	v_cndmask_b32_e32 v0, v13, v0, vcc
	v_lshlrev_b64 v[13:14], v2, -1
	v_add_u32_e32 v2, 20, v9
	v_bfi_b32 v13, v13, 0, v0
	v_lshlrev_b64 v[15:16], v2, 1
	v_lshrrev_b64 v[0:1], v9, v[0:1]
	v_bfi_b32 v14, v14, 0, 0
	v_cmp_eq_u64_e64 s[28:29], v[13:14], v[15:16]
	v_mov_b32_e32 v2, v1
	v_mov_b32_e32 v1, v0
	s_and_saveexec_b64 s[38:39], s[28:29]
; %bb.21876:                            ;   in Loop: Header=BB6_20708 Depth=3
	v_bfe_u32 v1, v0, 21, 1
	v_add_co_u32_e64 v1, s[28:29], v0, v1
	v_add_co_u32_e64 v1, s[28:29], -1, v1
; %bb.21877:                            ;   in Loop: Header=BB6_20708 Depth=3
	s_or_b64 exec, exec, s[38:39]
	v_add_u32_e32 v2, 0xffffff81, v8
	v_mov_b32_e32 v8, 0xffffff82
	v_cndmask_b32_e32 v2, v2, v8, vcc
	v_lshrrev_b32_e32 v8, 23, v0
	v_add3_u32 v9, v9, v2, v8
	v_add_u32_e32 v8, 14, v9
	v_and_b32_e32 v1, 0x1fffff, v1
	v_add_u32_e32 v0, v1, v0
	v_mov_b32_e32 v1, v33
	v_cmp_ne_u32_e32 vcc, 0, v8
                                        ; implicit-def: $vgpr2
	s_and_saveexec_b64 s[28:29], vcc
	s_xor_b64 s[28:29], exec, s[28:29]
; %bb.21878:                            ;   in Loop: Header=BB6_20708 Depth=3
	v_cmp_lt_u64_e32 vcc, s[88:89], v[0:1]
	v_add_u32_e32 v2, 15, v9
	v_cndmask_b32_e32 v2, v8, v2, vcc
	v_cndmask_b32_e64 v8, 0, 1, vcc
	v_lshrrev_b64 v[0:1], v8, v[0:1]
; %bb.21879:                            ;   in Loop: Header=BB6_20708 Depth=3
	s_andn2_saveexec_b64 s[28:29], s[28:29]
; %bb.21880:                            ;   in Loop: Header=BB6_20708 Depth=3
	v_bfe_u32 v2, v0, 23, 1
; %bb.21881:                            ;   in Loop: Header=BB6_20708 Depth=3
	s_or_b64 exec, exec, s[28:29]
	v_lshrrev_b64 v[0:1], 21, v[0:1]
	v_cmp_gt_i32_e32 vcc, 32, v2
	v_cndmask_b32_e32 v1, 0, v1, vcc
	v_cndmask_b32_e32 v0, 3, v0, vcc
	v_cmp_eq_u64_e64 s[28:29], 0, v[0:1]
	v_min_i32_e32 v1, 31, v2
	v_lshlrev_b32_e32 v1, 2, v1
	v_cmp_eq_u32_e32 vcc, 0, v2
	v_and_b32_e32 v1, 0xfc, v1
	v_and_or_b32 v0, v0, 3, v1
	s_and_b64 s[28:29], vcc, s[28:29]
	v_cndmask_b32_e64 v0, v0, 0, s[28:29]
	v_or_b32_e32 v0, v0, v3
	buffer_store_dword v0, off, s[0:3], s33 offset:228 ; 4-byte Folded Spill
.LBB6_21882:                            ;   in Loop: Header=BB6_20708 Depth=3
	s_or_b64 exec, exec, s[36:37]
                                        ; implicit-def: $vgpr3
.LBB6_21883:                            ;   in Loop: Header=BB6_20708 Depth=3
	s_andn2_saveexec_b64 s[28:29], s[34:35]
	s_cbranch_execz .LBB6_21885
; %bb.21884:                            ;   in Loop: Header=BB6_20708 Depth=3
	v_or_b32_e32 v0, 0x7b, v3
	buffer_store_dword v0, off, s[0:3], s33 offset:228 ; 4-byte Folded Spill
.LBB6_21885:                            ;   in Loop: Header=BB6_20708 Depth=3
	s_or_b64 exec, exec, s[28:29]
                                        ; implicit-def: $vgpr2
                                        ; implicit-def: $vgpr0_vgpr1
.LBB6_21886:                            ;   in Loop: Header=BB6_20708 Depth=3
	s_andn2_saveexec_b64 s[28:29], s[30:31]
	s_cbranch_execz .LBB6_21892
; %bb.21887:                            ;   in Loop: Header=BB6_20708 Depth=3
	v_cmp_ne_u64_e32 vcc, 0, v[0:1]
                                        ; implicit-def: $vgpr0
                                        ; kill: killed $vgpr0
	s_and_saveexec_b64 s[62:63], vcc
	s_xor_b64 vcc, exec, s[62:63]
	s_cbranch_execz .LBB6_21889
; %bb.21888:                            ;   in Loop: Header=BB6_20708 Depth=3
	v_or_b32_sdwa v0, v2, s44 dst_sel:DWORD dst_unused:UNUSED_PAD src0_sel:BYTE_3 src1_sel:DWORD
	buffer_store_dword v0, off, s[0:3], s33 offset:228 ; 4-byte Folded Spill
                                        ; implicit-def: $vgpr2
.LBB6_21889:                            ;   in Loop: Header=BB6_20708 Depth=3
	s_andn2_saveexec_b64 s[30:31], vcc
	s_cbranch_execz .LBB6_21891
; %bb.21890:                            ;   in Loop: Header=BB6_20708 Depth=3
	v_cmp_lt_i32_e32 vcc, -1, v2
	v_bfrev_b32_e32 v0, 0.5
	v_mov_b32_e32 v1, 0x7c
	v_cndmask_b32_e32 v0, v0, v1, vcc
	buffer_store_dword v0, off, s[0:3], s33 offset:228 ; 4-byte Folded Spill
.LBB6_21891:                            ;   in Loop: Header=BB6_20708 Depth=3
	s_or_b64 exec, exec, s[30:31]
.LBB6_21892:                            ;   in Loop: Header=BB6_20708 Depth=3
	s_or_b64 exec, exec, s[28:29]
	v_lshrrev_b32_e32 v0, 16, v10
	v_cmp_ne_u16_sdwa s[62:63], v0, v33 src0_sel:BYTE_0 src1_sel:DWORD
	v_mov_b32_e32 v1, 0
	s_and_saveexec_b64 s[28:29], s[62:63]
	s_cbranch_execz .LBB6_21900
; %bb.21893:                            ;   in Loop: Header=BB6_20708 Depth=3
	v_cmp_ne_u16_sdwa s[62:63], v0, s97 src0_sel:BYTE_0 src1_sel:DWORD
	v_bfrev_b32_e32 v1, 1
	s_and_saveexec_b64 s[30:31], s[62:63]
	s_cbranch_execz .LBB6_21899
; %bb.21894:                            ;   in Loop: Header=BB6_20708 Depth=3
	v_and_b32_e32 v1, 0x7c0000, v10
	v_bfe_u32 v2, v10, 16, 2
	v_cmp_ne_u32_e32 vcc, s45, v1
                                        ; implicit-def: $vgpr1
	s_and_saveexec_b64 s[62:63], vcc
	s_xor_b64 s[34:35], exec, s[62:63]
	s_cbranch_execz .LBB6_21896
; %bb.21895:                            ;   in Loop: Header=BB6_20708 Depth=3
	v_ffbh_u32_e32 v1, v2
	v_min_u32_e32 v8, 32, v1
	v_subrev_u32_e32 v1, 29, v8
	v_lshlrev_b64 v[0:1], v1, v[0:1]
	v_bfe_u32 v3, v10, 18, 5
	v_and_b32_e32 v0, 3, v0
	v_cmp_eq_u32_e32 vcc, 0, v3
	v_sub_u32_e32 v1, 30, v8
	v_cndmask_b32_e32 v0, v2, v0, vcc
	v_lshlrev_b32_e32 v2, 8, v10
	v_cndmask_b32_e32 v1, v3, v1, vcc
	v_and_b32_e32 v2, 0x80000000, v2
	v_lshl_add_u32 v1, v1, 23, v2
	v_lshl_or_b32 v0, v0, 21, v1
	v_add_u32_e32 v1, 0x38000000, v0
                                        ; implicit-def: $vgpr2
                                        ; implicit-def: $vgpr0
.LBB6_21896:                            ;   in Loop: Header=BB6_20708 Depth=3
	s_andn2_saveexec_b64 s[34:35], s[34:35]
; %bb.21897:                            ;   in Loop: Header=BB6_20708 Depth=3
	v_mov_b32_e32 v1, -1
	v_cmp_gt_i16_sdwa vcc, sext(v0), v1 src0_sel:BYTE_0 src1_sel:DWORD
	v_mov_b32_e32 v0, 0xff800000
	v_mov_b32_e32 v1, 0x7f800000
	v_cndmask_b32_e32 v0, v0, v1, vcc
	v_cmp_eq_u32_e32 vcc, 0, v2
	v_mov_b32_e32 v1, 0x7f800001
	v_cndmask_b32_e32 v1, v1, v0, vcc
; %bb.21898:                            ;   in Loop: Header=BB6_20708 Depth=3
	s_or_b64 exec, exec, s[34:35]
.LBB6_21899:                            ;   in Loop: Header=BB6_20708 Depth=3
	s_or_b64 exec, exec, s[30:31]
.LBB6_21900:                            ;   in Loop: Header=BB6_20708 Depth=3
	s_or_b64 exec, exec, s[28:29]
	v_mul_f32_e32 v2, v12, v1
	v_and_b32_e32 v8, 0x7f800000, v2
	v_mov_b32_e32 v9, v33
	v_cmp_ne_u64_e32 vcc, s[76:77], v[8:9]
	v_and_b32_e32 v0, 0x7fffff, v2
	v_mov_b32_e32 v1, v33
                                        ; implicit-def: $vgpr3
                                        ; kill: killed $vgpr3
	s_and_saveexec_b64 s[28:29], vcc
	s_xor_b64 s[30:31], exec, s[28:29]
	s_cbranch_execz .LBB6_21914
; %bb.21901:                            ;   in Loop: Header=BB6_20708 Depth=3
	v_and_b32_e32 v8, 0x7fffffff, v2
	v_mov_b32_e32 v9, v33
	v_cmp_gt_u64_e32 vcc, s[78:79], v[8:9]
	v_and_b32_sdwa v3, v2, s97 dst_sel:DWORD dst_unused:UNUSED_PAD src0_sel:BYTE_3 src1_sel:DWORD
                                        ; implicit-def: $vgpr5
                                        ; kill: killed $vgpr5
	s_and_saveexec_b64 s[28:29], vcc
	s_xor_b64 s[34:35], exec, s[28:29]
	s_cbranch_execz .LBB6_21911
; %bb.21902:                            ;   in Loop: Header=BB6_20708 Depth=3
	v_mov_b32_e32 v5, 0
	v_cmp_ne_u32_e32 vcc, 0, v2
	buffer_store_dword v5, off, s[0:3], s33 offset:244 ; 4-byte Folded Spill
	s_and_saveexec_b64 s[36:37], vcc
	s_cbranch_execz .LBB6_21910
; %bb.21903:                            ;   in Loop: Header=BB6_20708 Depth=3
	v_bfe_u32 v8, v2, 23, 8
	v_cmp_gt_u32_e64 s[28:29], s47, v8
	v_sub_u32_e32 v2, 0x71, v8
	v_cmp_eq_u32_e32 vcc, 0, v8
	v_cndmask_b32_e64 v2, 0, v2, s[28:29]
	v_mov_b32_e32 v9, 0x70
	v_cndmask_b32_e32 v9, v2, v9, vcc
	v_or_b32_e32 v13, 0x800000, v0
	v_add_u32_e32 v2, 21, v9
	v_cndmask_b32_e32 v0, v13, v0, vcc
	v_lshlrev_b64 v[13:14], v2, -1
	v_add_u32_e32 v2, 20, v9
	v_bfi_b32 v13, v13, 0, v0
	v_lshlrev_b64 v[15:16], v2, 1
	v_lshrrev_b64 v[0:1], v9, v[0:1]
	v_bfi_b32 v14, v14, 0, 0
	v_cmp_eq_u64_e64 s[28:29], v[13:14], v[15:16]
	v_mov_b32_e32 v2, v1
	v_mov_b32_e32 v1, v0
	s_and_saveexec_b64 s[38:39], s[28:29]
; %bb.21904:                            ;   in Loop: Header=BB6_20708 Depth=3
	v_bfe_u32 v1, v0, 21, 1
	v_add_co_u32_e64 v1, s[28:29], v0, v1
	v_add_co_u32_e64 v1, s[28:29], -1, v1
; %bb.21905:                            ;   in Loop: Header=BB6_20708 Depth=3
	s_or_b64 exec, exec, s[38:39]
	v_add_u32_e32 v2, 0xffffff81, v8
	v_mov_b32_e32 v8, 0xffffff82
	v_cndmask_b32_e32 v2, v2, v8, vcc
	v_lshrrev_b32_e32 v8, 23, v0
	v_add3_u32 v9, v9, v2, v8
	v_add_u32_e32 v8, 14, v9
	v_and_b32_e32 v1, 0x1fffff, v1
	v_add_u32_e32 v0, v1, v0
	v_mov_b32_e32 v1, v33
	v_cmp_ne_u32_e32 vcc, 0, v8
                                        ; implicit-def: $vgpr2
	s_and_saveexec_b64 s[28:29], vcc
	s_xor_b64 s[28:29], exec, s[28:29]
; %bb.21906:                            ;   in Loop: Header=BB6_20708 Depth=3
	v_cmp_lt_u64_e32 vcc, s[88:89], v[0:1]
	v_add_u32_e32 v2, 15, v9
	v_cndmask_b32_e32 v2, v8, v2, vcc
	v_cndmask_b32_e64 v8, 0, 1, vcc
	v_lshrrev_b64 v[0:1], v8, v[0:1]
; %bb.21907:                            ;   in Loop: Header=BB6_20708 Depth=3
	s_andn2_saveexec_b64 s[28:29], s[28:29]
; %bb.21908:                            ;   in Loop: Header=BB6_20708 Depth=3
	v_bfe_u32 v2, v0, 23, 1
; %bb.21909:                            ;   in Loop: Header=BB6_20708 Depth=3
	s_or_b64 exec, exec, s[28:29]
	v_lshrrev_b64 v[0:1], 21, v[0:1]
	v_cmp_gt_i32_e32 vcc, 32, v2
	v_cndmask_b32_e32 v1, 0, v1, vcc
	v_cndmask_b32_e32 v0, 3, v0, vcc
	v_cmp_eq_u64_e64 s[28:29], 0, v[0:1]
	v_min_i32_e32 v1, 31, v2
	v_lshlrev_b32_e32 v1, 2, v1
	v_cmp_eq_u32_e32 vcc, 0, v2
	v_and_b32_e32 v1, 0xfc, v1
	v_and_or_b32 v0, v0, 3, v1
	s_and_b64 s[28:29], vcc, s[28:29]
	v_cndmask_b32_e64 v0, v0, 0, s[28:29]
	v_or_b32_e32 v0, v0, v3
	buffer_store_dword v0, off, s[0:3], s33 offset:244 ; 4-byte Folded Spill
.LBB6_21910:                            ;   in Loop: Header=BB6_20708 Depth=3
	s_or_b64 exec, exec, s[36:37]
                                        ; implicit-def: $vgpr3
.LBB6_21911:                            ;   in Loop: Header=BB6_20708 Depth=3
	s_andn2_saveexec_b64 s[28:29], s[34:35]
	s_cbranch_execz .LBB6_21913
; %bb.21912:                            ;   in Loop: Header=BB6_20708 Depth=3
	v_or_b32_e32 v0, 0x7b, v3
	buffer_store_dword v0, off, s[0:3], s33 offset:244 ; 4-byte Folded Spill
.LBB6_21913:                            ;   in Loop: Header=BB6_20708 Depth=3
	s_or_b64 exec, exec, s[28:29]
                                        ; implicit-def: $vgpr2
                                        ; implicit-def: $vgpr0_vgpr1
.LBB6_21914:                            ;   in Loop: Header=BB6_20708 Depth=3
	s_andn2_saveexec_b64 s[28:29], s[30:31]
	s_cbranch_execz .LBB6_21920
; %bb.21915:                            ;   in Loop: Header=BB6_20708 Depth=3
	v_cmp_ne_u64_e32 vcc, 0, v[0:1]
                                        ; implicit-def: $vgpr0
                                        ; kill: killed $vgpr0
	s_and_saveexec_b64 s[62:63], vcc
	s_xor_b64 vcc, exec, s[62:63]
	s_cbranch_execz .LBB6_21917
; %bb.21916:                            ;   in Loop: Header=BB6_20708 Depth=3
	v_or_b32_sdwa v0, v2, s44 dst_sel:DWORD dst_unused:UNUSED_PAD src0_sel:BYTE_3 src1_sel:DWORD
	buffer_store_dword v0, off, s[0:3], s33 offset:244 ; 4-byte Folded Spill
                                        ; implicit-def: $vgpr2
.LBB6_21917:                            ;   in Loop: Header=BB6_20708 Depth=3
	s_andn2_saveexec_b64 s[30:31], vcc
	s_cbranch_execz .LBB6_21919
; %bb.21918:                            ;   in Loop: Header=BB6_20708 Depth=3
	v_cmp_lt_i32_e32 vcc, -1, v2
	v_bfrev_b32_e32 v0, 0.5
	v_mov_b32_e32 v1, 0x7c
	v_cndmask_b32_e32 v0, v0, v1, vcc
	buffer_store_dword v0, off, s[0:3], s33 offset:244 ; 4-byte Folded Spill
.LBB6_21919:                            ;   in Loop: Header=BB6_20708 Depth=3
	s_or_b64 exec, exec, s[30:31]
.LBB6_21920:                            ;   in Loop: Header=BB6_20708 Depth=3
	s_or_b64 exec, exec, s[28:29]
	v_cmp_lt_u32_e32 vcc, s57, v10
	v_mov_b32_e32 v1, 0
	s_and_saveexec_b64 s[28:29], vcc
	s_cbranch_execz .LBB6_21928
; %bb.21921:                            ;   in Loop: Header=BB6_20708 Depth=3
	v_lshrrev_b32_e32 v0, 24, v10
	v_cmp_ne_u32_e32 vcc, s97, v0
	v_bfrev_b32_e32 v1, 1
	s_and_saveexec_b64 s[30:31], vcc
	s_cbranch_execz .LBB6_21927
; %bb.21922:                            ;   in Loop: Header=BB6_20708 Depth=3
	v_and_b32_e32 v1, 0x7c000000, v10
	v_bfe_u32 v2, v10, 24, 2
	v_cmp_ne_u32_e32 vcc, s68, v1
                                        ; implicit-def: $vgpr1
	s_and_saveexec_b64 s[62:63], vcc
	s_xor_b64 s[34:35], exec, s[62:63]
	s_cbranch_execz .LBB6_21924
; %bb.21923:                            ;   in Loop: Header=BB6_20708 Depth=3
	v_ffbh_u32_e32 v1, v2
	v_min_u32_e32 v8, 32, v1
	v_subrev_u32_e32 v1, 29, v8
	v_lshlrev_b64 v[0:1], v1, v[0:1]
	v_bfe_u32 v3, v10, 26, 5
	v_sub_u32_e32 v1, 30, v8
	v_and_b32_e32 v0, 3, v0
	v_cmp_eq_u32_e32 vcc, 0, v3
	v_cndmask_b32_e32 v1, v3, v1, vcc
	v_cndmask_b32_e32 v0, v2, v0, vcc
	v_and_b32_e32 v2, 0x80000000, v10
	v_lshl_add_u32 v1, v1, 23, v2
	v_lshl_or_b32 v0, v0, 21, v1
	v_add_u32_e32 v1, 0x38000000, v0
                                        ; implicit-def: $vgpr2
.LBB6_21924:                            ;   in Loop: Header=BB6_20708 Depth=3
	s_andn2_saveexec_b64 s[34:35], s[34:35]
; %bb.21925:                            ;   in Loop: Header=BB6_20708 Depth=3
	v_cmp_lt_i32_e32 vcc, -1, v10
	v_mov_b32_e32 v0, 0xff800000
	v_mov_b32_e32 v1, 0x7f800000
	v_cndmask_b32_e32 v0, v0, v1, vcc
	v_cmp_eq_u32_e32 vcc, 0, v2
	v_mov_b32_e32 v1, 0x7f800001
	v_cndmask_b32_e32 v1, v1, v0, vcc
; %bb.21926:                            ;   in Loop: Header=BB6_20708 Depth=3
	s_or_b64 exec, exec, s[34:35]
.LBB6_21927:                            ;   in Loop: Header=BB6_20708 Depth=3
	s_or_b64 exec, exec, s[30:31]
.LBB6_21928:                            ;   in Loop: Header=BB6_20708 Depth=3
	s_or_b64 exec, exec, s[28:29]
	v_mul_f32_e32 v2, v12, v1
	v_and_b32_e32 v8, 0x7f800000, v2
	v_mov_b32_e32 v9, v33
	v_cmp_ne_u64_e32 vcc, s[76:77], v[8:9]
	v_and_b32_e32 v0, 0x7fffff, v2
	v_mov_b32_e32 v1, v33
                                        ; implicit-def: $vgpr3
                                        ; kill: killed $vgpr3
	s_and_saveexec_b64 s[28:29], vcc
	s_xor_b64 s[30:31], exec, s[28:29]
	s_cbranch_execz .LBB6_21942
; %bb.21929:                            ;   in Loop: Header=BB6_20708 Depth=3
	v_and_b32_e32 v8, 0x7fffffff, v2
	v_mov_b32_e32 v9, v33
	v_cmp_gt_u64_e32 vcc, s[78:79], v[8:9]
	v_and_b32_sdwa v3, v2, s97 dst_sel:DWORD dst_unused:UNUSED_PAD src0_sel:BYTE_3 src1_sel:DWORD
                                        ; implicit-def: $vgpr5
                                        ; kill: killed $vgpr5
	s_and_saveexec_b64 s[28:29], vcc
	s_xor_b64 s[34:35], exec, s[28:29]
	s_cbranch_execz .LBB6_21939
; %bb.21930:                            ;   in Loop: Header=BB6_20708 Depth=3
	v_mov_b32_e32 v5, 0
	v_cmp_ne_u32_e32 vcc, 0, v2
	buffer_store_dword v5, off, s[0:3], s33 offset:268 ; 4-byte Folded Spill
	s_and_saveexec_b64 s[36:37], vcc
	s_cbranch_execz .LBB6_21938
; %bb.21931:                            ;   in Loop: Header=BB6_20708 Depth=3
	v_bfe_u32 v8, v2, 23, 8
	v_cmp_gt_u32_e64 s[28:29], s47, v8
	v_sub_u32_e32 v2, 0x71, v8
	v_cmp_eq_u32_e32 vcc, 0, v8
	v_cndmask_b32_e64 v2, 0, v2, s[28:29]
	v_mov_b32_e32 v9, 0x70
	v_cndmask_b32_e32 v9, v2, v9, vcc
	v_or_b32_e32 v13, 0x800000, v0
	v_add_u32_e32 v2, 21, v9
	v_cndmask_b32_e32 v0, v13, v0, vcc
	v_lshlrev_b64 v[13:14], v2, -1
	v_add_u32_e32 v2, 20, v9
	v_bfi_b32 v13, v13, 0, v0
	v_lshlrev_b64 v[15:16], v2, 1
	v_lshrrev_b64 v[0:1], v9, v[0:1]
	v_bfi_b32 v14, v14, 0, 0
	v_cmp_eq_u64_e64 s[28:29], v[13:14], v[15:16]
	v_mov_b32_e32 v2, v1
	v_mov_b32_e32 v1, v0
	s_and_saveexec_b64 s[38:39], s[28:29]
; %bb.21932:                            ;   in Loop: Header=BB6_20708 Depth=3
	v_bfe_u32 v1, v0, 21, 1
	v_add_co_u32_e64 v1, s[28:29], v0, v1
	v_add_co_u32_e64 v1, s[28:29], -1, v1
; %bb.21933:                            ;   in Loop: Header=BB6_20708 Depth=3
	s_or_b64 exec, exec, s[38:39]
	v_add_u32_e32 v2, 0xffffff81, v8
	v_mov_b32_e32 v8, 0xffffff82
	v_cndmask_b32_e32 v2, v2, v8, vcc
	v_lshrrev_b32_e32 v8, 23, v0
	v_add3_u32 v9, v9, v2, v8
	v_add_u32_e32 v8, 14, v9
	v_and_b32_e32 v1, 0x1fffff, v1
	v_add_u32_e32 v0, v1, v0
	v_mov_b32_e32 v1, v33
	v_cmp_ne_u32_e32 vcc, 0, v8
                                        ; implicit-def: $vgpr2
	s_and_saveexec_b64 s[28:29], vcc
	s_xor_b64 s[28:29], exec, s[28:29]
; %bb.21934:                            ;   in Loop: Header=BB6_20708 Depth=3
	v_cmp_lt_u64_e32 vcc, s[88:89], v[0:1]
	v_add_u32_e32 v2, 15, v9
	v_cndmask_b32_e32 v2, v8, v2, vcc
	v_cndmask_b32_e64 v8, 0, 1, vcc
	v_lshrrev_b64 v[0:1], v8, v[0:1]
; %bb.21935:                            ;   in Loop: Header=BB6_20708 Depth=3
	s_andn2_saveexec_b64 s[28:29], s[28:29]
; %bb.21936:                            ;   in Loop: Header=BB6_20708 Depth=3
	v_bfe_u32 v2, v0, 23, 1
; %bb.21937:                            ;   in Loop: Header=BB6_20708 Depth=3
	s_or_b64 exec, exec, s[28:29]
	v_lshrrev_b64 v[0:1], 21, v[0:1]
	v_cmp_gt_i32_e32 vcc, 32, v2
	v_cndmask_b32_e32 v1, 0, v1, vcc
	v_cndmask_b32_e32 v0, 3, v0, vcc
	v_cmp_eq_u64_e64 s[28:29], 0, v[0:1]
	v_min_i32_e32 v1, 31, v2
	v_lshlrev_b32_e32 v1, 2, v1
	v_cmp_eq_u32_e32 vcc, 0, v2
	v_and_b32_e32 v1, 0xfc, v1
	v_and_or_b32 v0, v0, 3, v1
	s_and_b64 s[28:29], vcc, s[28:29]
	v_cndmask_b32_e64 v0, v0, 0, s[28:29]
	v_or_b32_e32 v0, v0, v3
	buffer_store_dword v0, off, s[0:3], s33 offset:268 ; 4-byte Folded Spill
.LBB6_21938:                            ;   in Loop: Header=BB6_20708 Depth=3
	s_or_b64 exec, exec, s[36:37]
                                        ; implicit-def: $vgpr3
.LBB6_21939:                            ;   in Loop: Header=BB6_20708 Depth=3
	s_andn2_saveexec_b64 s[28:29], s[34:35]
	s_cbranch_execz .LBB6_21941
; %bb.21940:                            ;   in Loop: Header=BB6_20708 Depth=3
	v_or_b32_e32 v0, 0x7b, v3
	buffer_store_dword v0, off, s[0:3], s33 offset:268 ; 4-byte Folded Spill
.LBB6_21941:                            ;   in Loop: Header=BB6_20708 Depth=3
	s_or_b64 exec, exec, s[28:29]
                                        ; implicit-def: $vgpr2
                                        ; implicit-def: $vgpr0_vgpr1
.LBB6_21942:                            ;   in Loop: Header=BB6_20708 Depth=3
	s_andn2_saveexec_b64 s[28:29], s[30:31]
	s_cbranch_execz .LBB6_21948
; %bb.21943:                            ;   in Loop: Header=BB6_20708 Depth=3
	v_cmp_ne_u64_e32 vcc, 0, v[0:1]
                                        ; implicit-def: $vgpr0
                                        ; kill: killed $vgpr0
	s_and_saveexec_b64 s[62:63], vcc
	s_xor_b64 vcc, exec, s[62:63]
	s_cbranch_execz .LBB6_21945
; %bb.21944:                            ;   in Loop: Header=BB6_20708 Depth=3
	v_or_b32_sdwa v0, v2, s44 dst_sel:DWORD dst_unused:UNUSED_PAD src0_sel:BYTE_3 src1_sel:DWORD
	buffer_store_dword v0, off, s[0:3], s33 offset:268 ; 4-byte Folded Spill
                                        ; implicit-def: $vgpr2
.LBB6_21945:                            ;   in Loop: Header=BB6_20708 Depth=3
	s_andn2_saveexec_b64 s[30:31], vcc
	s_cbranch_execz .LBB6_21947
; %bb.21946:                            ;   in Loop: Header=BB6_20708 Depth=3
	v_cmp_lt_i32_e32 vcc, -1, v2
	v_bfrev_b32_e32 v0, 0.5
	v_mov_b32_e32 v1, 0x7c
	v_cndmask_b32_e32 v0, v0, v1, vcc
	buffer_store_dword v0, off, s[0:3], s33 offset:268 ; 4-byte Folded Spill
.LBB6_21947:                            ;   in Loop: Header=BB6_20708 Depth=3
	s_or_b64 exec, exec, s[30:31]
.LBB6_21948:                            ;   in Loop: Header=BB6_20708 Depth=3
	s_or_b64 exec, exec, s[28:29]
	v_mov_b32_e32 v0, v11
	v_mov_b32_e32 v1, v33
	v_cmp_ne_u16_sdwa s[62:63], v11, v33 src0_sel:BYTE_0 src1_sel:DWORD
	v_mov_b32_e32 v2, 0
	s_and_saveexec_b64 s[28:29], s[62:63]
	s_cbranch_execz .LBB6_21956
; %bb.21949:                            ;   in Loop: Header=BB6_20708 Depth=3
	v_cmp_ne_u16_sdwa s[62:63], v11, s97 src0_sel:BYTE_0 src1_sel:DWORD
	v_bfrev_b32_e32 v2, 1
	s_and_saveexec_b64 s[30:31], s[62:63]
	s_cbranch_execz .LBB6_21955
; %bb.21950:                            ;   in Loop: Header=BB6_20708 Depth=3
	v_and_b32_e32 v2, 0x7c, v11
	v_and_b32_e32 v3, 3, v11
	v_cmp_ne_u32_e32 vcc, s86, v2
                                        ; implicit-def: $vgpr2
	s_and_saveexec_b64 s[62:63], vcc
	s_xor_b64 s[34:35], exec, s[62:63]
	s_cbranch_execz .LBB6_21952
; %bb.21951:                            ;   in Loop: Header=BB6_20708 Depth=3
	v_ffbh_u32_e32 v2, v3
	v_min_u32_e32 v9, 32, v2
	v_subrev_u32_e32 v2, 29, v9
	v_lshlrev_b64 v[1:2], v2, v[0:1]
	v_bfe_u32 v8, v11, 2, 5
	v_and_b32_e32 v1, 3, v1
	v_cmp_eq_u32_e32 vcc, 0, v8
	v_sub_u32_e32 v2, 30, v9
	v_cndmask_b32_e32 v1, v3, v1, vcc
	v_lshlrev_b32_e32 v3, 24, v11
	v_cndmask_b32_e32 v2, v8, v2, vcc
	v_and_b32_e32 v3, 0x80000000, v3
	v_lshl_add_u32 v2, v2, 23, v3
	v_lshl_or_b32 v1, v1, 21, v2
	v_add_u32_e32 v2, 0x38000000, v1
                                        ; implicit-def: $vgpr3
.LBB6_21952:                            ;   in Loop: Header=BB6_20708 Depth=3
	s_andn2_saveexec_b64 s[34:35], s[34:35]
; %bb.21953:                            ;   in Loop: Header=BB6_20708 Depth=3
	v_mov_b32_e32 v1, -1
	v_cmp_gt_i16_sdwa vcc, sext(v11), v1 src0_sel:BYTE_0 src1_sel:DWORD
	v_mov_b32_e32 v1, 0xff800000
	v_mov_b32_e32 v2, 0x7f800000
	v_cndmask_b32_e32 v1, v1, v2, vcc
	v_cmp_eq_u32_e32 vcc, 0, v3
	v_mov_b32_e32 v2, 0x7f800001
	v_cndmask_b32_e32 v2, v2, v1, vcc
; %bb.21954:                            ;   in Loop: Header=BB6_20708 Depth=3
	s_or_b64 exec, exec, s[34:35]
.LBB6_21955:                            ;   in Loop: Header=BB6_20708 Depth=3
	s_or_b64 exec, exec, s[30:31]
.LBB6_21956:                            ;   in Loop: Header=BB6_20708 Depth=3
	s_or_b64 exec, exec, s[28:29]
	v_mul_f32_e32 v3, v12, v2
	v_and_b32_e32 v8, 0x7f800000, v3
	v_mov_b32_e32 v9, v33
	v_cmp_ne_u64_e32 vcc, s[76:77], v[8:9]
	v_and_b32_e32 v1, 0x7fffff, v3
	v_mov_b32_e32 v2, v33
                                        ; implicit-def: $vgpr48
	s_and_saveexec_b64 s[28:29], vcc
	s_xor_b64 s[30:31], exec, s[28:29]
	s_cbranch_execz .LBB6_21970
; %bb.21957:                            ;   in Loop: Header=BB6_20708 Depth=3
	v_and_b32_e32 v8, 0x7fffffff, v3
	v_mov_b32_e32 v9, v33
	v_cmp_gt_u64_e32 vcc, s[78:79], v[8:9]
	v_and_b32_sdwa v8, v3, s97 dst_sel:DWORD dst_unused:UNUSED_PAD src0_sel:BYTE_3 src1_sel:DWORD
                                        ; implicit-def: $vgpr48
	s_and_saveexec_b64 s[28:29], vcc
	s_xor_b64 s[34:35], exec, s[28:29]
	s_cbranch_execz .LBB6_21967
; %bb.21958:                            ;   in Loop: Header=BB6_20708 Depth=3
	v_mov_b32_e32 v48, 0
	v_cmp_ne_u32_e32 vcc, 0, v3
	s_and_saveexec_b64 s[36:37], vcc
	s_cbranch_execz .LBB6_21966
; %bb.21959:                            ;   in Loop: Header=BB6_20708 Depth=3
	v_bfe_u32 v9, v3, 23, 8
	v_cmp_gt_u32_e64 s[28:29], s47, v9
	v_sub_u32_e32 v3, 0x71, v9
	v_cmp_eq_u32_e32 vcc, 0, v9
	v_cndmask_b32_e64 v3, 0, v3, s[28:29]
	v_mov_b32_e32 v13, 0x70
	v_cndmask_b32_e32 v13, v3, v13, vcc
	v_or_b32_e32 v14, 0x800000, v1
	v_add_u32_e32 v3, 21, v13
	v_cndmask_b32_e32 v1, v14, v1, vcc
	v_lshlrev_b64 v[14:15], v3, -1
	v_add_u32_e32 v3, 20, v13
	v_bfi_b32 v14, v14, 0, v1
	v_lshlrev_b64 v[16:17], v3, 1
	v_lshrrev_b64 v[1:2], v13, v[1:2]
	v_bfi_b32 v15, v15, 0, 0
	v_cmp_eq_u64_e64 s[28:29], v[14:15], v[16:17]
	v_mov_b32_e32 v3, v2
	v_mov_b32_e32 v2, v1
	s_and_saveexec_b64 s[38:39], s[28:29]
; %bb.21960:                            ;   in Loop: Header=BB6_20708 Depth=3
	v_bfe_u32 v2, v1, 21, 1
	v_add_co_u32_e64 v2, s[28:29], v1, v2
	v_add_co_u32_e64 v2, s[28:29], -1, v2
; %bb.21961:                            ;   in Loop: Header=BB6_20708 Depth=3
	s_or_b64 exec, exec, s[38:39]
	v_add_u32_e32 v3, 0xffffff81, v9
	v_mov_b32_e32 v9, 0xffffff82
	v_cndmask_b32_e32 v3, v3, v9, vcc
	v_lshrrev_b32_e32 v9, 23, v1
	v_add3_u32 v13, v13, v3, v9
	v_add_u32_e32 v9, 14, v13
	v_and_b32_e32 v2, 0x1fffff, v2
	v_add_u32_e32 v1, v2, v1
	v_mov_b32_e32 v2, v33
	v_cmp_ne_u32_e32 vcc, 0, v9
                                        ; implicit-def: $vgpr3
	s_and_saveexec_b64 s[28:29], vcc
	s_xor_b64 s[28:29], exec, s[28:29]
; %bb.21962:                            ;   in Loop: Header=BB6_20708 Depth=3
	v_cmp_lt_u64_e32 vcc, s[88:89], v[1:2]
	v_add_u32_e32 v3, 15, v13
	v_cndmask_b32_e32 v3, v9, v3, vcc
	v_cndmask_b32_e64 v9, 0, 1, vcc
	v_lshrrev_b64 v[1:2], v9, v[1:2]
; %bb.21963:                            ;   in Loop: Header=BB6_20708 Depth=3
	s_andn2_saveexec_b64 s[28:29], s[28:29]
; %bb.21964:                            ;   in Loop: Header=BB6_20708 Depth=3
	v_bfe_u32 v3, v1, 23, 1
; %bb.21965:                            ;   in Loop: Header=BB6_20708 Depth=3
	s_or_b64 exec, exec, s[28:29]
	v_lshrrev_b64 v[1:2], 21, v[1:2]
	v_cmp_gt_i32_e32 vcc, 32, v3
	v_cndmask_b32_e32 v2, 0, v2, vcc
	v_cndmask_b32_e32 v1, 3, v1, vcc
	v_cmp_eq_u64_e64 s[28:29], 0, v[1:2]
	v_min_i32_e32 v2, 31, v3
	v_lshlrev_b32_e32 v2, 2, v2
	v_cmp_eq_u32_e32 vcc, 0, v3
	v_and_b32_e32 v2, 0xfc, v2
	v_and_or_b32 v1, v1, 3, v2
	s_and_b64 s[28:29], vcc, s[28:29]
	v_cndmask_b32_e64 v1, v1, 0, s[28:29]
	v_or_b32_e32 v48, v1, v8
.LBB6_21966:                            ;   in Loop: Header=BB6_20708 Depth=3
	s_or_b64 exec, exec, s[36:37]
                                        ; implicit-def: $vgpr8
.LBB6_21967:                            ;   in Loop: Header=BB6_20708 Depth=3
	s_andn2_saveexec_b64 s[28:29], s[34:35]
; %bb.21968:                            ;   in Loop: Header=BB6_20708 Depth=3
	v_or_b32_e32 v48, 0x7b, v8
; %bb.21969:                            ;   in Loop: Header=BB6_20708 Depth=3
	s_or_b64 exec, exec, s[28:29]
                                        ; implicit-def: $vgpr3
                                        ; implicit-def: $vgpr1_vgpr2
.LBB6_21970:                            ;   in Loop: Header=BB6_20708 Depth=3
	s_andn2_saveexec_b64 s[28:29], s[30:31]
	s_cbranch_execz .LBB6_21976
; %bb.21971:                            ;   in Loop: Header=BB6_20708 Depth=3
	v_cmp_ne_u64_e32 vcc, 0, v[1:2]
                                        ; implicit-def: $vgpr48
	s_and_saveexec_b64 s[62:63], vcc
	s_xor_b64 vcc, exec, s[62:63]
; %bb.21972:                            ;   in Loop: Header=BB6_20708 Depth=3
	v_or_b32_sdwa v48, v3, s44 dst_sel:DWORD dst_unused:UNUSED_PAD src0_sel:BYTE_3 src1_sel:DWORD
                                        ; implicit-def: $vgpr3
; %bb.21973:                            ;   in Loop: Header=BB6_20708 Depth=3
	s_andn2_saveexec_b64 s[30:31], vcc
; %bb.21974:                            ;   in Loop: Header=BB6_20708 Depth=3
	v_cmp_lt_i32_e32 vcc, -1, v3
	v_bfrev_b32_e32 v1, 0.5
	v_mov_b32_e32 v2, 0x7c
	v_cndmask_b32_e32 v48, v1, v2, vcc
; %bb.21975:                            ;   in Loop: Header=BB6_20708 Depth=3
	s_or_b64 exec, exec, s[30:31]
.LBB6_21976:                            ;   in Loop: Header=BB6_20708 Depth=3
	s_or_b64 exec, exec, s[28:29]
	v_lshrrev_b16_e32 v1, 8, v0
	v_cmp_ne_u16_e32 vcc, 0, v1
	v_mov_b32_e32 v2, 0
	s_and_saveexec_b64 s[28:29], vcc
	s_cbranch_execz .LBB6_21984
; %bb.21977:                            ;   in Loop: Header=BB6_20708 Depth=3
	v_cmp_ne_u16_e32 vcc, s97, v1
	v_bfrev_b32_e32 v2, 1
	s_and_saveexec_b64 s[30:31], vcc
	s_cbranch_execz .LBB6_21983
; %bb.21978:                            ;   in Loop: Header=BB6_20708 Depth=3
	v_and_b32_e32 v2, 0x7c, v1
	v_and_b32_e32 v3, 3, v1
	v_cmp_ne_u32_e32 vcc, s86, v2
                                        ; implicit-def: $vgpr2
	s_and_saveexec_b64 s[62:63], vcc
	s_xor_b64 s[34:35], exec, s[62:63]
	s_cbranch_execz .LBB6_21980
; %bb.21979:                            ;   in Loop: Header=BB6_20708 Depth=3
	v_ffbh_u32_e32 v9, v3
	v_min_u32_e32 v9, 32, v9
	v_mov_b32_e32 v2, v33
	v_subrev_u32_e32 v13, 29, v9
	v_bfe_u32 v8, v1, 2, 5
	v_lshlrev_b64 v[1:2], v13, v[1:2]
	v_sub_u32_e32 v2, 30, v9
	v_cmp_eq_u32_e32 vcc, 0, v8
	v_lshlrev_b32_e32 v0, 16, v0
	v_and_b32_e32 v1, 3, v1
	v_cndmask_b32_e32 v2, v8, v2, vcc
	v_and_b32_e32 v0, 0x80000000, v0
	v_cndmask_b32_e32 v1, v3, v1, vcc
	v_lshl_add_u32 v0, v2, 23, v0
	v_lshl_or_b32 v0, v1, 21, v0
	v_add_u32_e32 v2, 0x38000000, v0
                                        ; implicit-def: $vgpr3
                                        ; implicit-def: $vgpr0_vgpr1
.LBB6_21980:                            ;   in Loop: Header=BB6_20708 Depth=3
	s_andn2_saveexec_b64 s[34:35], s[34:35]
; %bb.21981:                            ;   in Loop: Header=BB6_20708 Depth=3
	v_cmp_lt_i16_e32 vcc, -1, v0
	v_mov_b32_e32 v0, 0xff800000
	v_mov_b32_e32 v1, 0x7f800000
	v_cndmask_b32_e32 v0, v0, v1, vcc
	v_cmp_eq_u32_e32 vcc, 0, v3
	v_mov_b32_e32 v1, 0x7f800001
	v_cndmask_b32_e32 v2, v1, v0, vcc
; %bb.21982:                            ;   in Loop: Header=BB6_20708 Depth=3
	s_or_b64 exec, exec, s[34:35]
.LBB6_21983:                            ;   in Loop: Header=BB6_20708 Depth=3
	s_or_b64 exec, exec, s[30:31]
.LBB6_21984:                            ;   in Loop: Header=BB6_20708 Depth=3
	s_or_b64 exec, exec, s[28:29]
	v_mul_f32_e32 v2, v12, v2
	v_and_b32_e32 v8, 0x7f800000, v2
	v_mov_b32_e32 v9, v33
	v_cmp_ne_u64_e32 vcc, s[76:77], v[8:9]
	v_and_b32_e32 v0, 0x7fffff, v2
	v_mov_b32_e32 v1, v33
                                        ; implicit-def: $vgpr57
	s_and_saveexec_b64 s[28:29], vcc
	s_xor_b64 s[30:31], exec, s[28:29]
	s_cbranch_execz .LBB6_21998
; %bb.21985:                            ;   in Loop: Header=BB6_20708 Depth=3
	v_and_b32_e32 v8, 0x7fffffff, v2
	v_mov_b32_e32 v9, v33
	v_cmp_gt_u64_e32 vcc, s[78:79], v[8:9]
	v_and_b32_sdwa v3, v2, s97 dst_sel:DWORD dst_unused:UNUSED_PAD src0_sel:BYTE_3 src1_sel:DWORD
                                        ; implicit-def: $vgpr57
	s_and_saveexec_b64 s[28:29], vcc
	s_xor_b64 s[34:35], exec, s[28:29]
	s_cbranch_execz .LBB6_21995
; %bb.21986:                            ;   in Loop: Header=BB6_20708 Depth=3
	v_mov_b32_e32 v57, 0
	v_cmp_ne_u32_e32 vcc, 0, v2
	s_and_saveexec_b64 s[36:37], vcc
	s_cbranch_execz .LBB6_21994
; %bb.21987:                            ;   in Loop: Header=BB6_20708 Depth=3
	v_bfe_u32 v8, v2, 23, 8
	v_cmp_gt_u32_e64 s[28:29], s47, v8
	v_sub_u32_e32 v2, 0x71, v8
	v_cmp_eq_u32_e32 vcc, 0, v8
	v_cndmask_b32_e64 v2, 0, v2, s[28:29]
	v_mov_b32_e32 v9, 0x70
	v_cndmask_b32_e32 v9, v2, v9, vcc
	v_or_b32_e32 v13, 0x800000, v0
	v_add_u32_e32 v2, 21, v9
	v_cndmask_b32_e32 v0, v13, v0, vcc
	v_lshlrev_b64 v[13:14], v2, -1
	v_add_u32_e32 v2, 20, v9
	v_bfi_b32 v13, v13, 0, v0
	v_lshlrev_b64 v[15:16], v2, 1
	v_lshrrev_b64 v[0:1], v9, v[0:1]
	v_bfi_b32 v14, v14, 0, 0
	v_cmp_eq_u64_e64 s[28:29], v[13:14], v[15:16]
	v_mov_b32_e32 v2, v1
	v_mov_b32_e32 v1, v0
	s_and_saveexec_b64 s[38:39], s[28:29]
; %bb.21988:                            ;   in Loop: Header=BB6_20708 Depth=3
	v_bfe_u32 v1, v0, 21, 1
	v_add_co_u32_e64 v1, s[28:29], v0, v1
	v_add_co_u32_e64 v1, s[28:29], -1, v1
; %bb.21989:                            ;   in Loop: Header=BB6_20708 Depth=3
	s_or_b64 exec, exec, s[38:39]
	v_add_u32_e32 v2, 0xffffff81, v8
	v_mov_b32_e32 v8, 0xffffff82
	v_cndmask_b32_e32 v2, v2, v8, vcc
	v_lshrrev_b32_e32 v8, 23, v0
	v_add3_u32 v9, v9, v2, v8
	v_add_u32_e32 v8, 14, v9
	v_and_b32_e32 v1, 0x1fffff, v1
	v_add_u32_e32 v0, v1, v0
	v_mov_b32_e32 v1, v33
	v_cmp_ne_u32_e32 vcc, 0, v8
                                        ; implicit-def: $vgpr2
	s_and_saveexec_b64 s[28:29], vcc
	s_xor_b64 s[28:29], exec, s[28:29]
; %bb.21990:                            ;   in Loop: Header=BB6_20708 Depth=3
	v_cmp_lt_u64_e32 vcc, s[88:89], v[0:1]
	v_add_u32_e32 v2, 15, v9
	v_cndmask_b32_e32 v2, v8, v2, vcc
	v_cndmask_b32_e64 v8, 0, 1, vcc
	v_lshrrev_b64 v[0:1], v8, v[0:1]
; %bb.21991:                            ;   in Loop: Header=BB6_20708 Depth=3
	s_andn2_saveexec_b64 s[28:29], s[28:29]
; %bb.21992:                            ;   in Loop: Header=BB6_20708 Depth=3
	v_bfe_u32 v2, v0, 23, 1
; %bb.21993:                            ;   in Loop: Header=BB6_20708 Depth=3
	s_or_b64 exec, exec, s[28:29]
	v_lshrrev_b64 v[0:1], 21, v[0:1]
	v_cmp_gt_i32_e32 vcc, 32, v2
	v_cndmask_b32_e32 v1, 0, v1, vcc
	v_cndmask_b32_e32 v0, 3, v0, vcc
	v_cmp_eq_u64_e64 s[28:29], 0, v[0:1]
	v_min_i32_e32 v1, 31, v2
	v_lshlrev_b32_e32 v1, 2, v1
	v_cmp_eq_u32_e32 vcc, 0, v2
	v_and_b32_e32 v1, 0xfc, v1
	v_and_or_b32 v0, v0, 3, v1
	s_and_b64 s[28:29], vcc, s[28:29]
	v_cndmask_b32_e64 v0, v0, 0, s[28:29]
	v_or_b32_e32 v57, v0, v3
.LBB6_21994:                            ;   in Loop: Header=BB6_20708 Depth=3
	s_or_b64 exec, exec, s[36:37]
                                        ; implicit-def: $vgpr3
.LBB6_21995:                            ;   in Loop: Header=BB6_20708 Depth=3
	s_andn2_saveexec_b64 s[28:29], s[34:35]
; %bb.21996:                            ;   in Loop: Header=BB6_20708 Depth=3
	v_or_b32_e32 v57, 0x7b, v3
; %bb.21997:                            ;   in Loop: Header=BB6_20708 Depth=3
	s_or_b64 exec, exec, s[28:29]
                                        ; implicit-def: $vgpr2
                                        ; implicit-def: $vgpr0_vgpr1
.LBB6_21998:                            ;   in Loop: Header=BB6_20708 Depth=3
	s_andn2_saveexec_b64 s[28:29], s[30:31]
	s_cbranch_execz .LBB6_22004
; %bb.21999:                            ;   in Loop: Header=BB6_20708 Depth=3
	v_cmp_ne_u64_e32 vcc, 0, v[0:1]
                                        ; implicit-def: $vgpr57
	s_and_saveexec_b64 s[62:63], vcc
	s_xor_b64 vcc, exec, s[62:63]
; %bb.22000:                            ;   in Loop: Header=BB6_20708 Depth=3
	v_or_b32_sdwa v57, v2, s44 dst_sel:DWORD dst_unused:UNUSED_PAD src0_sel:BYTE_3 src1_sel:DWORD
                                        ; implicit-def: $vgpr2
; %bb.22001:                            ;   in Loop: Header=BB6_20708 Depth=3
	s_andn2_saveexec_b64 s[30:31], vcc
; %bb.22002:                            ;   in Loop: Header=BB6_20708 Depth=3
	v_cmp_lt_i32_e32 vcc, -1, v2
	v_bfrev_b32_e32 v0, 0.5
	v_mov_b32_e32 v1, 0x7c
	v_cndmask_b32_e32 v57, v0, v1, vcc
; %bb.22003:                            ;   in Loop: Header=BB6_20708 Depth=3
	s_or_b64 exec, exec, s[30:31]
.LBB6_22004:                            ;   in Loop: Header=BB6_20708 Depth=3
	s_or_b64 exec, exec, s[28:29]
	v_lshrrev_b32_e32 v0, 16, v11
	v_cmp_ne_u16_sdwa s[62:63], v0, v33 src0_sel:BYTE_0 src1_sel:DWORD
	v_mov_b32_e32 v1, 0
	s_and_saveexec_b64 s[28:29], s[62:63]
	s_cbranch_execz .LBB6_22012
; %bb.22005:                            ;   in Loop: Header=BB6_20708 Depth=3
	v_cmp_ne_u16_sdwa s[62:63], v0, s97 src0_sel:BYTE_0 src1_sel:DWORD
	v_bfrev_b32_e32 v1, 1
	s_and_saveexec_b64 s[30:31], s[62:63]
	s_cbranch_execz .LBB6_22011
; %bb.22006:                            ;   in Loop: Header=BB6_20708 Depth=3
	v_and_b32_e32 v1, 0x7c0000, v11
	v_bfe_u32 v2, v11, 16, 2
	v_cmp_ne_u32_e32 vcc, s45, v1
                                        ; implicit-def: $vgpr1
	s_and_saveexec_b64 s[62:63], vcc
	s_xor_b64 s[34:35], exec, s[62:63]
	s_cbranch_execz .LBB6_22008
; %bb.22007:                            ;   in Loop: Header=BB6_20708 Depth=3
	v_ffbh_u32_e32 v1, v2
	v_min_u32_e32 v8, 32, v1
	v_subrev_u32_e32 v1, 29, v8
	v_lshlrev_b64 v[0:1], v1, v[0:1]
	v_bfe_u32 v3, v11, 18, 5
	v_and_b32_e32 v0, 3, v0
	v_cmp_eq_u32_e32 vcc, 0, v3
	v_sub_u32_e32 v1, 30, v8
	v_cndmask_b32_e32 v0, v2, v0, vcc
	v_lshlrev_b32_e32 v2, 8, v11
	v_cndmask_b32_e32 v1, v3, v1, vcc
	v_and_b32_e32 v2, 0x80000000, v2
	v_lshl_add_u32 v1, v1, 23, v2
	v_lshl_or_b32 v0, v0, 21, v1
	v_add_u32_e32 v1, 0x38000000, v0
                                        ; implicit-def: $vgpr2
                                        ; implicit-def: $vgpr0
.LBB6_22008:                            ;   in Loop: Header=BB6_20708 Depth=3
	s_andn2_saveexec_b64 s[34:35], s[34:35]
; %bb.22009:                            ;   in Loop: Header=BB6_20708 Depth=3
	v_mov_b32_e32 v1, -1
	v_cmp_gt_i16_sdwa vcc, sext(v0), v1 src0_sel:BYTE_0 src1_sel:DWORD
	v_mov_b32_e32 v0, 0xff800000
	v_mov_b32_e32 v1, 0x7f800000
	v_cndmask_b32_e32 v0, v0, v1, vcc
	v_cmp_eq_u32_e32 vcc, 0, v2
	v_mov_b32_e32 v1, 0x7f800001
	v_cndmask_b32_e32 v1, v1, v0, vcc
; %bb.22010:                            ;   in Loop: Header=BB6_20708 Depth=3
	s_or_b64 exec, exec, s[34:35]
.LBB6_22011:                            ;   in Loop: Header=BB6_20708 Depth=3
	s_or_b64 exec, exec, s[30:31]
.LBB6_22012:                            ;   in Loop: Header=BB6_20708 Depth=3
	s_or_b64 exec, exec, s[28:29]
	v_mul_f32_e32 v2, v12, v1
	v_and_b32_e32 v8, 0x7f800000, v2
	v_mov_b32_e32 v9, v33
	v_cmp_ne_u64_e32 vcc, s[76:77], v[8:9]
	v_and_b32_e32 v0, 0x7fffff, v2
	v_mov_b32_e32 v1, v33
                                        ; implicit-def: $vgpr56
	s_and_saveexec_b64 s[28:29], vcc
	s_xor_b64 s[30:31], exec, s[28:29]
	s_cbranch_execz .LBB6_22026
; %bb.22013:                            ;   in Loop: Header=BB6_20708 Depth=3
	v_and_b32_e32 v8, 0x7fffffff, v2
	v_mov_b32_e32 v9, v33
	v_cmp_gt_u64_e32 vcc, s[78:79], v[8:9]
	v_and_b32_sdwa v3, v2, s97 dst_sel:DWORD dst_unused:UNUSED_PAD src0_sel:BYTE_3 src1_sel:DWORD
                                        ; implicit-def: $vgpr56
	s_and_saveexec_b64 s[28:29], vcc
	s_xor_b64 s[34:35], exec, s[28:29]
	s_cbranch_execz .LBB6_22023
; %bb.22014:                            ;   in Loop: Header=BB6_20708 Depth=3
	v_mov_b32_e32 v56, 0
	v_cmp_ne_u32_e32 vcc, 0, v2
	s_and_saveexec_b64 s[36:37], vcc
	s_cbranch_execz .LBB6_22022
; %bb.22015:                            ;   in Loop: Header=BB6_20708 Depth=3
	v_bfe_u32 v8, v2, 23, 8
	v_cmp_gt_u32_e64 s[28:29], s47, v8
	v_sub_u32_e32 v2, 0x71, v8
	v_cmp_eq_u32_e32 vcc, 0, v8
	v_cndmask_b32_e64 v2, 0, v2, s[28:29]
	v_mov_b32_e32 v9, 0x70
	v_cndmask_b32_e32 v9, v2, v9, vcc
	v_or_b32_e32 v13, 0x800000, v0
	v_add_u32_e32 v2, 21, v9
	v_cndmask_b32_e32 v0, v13, v0, vcc
	v_lshlrev_b64 v[13:14], v2, -1
	v_add_u32_e32 v2, 20, v9
	v_bfi_b32 v13, v13, 0, v0
	v_lshlrev_b64 v[15:16], v2, 1
	v_lshrrev_b64 v[0:1], v9, v[0:1]
	v_bfi_b32 v14, v14, 0, 0
	v_cmp_eq_u64_e64 s[28:29], v[13:14], v[15:16]
	v_mov_b32_e32 v2, v1
	v_mov_b32_e32 v1, v0
	s_and_saveexec_b64 s[38:39], s[28:29]
; %bb.22016:                            ;   in Loop: Header=BB6_20708 Depth=3
	v_bfe_u32 v1, v0, 21, 1
	v_add_co_u32_e64 v1, s[28:29], v0, v1
	v_add_co_u32_e64 v1, s[28:29], -1, v1
; %bb.22017:                            ;   in Loop: Header=BB6_20708 Depth=3
	s_or_b64 exec, exec, s[38:39]
	v_add_u32_e32 v2, 0xffffff81, v8
	v_mov_b32_e32 v8, 0xffffff82
	v_cndmask_b32_e32 v2, v2, v8, vcc
	v_lshrrev_b32_e32 v8, 23, v0
	v_add3_u32 v9, v9, v2, v8
	v_add_u32_e32 v8, 14, v9
	v_and_b32_e32 v1, 0x1fffff, v1
	v_add_u32_e32 v0, v1, v0
	v_mov_b32_e32 v1, v33
	v_cmp_ne_u32_e32 vcc, 0, v8
                                        ; implicit-def: $vgpr2
	s_and_saveexec_b64 s[28:29], vcc
	s_xor_b64 s[28:29], exec, s[28:29]
; %bb.22018:                            ;   in Loop: Header=BB6_20708 Depth=3
	v_cmp_lt_u64_e32 vcc, s[88:89], v[0:1]
	v_add_u32_e32 v2, 15, v9
	v_cndmask_b32_e32 v2, v8, v2, vcc
	v_cndmask_b32_e64 v8, 0, 1, vcc
	v_lshrrev_b64 v[0:1], v8, v[0:1]
; %bb.22019:                            ;   in Loop: Header=BB6_20708 Depth=3
	s_andn2_saveexec_b64 s[28:29], s[28:29]
; %bb.22020:                            ;   in Loop: Header=BB6_20708 Depth=3
	v_bfe_u32 v2, v0, 23, 1
; %bb.22021:                            ;   in Loop: Header=BB6_20708 Depth=3
	s_or_b64 exec, exec, s[28:29]
	v_lshrrev_b64 v[0:1], 21, v[0:1]
	v_cmp_gt_i32_e32 vcc, 32, v2
	v_cndmask_b32_e32 v1, 0, v1, vcc
	v_cndmask_b32_e32 v0, 3, v0, vcc
	v_cmp_eq_u64_e64 s[28:29], 0, v[0:1]
	v_min_i32_e32 v1, 31, v2
	v_lshlrev_b32_e32 v1, 2, v1
	v_cmp_eq_u32_e32 vcc, 0, v2
	v_and_b32_e32 v1, 0xfc, v1
	v_and_or_b32 v0, v0, 3, v1
	s_and_b64 s[28:29], vcc, s[28:29]
	v_cndmask_b32_e64 v0, v0, 0, s[28:29]
	v_or_b32_e32 v56, v0, v3
.LBB6_22022:                            ;   in Loop: Header=BB6_20708 Depth=3
	s_or_b64 exec, exec, s[36:37]
                                        ; implicit-def: $vgpr3
.LBB6_22023:                            ;   in Loop: Header=BB6_20708 Depth=3
	s_andn2_saveexec_b64 s[28:29], s[34:35]
; %bb.22024:                            ;   in Loop: Header=BB6_20708 Depth=3
	v_or_b32_e32 v56, 0x7b, v3
; %bb.22025:                            ;   in Loop: Header=BB6_20708 Depth=3
	s_or_b64 exec, exec, s[28:29]
                                        ; implicit-def: $vgpr2
                                        ; implicit-def: $vgpr0_vgpr1
.LBB6_22026:                            ;   in Loop: Header=BB6_20708 Depth=3
	s_andn2_saveexec_b64 s[28:29], s[30:31]
	s_cbranch_execz .LBB6_22032
; %bb.22027:                            ;   in Loop: Header=BB6_20708 Depth=3
	v_cmp_ne_u64_e32 vcc, 0, v[0:1]
                                        ; implicit-def: $vgpr56
	s_and_saveexec_b64 s[62:63], vcc
	s_xor_b64 vcc, exec, s[62:63]
; %bb.22028:                            ;   in Loop: Header=BB6_20708 Depth=3
	v_or_b32_sdwa v56, v2, s44 dst_sel:DWORD dst_unused:UNUSED_PAD src0_sel:BYTE_3 src1_sel:DWORD
                                        ; implicit-def: $vgpr2
; %bb.22029:                            ;   in Loop: Header=BB6_20708 Depth=3
	s_andn2_saveexec_b64 s[30:31], vcc
; %bb.22030:                            ;   in Loop: Header=BB6_20708 Depth=3
	v_cmp_lt_i32_e32 vcc, -1, v2
	v_bfrev_b32_e32 v0, 0.5
	v_mov_b32_e32 v1, 0x7c
	v_cndmask_b32_e32 v56, v0, v1, vcc
; %bb.22031:                            ;   in Loop: Header=BB6_20708 Depth=3
	s_or_b64 exec, exec, s[30:31]
.LBB6_22032:                            ;   in Loop: Header=BB6_20708 Depth=3
	s_or_b64 exec, exec, s[28:29]
	v_cmp_lt_u64_e32 vcc, s[56:57], v[10:11]
	v_mov_b32_e32 v1, 0
	s_and_saveexec_b64 s[28:29], vcc
	s_cbranch_execz .LBB6_22040
; %bb.22033:                            ;   in Loop: Header=BB6_20708 Depth=3
	v_lshrrev_b32_e32 v0, 24, v11
	v_cmp_ne_u32_e32 vcc, s97, v0
	v_bfrev_b32_e32 v1, 1
	s_and_saveexec_b64 s[30:31], vcc
	s_cbranch_execz .LBB6_22039
; %bb.22034:                            ;   in Loop: Header=BB6_20708 Depth=3
	v_and_b32_e32 v1, 0x7c000000, v11
	v_bfe_u32 v2, v11, 24, 2
	v_cmp_ne_u32_e32 vcc, s68, v1
                                        ; implicit-def: $vgpr1
	s_and_saveexec_b64 s[62:63], vcc
	s_xor_b64 s[34:35], exec, s[62:63]
	s_cbranch_execz .LBB6_22036
; %bb.22035:                            ;   in Loop: Header=BB6_20708 Depth=3
	v_ffbh_u32_e32 v1, v2
	v_min_u32_e32 v8, 32, v1
	v_subrev_u32_e32 v1, 29, v8
	v_lshlrev_b64 v[0:1], v1, v[0:1]
	v_bfe_u32 v3, v11, 26, 5
	v_sub_u32_e32 v1, 30, v8
	v_and_b32_e32 v0, 3, v0
	v_cmp_eq_u32_e32 vcc, 0, v3
	v_cndmask_b32_e32 v1, v3, v1, vcc
	v_cndmask_b32_e32 v0, v2, v0, vcc
	v_and_b32_e32 v2, 0x80000000, v11
	v_lshl_add_u32 v1, v1, 23, v2
	v_lshl_or_b32 v0, v0, 21, v1
	v_add_u32_e32 v1, 0x38000000, v0
                                        ; implicit-def: $vgpr2
                                        ; implicit-def: $vgpr10_vgpr11
.LBB6_22036:                            ;   in Loop: Header=BB6_20708 Depth=3
	s_andn2_saveexec_b64 s[34:35], s[34:35]
; %bb.22037:                            ;   in Loop: Header=BB6_20708 Depth=3
	v_cmp_lt_i64_e32 vcc, -1, v[10:11]
	v_mov_b32_e32 v0, 0xff800000
	v_mov_b32_e32 v1, 0x7f800000
	v_cndmask_b32_e32 v0, v0, v1, vcc
	v_cmp_eq_u32_e32 vcc, 0, v2
	v_mov_b32_e32 v1, 0x7f800001
	v_cndmask_b32_e32 v1, v1, v0, vcc
; %bb.22038:                            ;   in Loop: Header=BB6_20708 Depth=3
	s_or_b64 exec, exec, s[34:35]
.LBB6_22039:                            ;   in Loop: Header=BB6_20708 Depth=3
	s_or_b64 exec, exec, s[30:31]
.LBB6_22040:                            ;   in Loop: Header=BB6_20708 Depth=3
	s_or_b64 exec, exec, s[28:29]
	v_mul_f32_e32 v2, v12, v1
	v_and_b32_e32 v8, 0x7f800000, v2
	v_mov_b32_e32 v9, v33
	v_cmp_ne_u64_e32 vcc, s[76:77], v[8:9]
	v_and_b32_e32 v0, 0x7fffff, v2
	v_mov_b32_e32 v1, v33
                                        ; implicit-def: $vgpr3
                                        ; kill: killed $vgpr3
	s_and_saveexec_b64 s[28:29], vcc
	s_xor_b64 s[30:31], exec, s[28:29]
	s_cbranch_execz .LBB6_22054
; %bb.22041:                            ;   in Loop: Header=BB6_20708 Depth=3
	v_and_b32_e32 v8, 0x7fffffff, v2
	v_mov_b32_e32 v9, v33
	v_cmp_gt_u64_e32 vcc, s[78:79], v[8:9]
	v_and_b32_sdwa v3, v2, s97 dst_sel:DWORD dst_unused:UNUSED_PAD src0_sel:BYTE_3 src1_sel:DWORD
                                        ; implicit-def: $vgpr5
                                        ; kill: killed $vgpr5
	s_and_saveexec_b64 s[28:29], vcc
	s_xor_b64 s[34:35], exec, s[28:29]
	s_cbranch_execz .LBB6_22051
; %bb.22042:                            ;   in Loop: Header=BB6_20708 Depth=3
	v_mov_b32_e32 v5, 0
	v_cmp_ne_u32_e32 vcc, 0, v2
	buffer_store_dword v5, off, s[0:3], s33 offset:252 ; 4-byte Folded Spill
	s_and_saveexec_b64 s[36:37], vcc
	s_cbranch_execz .LBB6_22050
; %bb.22043:                            ;   in Loop: Header=BB6_20708 Depth=3
	v_bfe_u32 v8, v2, 23, 8
	v_cmp_gt_u32_e64 s[28:29], s47, v8
	v_sub_u32_e32 v2, 0x71, v8
	v_cmp_eq_u32_e32 vcc, 0, v8
	v_cndmask_b32_e64 v2, 0, v2, s[28:29]
	v_mov_b32_e32 v9, 0x70
	v_cndmask_b32_e32 v9, v2, v9, vcc
	v_or_b32_e32 v10, 0x800000, v0
	v_add_u32_e32 v2, 21, v9
	v_cndmask_b32_e32 v0, v10, v0, vcc
	v_lshlrev_b64 v[10:11], v2, -1
	v_add_u32_e32 v2, 20, v9
	v_bfi_b32 v10, v10, 0, v0
	v_lshlrev_b64 v[13:14], v2, 1
	v_lshrrev_b64 v[0:1], v9, v[0:1]
	v_bfi_b32 v11, v11, 0, 0
	v_cmp_eq_u64_e64 s[28:29], v[10:11], v[13:14]
	v_mov_b32_e32 v2, v1
	v_mov_b32_e32 v1, v0
	s_and_saveexec_b64 s[38:39], s[28:29]
; %bb.22044:                            ;   in Loop: Header=BB6_20708 Depth=3
	v_bfe_u32 v1, v0, 21, 1
	v_add_co_u32_e64 v1, s[28:29], v0, v1
	v_add_co_u32_e64 v1, s[28:29], -1, v1
; %bb.22045:                            ;   in Loop: Header=BB6_20708 Depth=3
	s_or_b64 exec, exec, s[38:39]
	v_add_u32_e32 v2, 0xffffff81, v8
	v_mov_b32_e32 v8, 0xffffff82
	v_cndmask_b32_e32 v2, v2, v8, vcc
	v_lshrrev_b32_e32 v8, 23, v0
	v_add3_u32 v9, v9, v2, v8
	v_add_u32_e32 v8, 14, v9
	v_and_b32_e32 v1, 0x1fffff, v1
	v_add_u32_e32 v0, v1, v0
	v_mov_b32_e32 v1, v33
	v_cmp_ne_u32_e32 vcc, 0, v8
                                        ; implicit-def: $vgpr2
	s_and_saveexec_b64 s[28:29], vcc
	s_xor_b64 s[28:29], exec, s[28:29]
; %bb.22046:                            ;   in Loop: Header=BB6_20708 Depth=3
	v_cmp_lt_u64_e32 vcc, s[88:89], v[0:1]
	v_add_u32_e32 v2, 15, v9
	v_cndmask_b32_e32 v2, v8, v2, vcc
	v_cndmask_b32_e64 v8, 0, 1, vcc
	v_lshrrev_b64 v[0:1], v8, v[0:1]
; %bb.22047:                            ;   in Loop: Header=BB6_20708 Depth=3
	s_andn2_saveexec_b64 s[28:29], s[28:29]
; %bb.22048:                            ;   in Loop: Header=BB6_20708 Depth=3
	v_bfe_u32 v2, v0, 23, 1
; %bb.22049:                            ;   in Loop: Header=BB6_20708 Depth=3
	s_or_b64 exec, exec, s[28:29]
	v_lshrrev_b64 v[0:1], 21, v[0:1]
	v_cmp_gt_i32_e32 vcc, 32, v2
	v_cndmask_b32_e32 v1, 0, v1, vcc
	v_cndmask_b32_e32 v0, 3, v0, vcc
	v_cmp_eq_u64_e64 s[28:29], 0, v[0:1]
	v_min_i32_e32 v1, 31, v2
	v_lshlrev_b32_e32 v1, 2, v1
	v_cmp_eq_u32_e32 vcc, 0, v2
	v_and_b32_e32 v1, 0xfc, v1
	v_and_or_b32 v0, v0, 3, v1
	s_and_b64 s[28:29], vcc, s[28:29]
	v_cndmask_b32_e64 v0, v0, 0, s[28:29]
	v_or_b32_e32 v0, v0, v3
	buffer_store_dword v0, off, s[0:3], s33 offset:252 ; 4-byte Folded Spill
.LBB6_22050:                            ;   in Loop: Header=BB6_20708 Depth=3
	s_or_b64 exec, exec, s[36:37]
                                        ; implicit-def: $vgpr3
.LBB6_22051:                            ;   in Loop: Header=BB6_20708 Depth=3
	s_andn2_saveexec_b64 s[28:29], s[34:35]
	s_cbranch_execz .LBB6_22053
; %bb.22052:                            ;   in Loop: Header=BB6_20708 Depth=3
	v_or_b32_e32 v0, 0x7b, v3
	buffer_store_dword v0, off, s[0:3], s33 offset:252 ; 4-byte Folded Spill
.LBB6_22053:                            ;   in Loop: Header=BB6_20708 Depth=3
	s_or_b64 exec, exec, s[28:29]
                                        ; implicit-def: $vgpr2
                                        ; implicit-def: $vgpr0_vgpr1
.LBB6_22054:                            ;   in Loop: Header=BB6_20708 Depth=3
	s_andn2_saveexec_b64 s[28:29], s[30:31]
	s_cbranch_execz .LBB6_22060
; %bb.22055:                            ;   in Loop: Header=BB6_20708 Depth=3
	v_cmp_ne_u64_e32 vcc, 0, v[0:1]
                                        ; implicit-def: $vgpr0
                                        ; kill: killed $vgpr0
	s_and_saveexec_b64 s[62:63], vcc
	s_xor_b64 vcc, exec, s[62:63]
	s_cbranch_execz .LBB6_22057
; %bb.22056:                            ;   in Loop: Header=BB6_20708 Depth=3
	v_or_b32_sdwa v0, v2, s44 dst_sel:DWORD dst_unused:UNUSED_PAD src0_sel:BYTE_3 src1_sel:DWORD
	buffer_store_dword v0, off, s[0:3], s33 offset:252 ; 4-byte Folded Spill
                                        ; implicit-def: $vgpr2
.LBB6_22057:                            ;   in Loop: Header=BB6_20708 Depth=3
	s_andn2_saveexec_b64 s[30:31], vcc
	s_cbranch_execz .LBB6_22059
; %bb.22058:                            ;   in Loop: Header=BB6_20708 Depth=3
	v_cmp_lt_i32_e32 vcc, -1, v2
	v_bfrev_b32_e32 v0, 0.5
	v_mov_b32_e32 v1, 0x7c
	v_cndmask_b32_e32 v0, v0, v1, vcc
	buffer_store_dword v0, off, s[0:3], s33 offset:252 ; 4-byte Folded Spill
.LBB6_22059:                            ;   in Loop: Header=BB6_20708 Depth=3
	s_or_b64 exec, exec, s[30:31]
.LBB6_22060:                            ;   in Loop: Header=BB6_20708 Depth=3
	s_or_b64 exec, exec, s[28:29]
	global_load_dwordx4 v[8:11], v[26:27], off offset:3072 glc slc
	v_mov_b32_e32 v0, 0
	s_waitcnt vmcnt(0)
	v_cmp_ne_u16_sdwa s[62:63], v8, v33 src0_sel:BYTE_0 src1_sel:DWORD
	s_and_saveexec_b64 s[28:29], s[62:63]
	s_cbranch_execz .LBB6_22068
; %bb.22061:                            ;   in Loop: Header=BB6_20708 Depth=3
	v_cmp_ne_u16_sdwa s[62:63], sext(v8), s46 src0_sel:BYTE_0 src1_sel:DWORD
	v_bfrev_b32_e32 v0, 1
	s_and_saveexec_b64 s[30:31], s[62:63]
	s_cbranch_execz .LBB6_22067
; %bb.22062:                            ;   in Loop: Header=BB6_20708 Depth=3
	v_and_b32_e32 v0, 0x7c, v8
	v_and_b32_e32 v1, 3, v8
	v_cmp_ne_u32_e32 vcc, s86, v0
                                        ; implicit-def: $vgpr0
	s_and_saveexec_b64 s[62:63], vcc
	s_xor_b64 s[34:35], exec, s[62:63]
	s_cbranch_execz .LBB6_22064
; %bb.22063:                            ;   in Loop: Header=BB6_20708 Depth=3
	v_ffbh_u32_e32 v2, v1
	v_min_u32_e32 v13, 32, v2
	v_subrev_u32_e32 v2, 29, v13
	v_lshlrev_b64 v[2:3], v2, v[8:9]
	v_bfe_u32 v0, v8, 2, 5
	v_and_b32_e32 v2, 3, v2
	v_cmp_eq_u32_e32 vcc, 0, v0
	v_sub_u32_e32 v3, 30, v13
	v_cndmask_b32_e32 v1, v1, v2, vcc
	v_lshlrev_b32_e32 v2, 24, v8
	v_cndmask_b32_e32 v0, v0, v3, vcc
	v_and_b32_e32 v2, 0x80000000, v2
	v_lshl_add_u32 v0, v0, 23, v2
	v_lshl_or_b32 v0, v1, 21, v0
	v_add_u32_e32 v0, 0x38000000, v0
                                        ; implicit-def: $vgpr1
.LBB6_22064:                            ;   in Loop: Header=BB6_20708 Depth=3
	s_andn2_saveexec_b64 s[34:35], s[34:35]
; %bb.22065:                            ;   in Loop: Header=BB6_20708 Depth=3
	v_mov_b32_e32 v0, -1
	v_cmp_gt_i16_sdwa vcc, sext(v8), v0 src0_sel:BYTE_0 src1_sel:DWORD
	v_mov_b32_e32 v0, 0xff800000
	v_mov_b32_e32 v2, 0x7f800000
	v_cndmask_b32_e32 v0, v0, v2, vcc
	v_cmp_eq_u32_e32 vcc, 0, v1
	v_mov_b32_e32 v1, 0x7f800001
	v_cndmask_b32_e32 v0, v1, v0, vcc
; %bb.22066:                            ;   in Loop: Header=BB6_20708 Depth=3
	s_or_b64 exec, exec, s[34:35]
.LBB6_22067:                            ;   in Loop: Header=BB6_20708 Depth=3
	s_or_b64 exec, exec, s[30:31]
.LBB6_22068:                            ;   in Loop: Header=BB6_20708 Depth=3
	s_or_b64 exec, exec, s[28:29]
	v_mul_f32_e32 v2, v12, v0
	v_and_b32_e32 v13, 0x7f800000, v2
	v_mov_b32_e32 v14, v33
	v_cmp_ne_u64_e32 vcc, s[76:77], v[13:14]
	v_and_b32_e32 v0, 0x7fffff, v2
	v_mov_b32_e32 v1, v33
                                        ; implicit-def: $vgpr35
	s_and_saveexec_b64 s[28:29], vcc
	s_xor_b64 s[30:31], exec, s[28:29]
	s_cbranch_execz .LBB6_22082
; %bb.22069:                            ;   in Loop: Header=BB6_20708 Depth=3
	v_and_b32_e32 v13, 0x7fffffff, v2
	v_mov_b32_e32 v14, v33
	v_cmp_gt_u64_e32 vcc, s[78:79], v[13:14]
	v_and_b32_sdwa v3, v2, s97 dst_sel:DWORD dst_unused:UNUSED_PAD src0_sel:BYTE_3 src1_sel:DWORD
                                        ; implicit-def: $vgpr35
	s_and_saveexec_b64 s[28:29], vcc
	s_xor_b64 s[34:35], exec, s[28:29]
	s_cbranch_execz .LBB6_22079
; %bb.22070:                            ;   in Loop: Header=BB6_20708 Depth=3
	v_mov_b32_e32 v35, 0
	v_cmp_ne_u32_e32 vcc, 0, v2
	s_and_saveexec_b64 s[36:37], vcc
	s_cbranch_execz .LBB6_22078
; %bb.22071:                            ;   in Loop: Header=BB6_20708 Depth=3
	v_bfe_u32 v13, v2, 23, 8
	v_cmp_gt_u32_e64 s[28:29], s47, v13
	v_sub_u32_e32 v2, 0x71, v13
	v_cmp_eq_u32_e32 vcc, 0, v13
	v_cndmask_b32_e64 v2, 0, v2, s[28:29]
	v_mov_b32_e32 v14, 0x70
	v_cndmask_b32_e32 v14, v2, v14, vcc
	v_or_b32_e32 v15, 0x800000, v0
	v_add_u32_e32 v2, 21, v14
	v_cndmask_b32_e32 v0, v15, v0, vcc
	v_lshlrev_b64 v[15:16], v2, -1
	v_add_u32_e32 v2, 20, v14
	v_bfi_b32 v15, v15, 0, v0
	v_lshlrev_b64 v[17:18], v2, 1
	v_lshrrev_b64 v[0:1], v14, v[0:1]
	v_bfi_b32 v16, v16, 0, 0
	v_cmp_eq_u64_e64 s[28:29], v[15:16], v[17:18]
	v_mov_b32_e32 v2, v1
	v_mov_b32_e32 v1, v0
	s_and_saveexec_b64 s[38:39], s[28:29]
; %bb.22072:                            ;   in Loop: Header=BB6_20708 Depth=3
	v_bfe_u32 v1, v0, 21, 1
	v_add_co_u32_e64 v1, s[28:29], v0, v1
	v_add_co_u32_e64 v1, s[28:29], -1, v1
; %bb.22073:                            ;   in Loop: Header=BB6_20708 Depth=3
	s_or_b64 exec, exec, s[38:39]
	v_add_u32_e32 v2, 0xffffff81, v13
	v_mov_b32_e32 v13, 0xffffff82
	v_cndmask_b32_e32 v2, v2, v13, vcc
	v_lshrrev_b32_e32 v13, 23, v0
	v_add3_u32 v14, v14, v2, v13
	v_add_u32_e32 v13, 14, v14
	v_and_b32_e32 v1, 0x1fffff, v1
	v_add_u32_e32 v0, v1, v0
	v_mov_b32_e32 v1, v33
	v_cmp_ne_u32_e32 vcc, 0, v13
                                        ; implicit-def: $vgpr2
	s_and_saveexec_b64 s[28:29], vcc
	s_xor_b64 s[28:29], exec, s[28:29]
; %bb.22074:                            ;   in Loop: Header=BB6_20708 Depth=3
	v_cmp_lt_u64_e32 vcc, s[88:89], v[0:1]
	v_add_u32_e32 v2, 15, v14
	v_cndmask_b32_e32 v2, v13, v2, vcc
	v_cndmask_b32_e64 v13, 0, 1, vcc
	v_lshrrev_b64 v[0:1], v13, v[0:1]
; %bb.22075:                            ;   in Loop: Header=BB6_20708 Depth=3
	s_andn2_saveexec_b64 s[28:29], s[28:29]
; %bb.22076:                            ;   in Loop: Header=BB6_20708 Depth=3
	v_bfe_u32 v2, v0, 23, 1
; %bb.22077:                            ;   in Loop: Header=BB6_20708 Depth=3
	s_or_b64 exec, exec, s[28:29]
	v_lshrrev_b64 v[0:1], 21, v[0:1]
	v_cmp_gt_i32_e32 vcc, 32, v2
	v_cndmask_b32_e32 v1, 0, v1, vcc
	v_cndmask_b32_e32 v0, 3, v0, vcc
	v_cmp_eq_u64_e64 s[28:29], 0, v[0:1]
	v_min_i32_e32 v1, 31, v2
	v_lshlrev_b32_e32 v1, 2, v1
	v_cmp_eq_u32_e32 vcc, 0, v2
	v_and_b32_e32 v1, 0xfc, v1
	v_and_or_b32 v0, v0, 3, v1
	s_and_b64 s[28:29], vcc, s[28:29]
	v_cndmask_b32_e64 v0, v0, 0, s[28:29]
	v_or_b32_e32 v35, v0, v3
.LBB6_22078:                            ;   in Loop: Header=BB6_20708 Depth=3
	s_or_b64 exec, exec, s[36:37]
                                        ; implicit-def: $vgpr3
.LBB6_22079:                            ;   in Loop: Header=BB6_20708 Depth=3
	s_andn2_saveexec_b64 s[28:29], s[34:35]
; %bb.22080:                            ;   in Loop: Header=BB6_20708 Depth=3
	v_or_b32_e32 v35, 0x7b, v3
; %bb.22081:                            ;   in Loop: Header=BB6_20708 Depth=3
	s_or_b64 exec, exec, s[28:29]
                                        ; implicit-def: $vgpr2
                                        ; implicit-def: $vgpr0_vgpr1
.LBB6_22082:                            ;   in Loop: Header=BB6_20708 Depth=3
	s_andn2_saveexec_b64 s[28:29], s[30:31]
	s_cbranch_execz .LBB6_22088
; %bb.22083:                            ;   in Loop: Header=BB6_20708 Depth=3
	v_cmp_ne_u64_e32 vcc, 0, v[0:1]
                                        ; implicit-def: $vgpr35
	s_and_saveexec_b64 s[62:63], vcc
	s_xor_b64 vcc, exec, s[62:63]
; %bb.22084:                            ;   in Loop: Header=BB6_20708 Depth=3
	v_or_b32_sdwa v35, v2, s44 dst_sel:DWORD dst_unused:UNUSED_PAD src0_sel:BYTE_3 src1_sel:DWORD
                                        ; implicit-def: $vgpr2
; %bb.22085:                            ;   in Loop: Header=BB6_20708 Depth=3
	s_andn2_saveexec_b64 s[30:31], vcc
; %bb.22086:                            ;   in Loop: Header=BB6_20708 Depth=3
	v_cmp_lt_i32_e32 vcc, -1, v2
	v_bfrev_b32_e32 v0, 0.5
	v_mov_b32_e32 v1, 0x7c
	v_cndmask_b32_e32 v35, v0, v1, vcc
; %bb.22087:                            ;   in Loop: Header=BB6_20708 Depth=3
	s_or_b64 exec, exec, s[30:31]
.LBB6_22088:                            ;   in Loop: Header=BB6_20708 Depth=3
	s_or_b64 exec, exec, s[28:29]
	v_lshrrev_b16_e32 v0, 8, v8
	v_cmp_ne_u16_e32 vcc, 0, v0
	v_mov_b32_e32 v1, 0
	s_and_saveexec_b64 s[28:29], vcc
	s_cbranch_execz .LBB6_22096
; %bb.22089:                            ;   in Loop: Header=BB6_20708 Depth=3
	v_cmp_ne_u16_e32 vcc, s97, v0
	v_bfrev_b32_e32 v1, 1
	s_and_saveexec_b64 s[30:31], vcc
	s_cbranch_execz .LBB6_22095
; %bb.22090:                            ;   in Loop: Header=BB6_20708 Depth=3
	v_and_b32_e32 v1, 0x7c, v0
	v_and_b32_e32 v2, 3, v0
	v_cmp_ne_u32_e32 vcc, s86, v1
                                        ; implicit-def: $vgpr1
	s_and_saveexec_b64 s[62:63], vcc
	s_xor_b64 s[34:35], exec, s[62:63]
	s_cbranch_execz .LBB6_22092
; %bb.22091:                            ;   in Loop: Header=BB6_20708 Depth=3
	v_ffbh_u32_e32 v13, v2
	v_min_u32_e32 v13, 32, v13
	v_mov_b32_e32 v1, v33
	v_subrev_u32_e32 v14, 29, v13
	v_bfe_u32 v3, v0, 2, 5
	v_lshlrev_b64 v[0:1], v14, v[0:1]
	v_cmp_eq_u32_e32 vcc, 0, v3
	v_and_b32_e32 v0, 3, v0
	v_sub_u32_e32 v1, 30, v13
	v_cndmask_b32_e32 v0, v2, v0, vcc
	v_lshlrev_b32_e32 v2, 16, v8
	v_cndmask_b32_e32 v1, v3, v1, vcc
	v_and_b32_e32 v2, 0x80000000, v2
	v_lshl_add_u32 v1, v1, 23, v2
	v_lshl_or_b32 v0, v0, 21, v1
	v_add_u32_e32 v1, 0x38000000, v0
                                        ; implicit-def: $vgpr2
.LBB6_22092:                            ;   in Loop: Header=BB6_20708 Depth=3
	s_andn2_saveexec_b64 s[34:35], s[34:35]
; %bb.22093:                            ;   in Loop: Header=BB6_20708 Depth=3
	v_cmp_lt_i16_e32 vcc, -1, v8
	v_mov_b32_e32 v0, 0xff800000
	v_mov_b32_e32 v1, 0x7f800000
	v_cndmask_b32_e32 v0, v0, v1, vcc
	v_cmp_eq_u32_e32 vcc, 0, v2
	v_mov_b32_e32 v1, 0x7f800001
	v_cndmask_b32_e32 v1, v1, v0, vcc
; %bb.22094:                            ;   in Loop: Header=BB6_20708 Depth=3
	s_or_b64 exec, exec, s[34:35]
.LBB6_22095:                            ;   in Loop: Header=BB6_20708 Depth=3
	s_or_b64 exec, exec, s[30:31]
.LBB6_22096:                            ;   in Loop: Header=BB6_20708 Depth=3
	s_or_b64 exec, exec, s[28:29]
	v_mul_f32_e32 v2, v12, v1
	v_and_b32_e32 v13, 0x7f800000, v2
	v_mov_b32_e32 v14, v33
	v_cmp_ne_u64_e32 vcc, s[76:77], v[13:14]
	v_and_b32_e32 v0, 0x7fffff, v2
	v_mov_b32_e32 v1, v33
                                        ; implicit-def: $vgpr3
                                        ; kill: killed $vgpr3
	s_and_saveexec_b64 s[28:29], vcc
	s_xor_b64 s[30:31], exec, s[28:29]
	s_cbranch_execz .LBB6_22110
; %bb.22097:                            ;   in Loop: Header=BB6_20708 Depth=3
	v_and_b32_e32 v13, 0x7fffffff, v2
	v_mov_b32_e32 v14, v33
	v_cmp_gt_u64_e32 vcc, s[78:79], v[13:14]
	v_and_b32_sdwa v3, v2, s97 dst_sel:DWORD dst_unused:UNUSED_PAD src0_sel:BYTE_3 src1_sel:DWORD
                                        ; implicit-def: $vgpr13
                                        ; kill: killed $vgpr13
	s_and_saveexec_b64 s[28:29], vcc
	s_xor_b64 s[34:35], exec, s[28:29]
	s_cbranch_execz .LBB6_22107
; %bb.22098:                            ;   in Loop: Header=BB6_20708 Depth=3
	v_mov_b32_e32 v13, 0
	v_cmp_ne_u32_e32 vcc, 0, v2
	buffer_store_dword v13, off, s[0:3], s33 offset:180 ; 4-byte Folded Spill
	s_and_saveexec_b64 s[36:37], vcc
	s_cbranch_execz .LBB6_22106
; %bb.22099:                            ;   in Loop: Header=BB6_20708 Depth=3
	v_bfe_u32 v13, v2, 23, 8
	v_cmp_gt_u32_e64 s[28:29], s47, v13
	v_sub_u32_e32 v2, 0x71, v13
	v_cmp_eq_u32_e32 vcc, 0, v13
	v_cndmask_b32_e64 v2, 0, v2, s[28:29]
	v_mov_b32_e32 v14, 0x70
	v_cndmask_b32_e32 v14, v2, v14, vcc
	v_or_b32_e32 v15, 0x800000, v0
	v_add_u32_e32 v2, 21, v14
	v_cndmask_b32_e32 v0, v15, v0, vcc
	v_lshlrev_b64 v[15:16], v2, -1
	v_add_u32_e32 v2, 20, v14
	v_bfi_b32 v15, v15, 0, v0
	v_lshlrev_b64 v[17:18], v2, 1
	v_lshrrev_b64 v[0:1], v14, v[0:1]
	v_bfi_b32 v16, v16, 0, 0
	v_cmp_eq_u64_e64 s[28:29], v[15:16], v[17:18]
	v_mov_b32_e32 v2, v1
	v_mov_b32_e32 v1, v0
	s_and_saveexec_b64 s[38:39], s[28:29]
; %bb.22100:                            ;   in Loop: Header=BB6_20708 Depth=3
	v_bfe_u32 v1, v0, 21, 1
	v_add_co_u32_e64 v1, s[28:29], v0, v1
	v_add_co_u32_e64 v1, s[28:29], -1, v1
; %bb.22101:                            ;   in Loop: Header=BB6_20708 Depth=3
	s_or_b64 exec, exec, s[38:39]
	v_add_u32_e32 v2, 0xffffff81, v13
	v_mov_b32_e32 v13, 0xffffff82
	v_cndmask_b32_e32 v2, v2, v13, vcc
	v_lshrrev_b32_e32 v13, 23, v0
	v_add3_u32 v14, v14, v2, v13
	v_add_u32_e32 v13, 14, v14
	v_and_b32_e32 v1, 0x1fffff, v1
	v_add_u32_e32 v0, v1, v0
	v_mov_b32_e32 v1, v33
	v_cmp_ne_u32_e32 vcc, 0, v13
                                        ; implicit-def: $vgpr2
	s_and_saveexec_b64 s[28:29], vcc
	s_xor_b64 s[28:29], exec, s[28:29]
; %bb.22102:                            ;   in Loop: Header=BB6_20708 Depth=3
	v_cmp_lt_u64_e32 vcc, s[88:89], v[0:1]
	v_add_u32_e32 v2, 15, v14
	v_cndmask_b32_e32 v2, v13, v2, vcc
	v_cndmask_b32_e64 v13, 0, 1, vcc
	v_lshrrev_b64 v[0:1], v13, v[0:1]
; %bb.22103:                            ;   in Loop: Header=BB6_20708 Depth=3
	s_andn2_saveexec_b64 s[28:29], s[28:29]
; %bb.22104:                            ;   in Loop: Header=BB6_20708 Depth=3
	v_bfe_u32 v2, v0, 23, 1
; %bb.22105:                            ;   in Loop: Header=BB6_20708 Depth=3
	s_or_b64 exec, exec, s[28:29]
	v_lshrrev_b64 v[0:1], 21, v[0:1]
	v_cmp_gt_i32_e32 vcc, 32, v2
	v_cndmask_b32_e32 v1, 0, v1, vcc
	v_cndmask_b32_e32 v0, 3, v0, vcc
	v_cmp_eq_u64_e64 s[28:29], 0, v[0:1]
	v_min_i32_e32 v1, 31, v2
	v_lshlrev_b32_e32 v1, 2, v1
	v_cmp_eq_u32_e32 vcc, 0, v2
	v_and_b32_e32 v1, 0xfc, v1
	v_and_or_b32 v0, v0, 3, v1
	s_and_b64 s[28:29], vcc, s[28:29]
	v_cndmask_b32_e64 v0, v0, 0, s[28:29]
	v_or_b32_e32 v0, v0, v3
	buffer_store_dword v0, off, s[0:3], s33 offset:180 ; 4-byte Folded Spill
.LBB6_22106:                            ;   in Loop: Header=BB6_20708 Depth=3
	s_or_b64 exec, exec, s[36:37]
                                        ; implicit-def: $vgpr3
.LBB6_22107:                            ;   in Loop: Header=BB6_20708 Depth=3
	s_andn2_saveexec_b64 s[28:29], s[34:35]
	s_cbranch_execz .LBB6_22109
; %bb.22108:                            ;   in Loop: Header=BB6_20708 Depth=3
	v_or_b32_e32 v0, 0x7b, v3
	buffer_store_dword v0, off, s[0:3], s33 offset:180 ; 4-byte Folded Spill
.LBB6_22109:                            ;   in Loop: Header=BB6_20708 Depth=3
	s_or_b64 exec, exec, s[28:29]
                                        ; implicit-def: $vgpr2
                                        ; implicit-def: $vgpr0_vgpr1
.LBB6_22110:                            ;   in Loop: Header=BB6_20708 Depth=3
	s_andn2_saveexec_b64 s[28:29], s[30:31]
	s_cbranch_execz .LBB6_22116
; %bb.22111:                            ;   in Loop: Header=BB6_20708 Depth=3
	v_cmp_ne_u64_e32 vcc, 0, v[0:1]
                                        ; implicit-def: $vgpr0
                                        ; kill: killed $vgpr0
	s_and_saveexec_b64 s[62:63], vcc
	s_xor_b64 vcc, exec, s[62:63]
	s_cbranch_execz .LBB6_22113
; %bb.22112:                            ;   in Loop: Header=BB6_20708 Depth=3
	v_or_b32_sdwa v0, v2, s44 dst_sel:DWORD dst_unused:UNUSED_PAD src0_sel:BYTE_3 src1_sel:DWORD
	buffer_store_dword v0, off, s[0:3], s33 offset:180 ; 4-byte Folded Spill
                                        ; implicit-def: $vgpr2
.LBB6_22113:                            ;   in Loop: Header=BB6_20708 Depth=3
	s_andn2_saveexec_b64 s[30:31], vcc
	s_cbranch_execz .LBB6_22115
; %bb.22114:                            ;   in Loop: Header=BB6_20708 Depth=3
	v_cmp_lt_i32_e32 vcc, -1, v2
	v_bfrev_b32_e32 v0, 0.5
	v_mov_b32_e32 v1, 0x7c
	v_cndmask_b32_e32 v0, v0, v1, vcc
	buffer_store_dword v0, off, s[0:3], s33 offset:180 ; 4-byte Folded Spill
.LBB6_22115:                            ;   in Loop: Header=BB6_20708 Depth=3
	s_or_b64 exec, exec, s[30:31]
.LBB6_22116:                            ;   in Loop: Header=BB6_20708 Depth=3
	s_or_b64 exec, exec, s[28:29]
	v_lshrrev_b32_e32 v0, 16, v8
	v_cmp_ne_u16_sdwa s[62:63], v0, v33 src0_sel:BYTE_0 src1_sel:DWORD
	v_mov_b32_e32 v1, 0
	s_and_saveexec_b64 s[28:29], s[62:63]
	s_cbranch_execz .LBB6_22124
; %bb.22117:                            ;   in Loop: Header=BB6_20708 Depth=3
	v_cmp_ne_u16_sdwa s[62:63], v0, s97 src0_sel:BYTE_0 src1_sel:DWORD
	v_bfrev_b32_e32 v1, 1
	s_and_saveexec_b64 s[30:31], s[62:63]
	s_cbranch_execz .LBB6_22123
; %bb.22118:                            ;   in Loop: Header=BB6_20708 Depth=3
	v_and_b32_e32 v1, 0x7c0000, v8
	v_bfe_u32 v2, v8, 16, 2
	v_cmp_ne_u32_e32 vcc, s45, v1
                                        ; implicit-def: $vgpr1
	s_and_saveexec_b64 s[62:63], vcc
	s_xor_b64 s[34:35], exec, s[62:63]
	s_cbranch_execz .LBB6_22120
; %bb.22119:                            ;   in Loop: Header=BB6_20708 Depth=3
	v_ffbh_u32_e32 v1, v2
	v_min_u32_e32 v13, 32, v1
	v_subrev_u32_e32 v1, 29, v13
	v_lshlrev_b64 v[0:1], v1, v[0:1]
	v_bfe_u32 v3, v8, 18, 5
	v_and_b32_e32 v0, 3, v0
	v_cmp_eq_u32_e32 vcc, 0, v3
	v_sub_u32_e32 v1, 30, v13
	v_cndmask_b32_e32 v0, v2, v0, vcc
	v_lshlrev_b32_e32 v2, 8, v8
	v_cndmask_b32_e32 v1, v3, v1, vcc
	v_and_b32_e32 v2, 0x80000000, v2
	v_lshl_add_u32 v1, v1, 23, v2
	v_lshl_or_b32 v0, v0, 21, v1
	v_add_u32_e32 v1, 0x38000000, v0
                                        ; implicit-def: $vgpr2
                                        ; implicit-def: $vgpr0
.LBB6_22120:                            ;   in Loop: Header=BB6_20708 Depth=3
	s_andn2_saveexec_b64 s[34:35], s[34:35]
; %bb.22121:                            ;   in Loop: Header=BB6_20708 Depth=3
	v_mov_b32_e32 v1, -1
	v_cmp_gt_i16_sdwa vcc, sext(v0), v1 src0_sel:BYTE_0 src1_sel:DWORD
	v_mov_b32_e32 v0, 0xff800000
	v_mov_b32_e32 v1, 0x7f800000
	v_cndmask_b32_e32 v0, v0, v1, vcc
	v_cmp_eq_u32_e32 vcc, 0, v2
	v_mov_b32_e32 v1, 0x7f800001
	v_cndmask_b32_e32 v1, v1, v0, vcc
; %bb.22122:                            ;   in Loop: Header=BB6_20708 Depth=3
	s_or_b64 exec, exec, s[34:35]
.LBB6_22123:                            ;   in Loop: Header=BB6_20708 Depth=3
	s_or_b64 exec, exec, s[30:31]
.LBB6_22124:                            ;   in Loop: Header=BB6_20708 Depth=3
	s_or_b64 exec, exec, s[28:29]
	v_mul_f32_e32 v2, v12, v1
	v_and_b32_e32 v13, 0x7f800000, v2
	v_mov_b32_e32 v14, v33
	v_cmp_ne_u64_e32 vcc, s[76:77], v[13:14]
	v_and_b32_e32 v0, 0x7fffff, v2
	v_mov_b32_e32 v1, v33
                                        ; implicit-def: $vgpr3
                                        ; kill: killed $vgpr3
	s_and_saveexec_b64 s[28:29], vcc
	s_xor_b64 s[30:31], exec, s[28:29]
	s_cbranch_execz .LBB6_22138
; %bb.22125:                            ;   in Loop: Header=BB6_20708 Depth=3
	v_and_b32_e32 v13, 0x7fffffff, v2
	v_mov_b32_e32 v14, v33
	v_cmp_gt_u64_e32 vcc, s[78:79], v[13:14]
	v_and_b32_sdwa v3, v2, s97 dst_sel:DWORD dst_unused:UNUSED_PAD src0_sel:BYTE_3 src1_sel:DWORD
                                        ; implicit-def: $vgpr13
                                        ; kill: killed $vgpr13
	s_and_saveexec_b64 s[28:29], vcc
	s_xor_b64 s[34:35], exec, s[28:29]
	s_cbranch_execz .LBB6_22135
; %bb.22126:                            ;   in Loop: Header=BB6_20708 Depth=3
	v_mov_b32_e32 v13, 0
	v_cmp_ne_u32_e32 vcc, 0, v2
	buffer_store_dword v13, off, s[0:3], s33 offset:204 ; 4-byte Folded Spill
	s_and_saveexec_b64 s[36:37], vcc
	s_cbranch_execz .LBB6_22134
; %bb.22127:                            ;   in Loop: Header=BB6_20708 Depth=3
	v_bfe_u32 v13, v2, 23, 8
	v_cmp_gt_u32_e64 s[28:29], s47, v13
	v_sub_u32_e32 v2, 0x71, v13
	v_cmp_eq_u32_e32 vcc, 0, v13
	v_cndmask_b32_e64 v2, 0, v2, s[28:29]
	v_mov_b32_e32 v14, 0x70
	v_cndmask_b32_e32 v14, v2, v14, vcc
	v_or_b32_e32 v15, 0x800000, v0
	v_add_u32_e32 v2, 21, v14
	v_cndmask_b32_e32 v0, v15, v0, vcc
	v_lshlrev_b64 v[15:16], v2, -1
	v_add_u32_e32 v2, 20, v14
	v_bfi_b32 v15, v15, 0, v0
	v_lshlrev_b64 v[17:18], v2, 1
	v_lshrrev_b64 v[0:1], v14, v[0:1]
	v_bfi_b32 v16, v16, 0, 0
	v_cmp_eq_u64_e64 s[28:29], v[15:16], v[17:18]
	v_mov_b32_e32 v2, v1
	v_mov_b32_e32 v1, v0
	s_and_saveexec_b64 s[38:39], s[28:29]
; %bb.22128:                            ;   in Loop: Header=BB6_20708 Depth=3
	v_bfe_u32 v1, v0, 21, 1
	v_add_co_u32_e64 v1, s[28:29], v0, v1
	v_add_co_u32_e64 v1, s[28:29], -1, v1
; %bb.22129:                            ;   in Loop: Header=BB6_20708 Depth=3
	s_or_b64 exec, exec, s[38:39]
	v_add_u32_e32 v2, 0xffffff81, v13
	v_mov_b32_e32 v13, 0xffffff82
	v_cndmask_b32_e32 v2, v2, v13, vcc
	v_lshrrev_b32_e32 v13, 23, v0
	v_add3_u32 v14, v14, v2, v13
	v_add_u32_e32 v13, 14, v14
	v_and_b32_e32 v1, 0x1fffff, v1
	v_add_u32_e32 v0, v1, v0
	v_mov_b32_e32 v1, v33
	v_cmp_ne_u32_e32 vcc, 0, v13
                                        ; implicit-def: $vgpr2
	s_and_saveexec_b64 s[28:29], vcc
	s_xor_b64 s[28:29], exec, s[28:29]
; %bb.22130:                            ;   in Loop: Header=BB6_20708 Depth=3
	v_cmp_lt_u64_e32 vcc, s[88:89], v[0:1]
	v_add_u32_e32 v2, 15, v14
	v_cndmask_b32_e32 v2, v13, v2, vcc
	v_cndmask_b32_e64 v13, 0, 1, vcc
	v_lshrrev_b64 v[0:1], v13, v[0:1]
; %bb.22131:                            ;   in Loop: Header=BB6_20708 Depth=3
	s_andn2_saveexec_b64 s[28:29], s[28:29]
; %bb.22132:                            ;   in Loop: Header=BB6_20708 Depth=3
	v_bfe_u32 v2, v0, 23, 1
; %bb.22133:                            ;   in Loop: Header=BB6_20708 Depth=3
	s_or_b64 exec, exec, s[28:29]
	v_lshrrev_b64 v[0:1], 21, v[0:1]
	v_cmp_gt_i32_e32 vcc, 32, v2
	v_cndmask_b32_e32 v1, 0, v1, vcc
	v_cndmask_b32_e32 v0, 3, v0, vcc
	v_cmp_eq_u64_e64 s[28:29], 0, v[0:1]
	v_min_i32_e32 v1, 31, v2
	v_lshlrev_b32_e32 v1, 2, v1
	v_cmp_eq_u32_e32 vcc, 0, v2
	v_and_b32_e32 v1, 0xfc, v1
	v_and_or_b32 v0, v0, 3, v1
	s_and_b64 s[28:29], vcc, s[28:29]
	v_cndmask_b32_e64 v0, v0, 0, s[28:29]
	v_or_b32_e32 v0, v0, v3
	buffer_store_dword v0, off, s[0:3], s33 offset:204 ; 4-byte Folded Spill
.LBB6_22134:                            ;   in Loop: Header=BB6_20708 Depth=3
	s_or_b64 exec, exec, s[36:37]
                                        ; implicit-def: $vgpr3
.LBB6_22135:                            ;   in Loop: Header=BB6_20708 Depth=3
	s_andn2_saveexec_b64 s[28:29], s[34:35]
	s_cbranch_execz .LBB6_22137
; %bb.22136:                            ;   in Loop: Header=BB6_20708 Depth=3
	v_or_b32_e32 v0, 0x7b, v3
	buffer_store_dword v0, off, s[0:3], s33 offset:204 ; 4-byte Folded Spill
.LBB6_22137:                            ;   in Loop: Header=BB6_20708 Depth=3
	s_or_b64 exec, exec, s[28:29]
                                        ; implicit-def: $vgpr2
                                        ; implicit-def: $vgpr0_vgpr1
.LBB6_22138:                            ;   in Loop: Header=BB6_20708 Depth=3
	s_andn2_saveexec_b64 s[28:29], s[30:31]
	s_cbranch_execz .LBB6_22144
; %bb.22139:                            ;   in Loop: Header=BB6_20708 Depth=3
	v_cmp_ne_u64_e32 vcc, 0, v[0:1]
                                        ; implicit-def: $vgpr0
                                        ; kill: killed $vgpr0
	s_and_saveexec_b64 s[62:63], vcc
	s_xor_b64 vcc, exec, s[62:63]
	s_cbranch_execz .LBB6_22141
; %bb.22140:                            ;   in Loop: Header=BB6_20708 Depth=3
	v_or_b32_sdwa v0, v2, s44 dst_sel:DWORD dst_unused:UNUSED_PAD src0_sel:BYTE_3 src1_sel:DWORD
	buffer_store_dword v0, off, s[0:3], s33 offset:204 ; 4-byte Folded Spill
                                        ; implicit-def: $vgpr2
.LBB6_22141:                            ;   in Loop: Header=BB6_20708 Depth=3
	s_andn2_saveexec_b64 s[30:31], vcc
	s_cbranch_execz .LBB6_22143
; %bb.22142:                            ;   in Loop: Header=BB6_20708 Depth=3
	v_cmp_lt_i32_e32 vcc, -1, v2
	v_bfrev_b32_e32 v0, 0.5
	v_mov_b32_e32 v1, 0x7c
	v_cndmask_b32_e32 v0, v0, v1, vcc
	buffer_store_dword v0, off, s[0:3], s33 offset:204 ; 4-byte Folded Spill
.LBB6_22143:                            ;   in Loop: Header=BB6_20708 Depth=3
	s_or_b64 exec, exec, s[30:31]
.LBB6_22144:                            ;   in Loop: Header=BB6_20708 Depth=3
	s_or_b64 exec, exec, s[28:29]
	v_cmp_lt_u32_e32 vcc, s57, v8
	v_mov_b32_e32 v1, 0
	s_and_saveexec_b64 s[28:29], vcc
	s_cbranch_execz .LBB6_22152
; %bb.22145:                            ;   in Loop: Header=BB6_20708 Depth=3
	v_lshrrev_b32_e32 v0, 24, v8
	v_cmp_ne_u32_e32 vcc, s97, v0
	v_bfrev_b32_e32 v1, 1
	s_and_saveexec_b64 s[30:31], vcc
	s_cbranch_execz .LBB6_22151
; %bb.22146:                            ;   in Loop: Header=BB6_20708 Depth=3
	v_and_b32_e32 v1, 0x7c000000, v8
	v_bfe_u32 v2, v8, 24, 2
	v_cmp_ne_u32_e32 vcc, s68, v1
                                        ; implicit-def: $vgpr1
	s_and_saveexec_b64 s[62:63], vcc
	s_xor_b64 s[34:35], exec, s[62:63]
	s_cbranch_execz .LBB6_22148
; %bb.22147:                            ;   in Loop: Header=BB6_20708 Depth=3
	v_ffbh_u32_e32 v1, v2
	v_min_u32_e32 v13, 32, v1
	v_subrev_u32_e32 v1, 29, v13
	v_lshlrev_b64 v[0:1], v1, v[0:1]
	v_bfe_u32 v3, v8, 26, 5
	v_sub_u32_e32 v1, 30, v13
	v_and_b32_e32 v0, 3, v0
	v_cmp_eq_u32_e32 vcc, 0, v3
	v_cndmask_b32_e32 v1, v3, v1, vcc
	v_cndmask_b32_e32 v0, v2, v0, vcc
	v_and_b32_e32 v2, 0x80000000, v8
	v_lshl_add_u32 v1, v1, 23, v2
	v_lshl_or_b32 v0, v0, 21, v1
	v_add_u32_e32 v1, 0x38000000, v0
                                        ; implicit-def: $vgpr2
.LBB6_22148:                            ;   in Loop: Header=BB6_20708 Depth=3
	s_andn2_saveexec_b64 s[34:35], s[34:35]
; %bb.22149:                            ;   in Loop: Header=BB6_20708 Depth=3
	v_cmp_lt_i32_e32 vcc, -1, v8
	v_mov_b32_e32 v0, 0xff800000
	v_mov_b32_e32 v1, 0x7f800000
	v_cndmask_b32_e32 v0, v0, v1, vcc
	v_cmp_eq_u32_e32 vcc, 0, v2
	v_mov_b32_e32 v1, 0x7f800001
	v_cndmask_b32_e32 v1, v1, v0, vcc
; %bb.22150:                            ;   in Loop: Header=BB6_20708 Depth=3
	s_or_b64 exec, exec, s[34:35]
.LBB6_22151:                            ;   in Loop: Header=BB6_20708 Depth=3
	s_or_b64 exec, exec, s[30:31]
.LBB6_22152:                            ;   in Loop: Header=BB6_20708 Depth=3
	s_or_b64 exec, exec, s[28:29]
	v_mul_f32_e32 v2, v12, v1
	v_and_b32_e32 v13, 0x7f800000, v2
	v_mov_b32_e32 v14, v33
	v_cmp_ne_u64_e32 vcc, s[76:77], v[13:14]
	v_and_b32_e32 v0, 0x7fffff, v2
	v_mov_b32_e32 v1, v33
                                        ; implicit-def: $vgpr3
                                        ; kill: killed $vgpr3
	s_and_saveexec_b64 s[28:29], vcc
	s_xor_b64 s[30:31], exec, s[28:29]
	s_cbranch_execz .LBB6_22166
; %bb.22153:                            ;   in Loop: Header=BB6_20708 Depth=3
	v_and_b32_e32 v13, 0x7fffffff, v2
	v_mov_b32_e32 v14, v33
	v_cmp_gt_u64_e32 vcc, s[78:79], v[13:14]
	v_and_b32_sdwa v3, v2, s97 dst_sel:DWORD dst_unused:UNUSED_PAD src0_sel:BYTE_3 src1_sel:DWORD
                                        ; implicit-def: $vgpr13
                                        ; kill: killed $vgpr13
	s_and_saveexec_b64 s[28:29], vcc
	s_xor_b64 s[34:35], exec, s[28:29]
	s_cbranch_execz .LBB6_22163
; %bb.22154:                            ;   in Loop: Header=BB6_20708 Depth=3
	v_mov_b32_e32 v13, 0
	v_cmp_ne_u32_e32 vcc, 0, v2
	buffer_store_dword v13, off, s[0:3], s33 offset:220 ; 4-byte Folded Spill
	s_and_saveexec_b64 s[36:37], vcc
	s_cbranch_execz .LBB6_22162
; %bb.22155:                            ;   in Loop: Header=BB6_20708 Depth=3
	v_bfe_u32 v13, v2, 23, 8
	v_cmp_gt_u32_e64 s[28:29], s47, v13
	v_sub_u32_e32 v2, 0x71, v13
	v_cmp_eq_u32_e32 vcc, 0, v13
	v_cndmask_b32_e64 v2, 0, v2, s[28:29]
	v_mov_b32_e32 v14, 0x70
	v_cndmask_b32_e32 v14, v2, v14, vcc
	v_or_b32_e32 v15, 0x800000, v0
	v_add_u32_e32 v2, 21, v14
	v_cndmask_b32_e32 v0, v15, v0, vcc
	v_lshlrev_b64 v[15:16], v2, -1
	v_add_u32_e32 v2, 20, v14
	v_bfi_b32 v15, v15, 0, v0
	v_lshlrev_b64 v[17:18], v2, 1
	v_lshrrev_b64 v[0:1], v14, v[0:1]
	v_bfi_b32 v16, v16, 0, 0
	v_cmp_eq_u64_e64 s[28:29], v[15:16], v[17:18]
	v_mov_b32_e32 v2, v1
	v_mov_b32_e32 v1, v0
	s_and_saveexec_b64 s[38:39], s[28:29]
; %bb.22156:                            ;   in Loop: Header=BB6_20708 Depth=3
	v_bfe_u32 v1, v0, 21, 1
	v_add_co_u32_e64 v1, s[28:29], v0, v1
	v_add_co_u32_e64 v1, s[28:29], -1, v1
; %bb.22157:                            ;   in Loop: Header=BB6_20708 Depth=3
	s_or_b64 exec, exec, s[38:39]
	v_add_u32_e32 v2, 0xffffff81, v13
	v_mov_b32_e32 v13, 0xffffff82
	v_cndmask_b32_e32 v2, v2, v13, vcc
	v_lshrrev_b32_e32 v13, 23, v0
	v_add3_u32 v14, v14, v2, v13
	v_add_u32_e32 v13, 14, v14
	v_and_b32_e32 v1, 0x1fffff, v1
	v_add_u32_e32 v0, v1, v0
	v_mov_b32_e32 v1, v33
	v_cmp_ne_u32_e32 vcc, 0, v13
                                        ; implicit-def: $vgpr2
	s_and_saveexec_b64 s[28:29], vcc
	s_xor_b64 s[28:29], exec, s[28:29]
; %bb.22158:                            ;   in Loop: Header=BB6_20708 Depth=3
	v_cmp_lt_u64_e32 vcc, s[88:89], v[0:1]
	v_add_u32_e32 v2, 15, v14
	v_cndmask_b32_e32 v2, v13, v2, vcc
	v_cndmask_b32_e64 v13, 0, 1, vcc
	v_lshrrev_b64 v[0:1], v13, v[0:1]
; %bb.22159:                            ;   in Loop: Header=BB6_20708 Depth=3
	s_andn2_saveexec_b64 s[28:29], s[28:29]
; %bb.22160:                            ;   in Loop: Header=BB6_20708 Depth=3
	v_bfe_u32 v2, v0, 23, 1
; %bb.22161:                            ;   in Loop: Header=BB6_20708 Depth=3
	s_or_b64 exec, exec, s[28:29]
	v_lshrrev_b64 v[0:1], 21, v[0:1]
	v_cmp_gt_i32_e32 vcc, 32, v2
	v_cndmask_b32_e32 v1, 0, v1, vcc
	v_cndmask_b32_e32 v0, 3, v0, vcc
	v_cmp_eq_u64_e64 s[28:29], 0, v[0:1]
	v_min_i32_e32 v1, 31, v2
	v_lshlrev_b32_e32 v1, 2, v1
	v_cmp_eq_u32_e32 vcc, 0, v2
	v_and_b32_e32 v1, 0xfc, v1
	v_and_or_b32 v0, v0, 3, v1
	s_and_b64 s[28:29], vcc, s[28:29]
	v_cndmask_b32_e64 v0, v0, 0, s[28:29]
	v_or_b32_e32 v0, v0, v3
	buffer_store_dword v0, off, s[0:3], s33 offset:220 ; 4-byte Folded Spill
.LBB6_22162:                            ;   in Loop: Header=BB6_20708 Depth=3
	s_or_b64 exec, exec, s[36:37]
                                        ; implicit-def: $vgpr3
.LBB6_22163:                            ;   in Loop: Header=BB6_20708 Depth=3
	s_andn2_saveexec_b64 s[28:29], s[34:35]
	s_cbranch_execz .LBB6_22165
; %bb.22164:                            ;   in Loop: Header=BB6_20708 Depth=3
	v_or_b32_e32 v0, 0x7b, v3
	buffer_store_dword v0, off, s[0:3], s33 offset:220 ; 4-byte Folded Spill
.LBB6_22165:                            ;   in Loop: Header=BB6_20708 Depth=3
	s_or_b64 exec, exec, s[28:29]
                                        ; implicit-def: $vgpr2
                                        ; implicit-def: $vgpr0_vgpr1
.LBB6_22166:                            ;   in Loop: Header=BB6_20708 Depth=3
	s_andn2_saveexec_b64 s[28:29], s[30:31]
	s_cbranch_execz .LBB6_22172
; %bb.22167:                            ;   in Loop: Header=BB6_20708 Depth=3
	v_cmp_ne_u64_e32 vcc, 0, v[0:1]
                                        ; implicit-def: $vgpr0
                                        ; kill: killed $vgpr0
	s_and_saveexec_b64 s[62:63], vcc
	s_xor_b64 vcc, exec, s[62:63]
	s_cbranch_execz .LBB6_22169
; %bb.22168:                            ;   in Loop: Header=BB6_20708 Depth=3
	v_or_b32_sdwa v0, v2, s44 dst_sel:DWORD dst_unused:UNUSED_PAD src0_sel:BYTE_3 src1_sel:DWORD
	buffer_store_dword v0, off, s[0:3], s33 offset:220 ; 4-byte Folded Spill
                                        ; implicit-def: $vgpr2
.LBB6_22169:                            ;   in Loop: Header=BB6_20708 Depth=3
	s_andn2_saveexec_b64 s[30:31], vcc
	s_cbranch_execz .LBB6_22171
; %bb.22170:                            ;   in Loop: Header=BB6_20708 Depth=3
	v_cmp_lt_i32_e32 vcc, -1, v2
	v_bfrev_b32_e32 v0, 0.5
	v_mov_b32_e32 v1, 0x7c
	v_cndmask_b32_e32 v0, v0, v1, vcc
	buffer_store_dword v0, off, s[0:3], s33 offset:220 ; 4-byte Folded Spill
.LBB6_22171:                            ;   in Loop: Header=BB6_20708 Depth=3
	s_or_b64 exec, exec, s[30:31]
.LBB6_22172:                            ;   in Loop: Header=BB6_20708 Depth=3
	s_or_b64 exec, exec, s[28:29]
	v_mov_b32_e32 v0, v9
	v_mov_b32_e32 v1, v33
	v_cmp_ne_u16_sdwa s[62:63], v9, v33 src0_sel:BYTE_0 src1_sel:DWORD
	v_mov_b32_e32 v2, 0
	s_and_saveexec_b64 s[28:29], s[62:63]
	s_cbranch_execz .LBB6_22180
; %bb.22173:                            ;   in Loop: Header=BB6_20708 Depth=3
	v_cmp_ne_u16_sdwa s[62:63], v9, s97 src0_sel:BYTE_0 src1_sel:DWORD
	v_bfrev_b32_e32 v2, 1
	s_and_saveexec_b64 s[30:31], s[62:63]
	s_cbranch_execz .LBB6_22179
; %bb.22174:                            ;   in Loop: Header=BB6_20708 Depth=3
	v_and_b32_e32 v2, 0x7c, v9
	v_and_b32_e32 v3, 3, v9
	v_cmp_ne_u32_e32 vcc, s86, v2
                                        ; implicit-def: $vgpr2
	s_and_saveexec_b64 s[62:63], vcc
	s_xor_b64 s[34:35], exec, s[62:63]
	s_cbranch_execz .LBB6_22176
; %bb.22175:                            ;   in Loop: Header=BB6_20708 Depth=3
	v_ffbh_u32_e32 v2, v3
	v_min_u32_e32 v14, 32, v2
	v_subrev_u32_e32 v2, 29, v14
	v_lshlrev_b64 v[1:2], v2, v[0:1]
	v_bfe_u32 v13, v9, 2, 5
	v_and_b32_e32 v1, 3, v1
	v_cmp_eq_u32_e32 vcc, 0, v13
	v_sub_u32_e32 v2, 30, v14
	v_cndmask_b32_e32 v1, v3, v1, vcc
	v_lshlrev_b32_e32 v3, 24, v9
	v_cndmask_b32_e32 v2, v13, v2, vcc
	v_and_b32_e32 v3, 0x80000000, v3
	v_lshl_add_u32 v2, v2, 23, v3
	v_lshl_or_b32 v1, v1, 21, v2
	v_add_u32_e32 v2, 0x38000000, v1
                                        ; implicit-def: $vgpr3
.LBB6_22176:                            ;   in Loop: Header=BB6_20708 Depth=3
	s_andn2_saveexec_b64 s[34:35], s[34:35]
; %bb.22177:                            ;   in Loop: Header=BB6_20708 Depth=3
	v_mov_b32_e32 v1, -1
	v_cmp_gt_i16_sdwa vcc, sext(v9), v1 src0_sel:BYTE_0 src1_sel:DWORD
	v_mov_b32_e32 v1, 0xff800000
	v_mov_b32_e32 v2, 0x7f800000
	v_cndmask_b32_e32 v1, v1, v2, vcc
	v_cmp_eq_u32_e32 vcc, 0, v3
	v_mov_b32_e32 v2, 0x7f800001
	v_cndmask_b32_e32 v2, v2, v1, vcc
; %bb.22178:                            ;   in Loop: Header=BB6_20708 Depth=3
	s_or_b64 exec, exec, s[34:35]
.LBB6_22179:                            ;   in Loop: Header=BB6_20708 Depth=3
	s_or_b64 exec, exec, s[30:31]
.LBB6_22180:                            ;   in Loop: Header=BB6_20708 Depth=3
	s_or_b64 exec, exec, s[28:29]
	v_mul_f32_e32 v3, v12, v2
	v_and_b32_e32 v13, 0x7f800000, v3
	v_mov_b32_e32 v14, v33
	v_cmp_ne_u64_e32 vcc, s[76:77], v[13:14]
	v_and_b32_e32 v1, 0x7fffff, v3
	v_mov_b32_e32 v2, v33
                                        ; implicit-def: $vgpr31
	s_and_saveexec_b64 s[28:29], vcc
	s_xor_b64 s[30:31], exec, s[28:29]
	s_cbranch_execz .LBB6_22194
; %bb.22181:                            ;   in Loop: Header=BB6_20708 Depth=3
	v_and_b32_e32 v13, 0x7fffffff, v3
	v_mov_b32_e32 v14, v33
	v_cmp_gt_u64_e32 vcc, s[78:79], v[13:14]
	v_and_b32_sdwa v13, v3, s97 dst_sel:DWORD dst_unused:UNUSED_PAD src0_sel:BYTE_3 src1_sel:DWORD
                                        ; implicit-def: $vgpr31
	s_and_saveexec_b64 s[28:29], vcc
	s_xor_b64 s[34:35], exec, s[28:29]
	s_cbranch_execz .LBB6_22191
; %bb.22182:                            ;   in Loop: Header=BB6_20708 Depth=3
	v_mov_b32_e32 v31, 0
	v_cmp_ne_u32_e32 vcc, 0, v3
	s_and_saveexec_b64 s[36:37], vcc
	s_cbranch_execz .LBB6_22190
; %bb.22183:                            ;   in Loop: Header=BB6_20708 Depth=3
	v_bfe_u32 v14, v3, 23, 8
	v_cmp_gt_u32_e64 s[28:29], s47, v14
	v_sub_u32_e32 v3, 0x71, v14
	v_cmp_eq_u32_e32 vcc, 0, v14
	v_cndmask_b32_e64 v3, 0, v3, s[28:29]
	v_mov_b32_e32 v15, 0x70
	v_cndmask_b32_e32 v15, v3, v15, vcc
	v_or_b32_e32 v16, 0x800000, v1
	v_add_u32_e32 v3, 21, v15
	v_cndmask_b32_e32 v1, v16, v1, vcc
	v_lshlrev_b64 v[16:17], v3, -1
	v_add_u32_e32 v3, 20, v15
	v_bfi_b32 v16, v16, 0, v1
	v_lshlrev_b64 v[18:19], v3, 1
	v_lshrrev_b64 v[1:2], v15, v[1:2]
	v_bfi_b32 v17, v17, 0, 0
	v_cmp_eq_u64_e64 s[28:29], v[16:17], v[18:19]
	v_mov_b32_e32 v3, v2
	v_mov_b32_e32 v2, v1
	s_and_saveexec_b64 s[38:39], s[28:29]
; %bb.22184:                            ;   in Loop: Header=BB6_20708 Depth=3
	v_bfe_u32 v2, v1, 21, 1
	v_add_co_u32_e64 v2, s[28:29], v1, v2
	v_add_co_u32_e64 v2, s[28:29], -1, v2
; %bb.22185:                            ;   in Loop: Header=BB6_20708 Depth=3
	s_or_b64 exec, exec, s[38:39]
	v_add_u32_e32 v3, 0xffffff81, v14
	v_mov_b32_e32 v14, 0xffffff82
	v_cndmask_b32_e32 v3, v3, v14, vcc
	v_lshrrev_b32_e32 v14, 23, v1
	v_add3_u32 v15, v15, v3, v14
	v_add_u32_e32 v14, 14, v15
	v_and_b32_e32 v2, 0x1fffff, v2
	v_add_u32_e32 v1, v2, v1
	v_mov_b32_e32 v2, v33
	v_cmp_ne_u32_e32 vcc, 0, v14
                                        ; implicit-def: $vgpr3
	s_and_saveexec_b64 s[28:29], vcc
	s_xor_b64 s[28:29], exec, s[28:29]
; %bb.22186:                            ;   in Loop: Header=BB6_20708 Depth=3
	v_cmp_lt_u64_e32 vcc, s[88:89], v[1:2]
	v_add_u32_e32 v3, 15, v15
	v_cndmask_b32_e32 v3, v14, v3, vcc
	v_cndmask_b32_e64 v14, 0, 1, vcc
	v_lshrrev_b64 v[1:2], v14, v[1:2]
; %bb.22187:                            ;   in Loop: Header=BB6_20708 Depth=3
	s_andn2_saveexec_b64 s[28:29], s[28:29]
; %bb.22188:                            ;   in Loop: Header=BB6_20708 Depth=3
	v_bfe_u32 v3, v1, 23, 1
; %bb.22189:                            ;   in Loop: Header=BB6_20708 Depth=3
	s_or_b64 exec, exec, s[28:29]
	v_lshrrev_b64 v[1:2], 21, v[1:2]
	v_cmp_gt_i32_e32 vcc, 32, v3
	v_cndmask_b32_e32 v2, 0, v2, vcc
	v_cndmask_b32_e32 v1, 3, v1, vcc
	v_cmp_eq_u64_e64 s[28:29], 0, v[1:2]
	v_min_i32_e32 v2, 31, v3
	v_lshlrev_b32_e32 v2, 2, v2
	v_cmp_eq_u32_e32 vcc, 0, v3
	v_and_b32_e32 v2, 0xfc, v2
	v_and_or_b32 v1, v1, 3, v2
	s_and_b64 s[28:29], vcc, s[28:29]
	v_cndmask_b32_e64 v1, v1, 0, s[28:29]
	v_or_b32_e32 v31, v1, v13
.LBB6_22190:                            ;   in Loop: Header=BB6_20708 Depth=3
	s_or_b64 exec, exec, s[36:37]
                                        ; implicit-def: $vgpr13
.LBB6_22191:                            ;   in Loop: Header=BB6_20708 Depth=3
	s_andn2_saveexec_b64 s[28:29], s[34:35]
; %bb.22192:                            ;   in Loop: Header=BB6_20708 Depth=3
	v_or_b32_e32 v31, 0x7b, v13
; %bb.22193:                            ;   in Loop: Header=BB6_20708 Depth=3
	s_or_b64 exec, exec, s[28:29]
                                        ; implicit-def: $vgpr3
                                        ; implicit-def: $vgpr1_vgpr2
.LBB6_22194:                            ;   in Loop: Header=BB6_20708 Depth=3
	s_andn2_saveexec_b64 s[28:29], s[30:31]
	s_cbranch_execz .LBB6_22200
; %bb.22195:                            ;   in Loop: Header=BB6_20708 Depth=3
	v_cmp_ne_u64_e32 vcc, 0, v[1:2]
                                        ; implicit-def: $vgpr31
	s_and_saveexec_b64 s[62:63], vcc
	s_xor_b64 vcc, exec, s[62:63]
; %bb.22196:                            ;   in Loop: Header=BB6_20708 Depth=3
	v_or_b32_sdwa v31, v3, s44 dst_sel:DWORD dst_unused:UNUSED_PAD src0_sel:BYTE_3 src1_sel:DWORD
                                        ; implicit-def: $vgpr3
; %bb.22197:                            ;   in Loop: Header=BB6_20708 Depth=3
	s_andn2_saveexec_b64 s[30:31], vcc
; %bb.22198:                            ;   in Loop: Header=BB6_20708 Depth=3
	v_cmp_lt_i32_e32 vcc, -1, v3
	v_bfrev_b32_e32 v1, 0.5
	v_mov_b32_e32 v2, 0x7c
	v_cndmask_b32_e32 v31, v1, v2, vcc
; %bb.22199:                            ;   in Loop: Header=BB6_20708 Depth=3
	s_or_b64 exec, exec, s[30:31]
.LBB6_22200:                            ;   in Loop: Header=BB6_20708 Depth=3
	s_or_b64 exec, exec, s[28:29]
	v_lshrrev_b16_e32 v1, 8, v0
	v_cmp_ne_u16_e32 vcc, 0, v1
	v_mov_b32_e32 v2, 0
	s_and_saveexec_b64 s[28:29], vcc
	s_cbranch_execz .LBB6_22208
; %bb.22201:                            ;   in Loop: Header=BB6_20708 Depth=3
	v_cmp_ne_u16_e32 vcc, s97, v1
	v_bfrev_b32_e32 v2, 1
	s_and_saveexec_b64 s[30:31], vcc
	s_cbranch_execz .LBB6_22207
; %bb.22202:                            ;   in Loop: Header=BB6_20708 Depth=3
	v_and_b32_e32 v2, 0x7c, v1
	v_and_b32_e32 v3, 3, v1
	v_cmp_ne_u32_e32 vcc, s86, v2
                                        ; implicit-def: $vgpr2
	s_and_saveexec_b64 s[62:63], vcc
	s_xor_b64 s[34:35], exec, s[62:63]
	s_cbranch_execz .LBB6_22204
; %bb.22203:                            ;   in Loop: Header=BB6_20708 Depth=3
	v_ffbh_u32_e32 v14, v3
	v_min_u32_e32 v14, 32, v14
	v_mov_b32_e32 v2, v33
	v_subrev_u32_e32 v15, 29, v14
	v_bfe_u32 v13, v1, 2, 5
	v_lshlrev_b64 v[1:2], v15, v[1:2]
	v_sub_u32_e32 v2, 30, v14
	v_cmp_eq_u32_e32 vcc, 0, v13
	v_lshlrev_b32_e32 v0, 16, v0
	v_and_b32_e32 v1, 3, v1
	v_cndmask_b32_e32 v2, v13, v2, vcc
	v_and_b32_e32 v0, 0x80000000, v0
	v_cndmask_b32_e32 v1, v3, v1, vcc
	v_lshl_add_u32 v0, v2, 23, v0
	v_lshl_or_b32 v0, v1, 21, v0
	v_add_u32_e32 v2, 0x38000000, v0
                                        ; implicit-def: $vgpr3
                                        ; implicit-def: $vgpr0_vgpr1
.LBB6_22204:                            ;   in Loop: Header=BB6_20708 Depth=3
	s_andn2_saveexec_b64 s[34:35], s[34:35]
; %bb.22205:                            ;   in Loop: Header=BB6_20708 Depth=3
	v_cmp_lt_i16_e32 vcc, -1, v0
	v_mov_b32_e32 v0, 0xff800000
	v_mov_b32_e32 v1, 0x7f800000
	v_cndmask_b32_e32 v0, v0, v1, vcc
	v_cmp_eq_u32_e32 vcc, 0, v3
	v_mov_b32_e32 v1, 0x7f800001
	v_cndmask_b32_e32 v2, v1, v0, vcc
; %bb.22206:                            ;   in Loop: Header=BB6_20708 Depth=3
	s_or_b64 exec, exec, s[34:35]
.LBB6_22207:                            ;   in Loop: Header=BB6_20708 Depth=3
	s_or_b64 exec, exec, s[30:31]
.LBB6_22208:                            ;   in Loop: Header=BB6_20708 Depth=3
	s_or_b64 exec, exec, s[28:29]
	v_mul_f32_e32 v2, v12, v2
	v_and_b32_e32 v13, 0x7f800000, v2
	v_mov_b32_e32 v14, v33
	v_cmp_ne_u64_e32 vcc, s[76:77], v[13:14]
	v_and_b32_e32 v0, 0x7fffff, v2
	v_mov_b32_e32 v1, v33
                                        ; implicit-def: $vgpr3
                                        ; kill: killed $vgpr3
	s_and_saveexec_b64 s[28:29], vcc
	s_xor_b64 s[30:31], exec, s[28:29]
	s_cbranch_execz .LBB6_22222
; %bb.22209:                            ;   in Loop: Header=BB6_20708 Depth=3
	v_and_b32_e32 v13, 0x7fffffff, v2
	v_mov_b32_e32 v14, v33
	v_cmp_gt_u64_e32 vcc, s[78:79], v[13:14]
	v_and_b32_sdwa v3, v2, s97 dst_sel:DWORD dst_unused:UNUSED_PAD src0_sel:BYTE_3 src1_sel:DWORD
                                        ; implicit-def: $vgpr13
                                        ; kill: killed $vgpr13
	s_and_saveexec_b64 s[28:29], vcc
	s_xor_b64 s[34:35], exec, s[28:29]
	s_cbranch_execz .LBB6_22219
; %bb.22210:                            ;   in Loop: Header=BB6_20708 Depth=3
	v_mov_b32_e32 v13, 0
	v_cmp_ne_u32_e32 vcc, 0, v2
	buffer_store_dword v13, off, s[0:3], s33 offset:156 ; 4-byte Folded Spill
	s_and_saveexec_b64 s[36:37], vcc
	s_cbranch_execz .LBB6_22218
; %bb.22211:                            ;   in Loop: Header=BB6_20708 Depth=3
	v_bfe_u32 v13, v2, 23, 8
	v_cmp_gt_u32_e64 s[28:29], s47, v13
	v_sub_u32_e32 v2, 0x71, v13
	v_cmp_eq_u32_e32 vcc, 0, v13
	v_cndmask_b32_e64 v2, 0, v2, s[28:29]
	v_mov_b32_e32 v14, 0x70
	v_cndmask_b32_e32 v14, v2, v14, vcc
	v_or_b32_e32 v15, 0x800000, v0
	v_add_u32_e32 v2, 21, v14
	v_cndmask_b32_e32 v0, v15, v0, vcc
	v_lshlrev_b64 v[15:16], v2, -1
	v_add_u32_e32 v2, 20, v14
	v_bfi_b32 v15, v15, 0, v0
	v_lshlrev_b64 v[17:18], v2, 1
	v_lshrrev_b64 v[0:1], v14, v[0:1]
	v_bfi_b32 v16, v16, 0, 0
	v_cmp_eq_u64_e64 s[28:29], v[15:16], v[17:18]
	v_mov_b32_e32 v2, v1
	v_mov_b32_e32 v1, v0
	s_and_saveexec_b64 s[38:39], s[28:29]
; %bb.22212:                            ;   in Loop: Header=BB6_20708 Depth=3
	v_bfe_u32 v1, v0, 21, 1
	v_add_co_u32_e64 v1, s[28:29], v0, v1
	v_add_co_u32_e64 v1, s[28:29], -1, v1
; %bb.22213:                            ;   in Loop: Header=BB6_20708 Depth=3
	s_or_b64 exec, exec, s[38:39]
	v_add_u32_e32 v2, 0xffffff81, v13
	v_mov_b32_e32 v13, 0xffffff82
	v_cndmask_b32_e32 v2, v2, v13, vcc
	v_lshrrev_b32_e32 v13, 23, v0
	v_add3_u32 v14, v14, v2, v13
	v_add_u32_e32 v13, 14, v14
	v_and_b32_e32 v1, 0x1fffff, v1
	v_add_u32_e32 v0, v1, v0
	v_mov_b32_e32 v1, v33
	v_cmp_ne_u32_e32 vcc, 0, v13
                                        ; implicit-def: $vgpr2
	s_and_saveexec_b64 s[28:29], vcc
	s_xor_b64 s[28:29], exec, s[28:29]
; %bb.22214:                            ;   in Loop: Header=BB6_20708 Depth=3
	v_cmp_lt_u64_e32 vcc, s[88:89], v[0:1]
	v_add_u32_e32 v2, 15, v14
	v_cndmask_b32_e32 v2, v13, v2, vcc
	v_cndmask_b32_e64 v13, 0, 1, vcc
	v_lshrrev_b64 v[0:1], v13, v[0:1]
; %bb.22215:                            ;   in Loop: Header=BB6_20708 Depth=3
	s_andn2_saveexec_b64 s[28:29], s[28:29]
; %bb.22216:                            ;   in Loop: Header=BB6_20708 Depth=3
	v_bfe_u32 v2, v0, 23, 1
; %bb.22217:                            ;   in Loop: Header=BB6_20708 Depth=3
	s_or_b64 exec, exec, s[28:29]
	v_lshrrev_b64 v[0:1], 21, v[0:1]
	v_cmp_gt_i32_e32 vcc, 32, v2
	v_cndmask_b32_e32 v1, 0, v1, vcc
	v_cndmask_b32_e32 v0, 3, v0, vcc
	v_cmp_eq_u64_e64 s[28:29], 0, v[0:1]
	v_min_i32_e32 v1, 31, v2
	v_lshlrev_b32_e32 v1, 2, v1
	v_cmp_eq_u32_e32 vcc, 0, v2
	v_and_b32_e32 v1, 0xfc, v1
	v_and_or_b32 v0, v0, 3, v1
	s_and_b64 s[28:29], vcc, s[28:29]
	v_cndmask_b32_e64 v0, v0, 0, s[28:29]
	v_or_b32_e32 v0, v0, v3
	buffer_store_dword v0, off, s[0:3], s33 offset:156 ; 4-byte Folded Spill
.LBB6_22218:                            ;   in Loop: Header=BB6_20708 Depth=3
	s_or_b64 exec, exec, s[36:37]
                                        ; implicit-def: $vgpr3
.LBB6_22219:                            ;   in Loop: Header=BB6_20708 Depth=3
	s_andn2_saveexec_b64 s[28:29], s[34:35]
	s_cbranch_execz .LBB6_22221
; %bb.22220:                            ;   in Loop: Header=BB6_20708 Depth=3
	v_or_b32_e32 v0, 0x7b, v3
	buffer_store_dword v0, off, s[0:3], s33 offset:156 ; 4-byte Folded Spill
.LBB6_22221:                            ;   in Loop: Header=BB6_20708 Depth=3
	s_or_b64 exec, exec, s[28:29]
                                        ; implicit-def: $vgpr2
                                        ; implicit-def: $vgpr0_vgpr1
.LBB6_22222:                            ;   in Loop: Header=BB6_20708 Depth=3
	s_andn2_saveexec_b64 s[28:29], s[30:31]
	s_cbranch_execz .LBB6_22228
; %bb.22223:                            ;   in Loop: Header=BB6_20708 Depth=3
	v_cmp_ne_u64_e32 vcc, 0, v[0:1]
                                        ; implicit-def: $vgpr0
                                        ; kill: killed $vgpr0
	s_and_saveexec_b64 s[62:63], vcc
	s_xor_b64 vcc, exec, s[62:63]
	s_cbranch_execz .LBB6_22225
; %bb.22224:                            ;   in Loop: Header=BB6_20708 Depth=3
	v_or_b32_sdwa v0, v2, s44 dst_sel:DWORD dst_unused:UNUSED_PAD src0_sel:BYTE_3 src1_sel:DWORD
	buffer_store_dword v0, off, s[0:3], s33 offset:156 ; 4-byte Folded Spill
                                        ; implicit-def: $vgpr2
.LBB6_22225:                            ;   in Loop: Header=BB6_20708 Depth=3
	s_andn2_saveexec_b64 s[30:31], vcc
	s_cbranch_execz .LBB6_22227
; %bb.22226:                            ;   in Loop: Header=BB6_20708 Depth=3
	v_cmp_lt_i32_e32 vcc, -1, v2
	v_bfrev_b32_e32 v0, 0.5
	v_mov_b32_e32 v1, 0x7c
	v_cndmask_b32_e32 v0, v0, v1, vcc
	buffer_store_dword v0, off, s[0:3], s33 offset:156 ; 4-byte Folded Spill
.LBB6_22227:                            ;   in Loop: Header=BB6_20708 Depth=3
	s_or_b64 exec, exec, s[30:31]
.LBB6_22228:                            ;   in Loop: Header=BB6_20708 Depth=3
	s_or_b64 exec, exec, s[28:29]
	v_lshrrev_b32_e32 v0, 16, v9
	v_cmp_ne_u16_sdwa s[62:63], v0, v33 src0_sel:BYTE_0 src1_sel:DWORD
	v_mov_b32_e32 v1, 0
	s_and_saveexec_b64 s[28:29], s[62:63]
	s_cbranch_execz .LBB6_22236
; %bb.22229:                            ;   in Loop: Header=BB6_20708 Depth=3
	v_cmp_ne_u16_sdwa s[62:63], v0, s97 src0_sel:BYTE_0 src1_sel:DWORD
	v_bfrev_b32_e32 v1, 1
	s_and_saveexec_b64 s[30:31], s[62:63]
	s_cbranch_execz .LBB6_22235
; %bb.22230:                            ;   in Loop: Header=BB6_20708 Depth=3
	v_and_b32_e32 v1, 0x7c0000, v9
	v_bfe_u32 v2, v9, 16, 2
	v_cmp_ne_u32_e32 vcc, s45, v1
                                        ; implicit-def: $vgpr1
	s_and_saveexec_b64 s[62:63], vcc
	s_xor_b64 s[34:35], exec, s[62:63]
	s_cbranch_execz .LBB6_22232
; %bb.22231:                            ;   in Loop: Header=BB6_20708 Depth=3
	v_ffbh_u32_e32 v1, v2
	v_min_u32_e32 v13, 32, v1
	v_subrev_u32_e32 v1, 29, v13
	v_lshlrev_b64 v[0:1], v1, v[0:1]
	v_bfe_u32 v3, v9, 18, 5
	v_and_b32_e32 v0, 3, v0
	v_cmp_eq_u32_e32 vcc, 0, v3
	v_sub_u32_e32 v1, 30, v13
	v_cndmask_b32_e32 v0, v2, v0, vcc
	v_lshlrev_b32_e32 v2, 8, v9
	v_cndmask_b32_e32 v1, v3, v1, vcc
	v_and_b32_e32 v2, 0x80000000, v2
	v_lshl_add_u32 v1, v1, 23, v2
	v_lshl_or_b32 v0, v0, 21, v1
	v_add_u32_e32 v1, 0x38000000, v0
                                        ; implicit-def: $vgpr2
                                        ; implicit-def: $vgpr0
.LBB6_22232:                            ;   in Loop: Header=BB6_20708 Depth=3
	s_andn2_saveexec_b64 s[34:35], s[34:35]
; %bb.22233:                            ;   in Loop: Header=BB6_20708 Depth=3
	v_mov_b32_e32 v1, -1
	v_cmp_gt_i16_sdwa vcc, sext(v0), v1 src0_sel:BYTE_0 src1_sel:DWORD
	v_mov_b32_e32 v0, 0xff800000
	v_mov_b32_e32 v1, 0x7f800000
	v_cndmask_b32_e32 v0, v0, v1, vcc
	v_cmp_eq_u32_e32 vcc, 0, v2
	v_mov_b32_e32 v1, 0x7f800001
	v_cndmask_b32_e32 v1, v1, v0, vcc
; %bb.22234:                            ;   in Loop: Header=BB6_20708 Depth=3
	s_or_b64 exec, exec, s[34:35]
.LBB6_22235:                            ;   in Loop: Header=BB6_20708 Depth=3
	s_or_b64 exec, exec, s[30:31]
.LBB6_22236:                            ;   in Loop: Header=BB6_20708 Depth=3
	s_or_b64 exec, exec, s[28:29]
	v_mul_f32_e32 v2, v12, v1
	v_and_b32_e32 v13, 0x7f800000, v2
	v_mov_b32_e32 v14, v33
	v_cmp_ne_u64_e32 vcc, s[76:77], v[13:14]
	v_and_b32_e32 v0, 0x7fffff, v2
	v_mov_b32_e32 v1, v33
                                        ; implicit-def: $vgpr3
                                        ; kill: killed $vgpr3
	s_and_saveexec_b64 s[28:29], vcc
	s_xor_b64 s[30:31], exec, s[28:29]
	s_cbranch_execz .LBB6_22250
; %bb.22237:                            ;   in Loop: Header=BB6_20708 Depth=3
	v_and_b32_e32 v13, 0x7fffffff, v2
	v_mov_b32_e32 v14, v33
	v_cmp_gt_u64_e32 vcc, s[78:79], v[13:14]
	v_and_b32_sdwa v3, v2, s97 dst_sel:DWORD dst_unused:UNUSED_PAD src0_sel:BYTE_3 src1_sel:DWORD
                                        ; implicit-def: $vgpr13
                                        ; kill: killed $vgpr13
	s_and_saveexec_b64 s[28:29], vcc
	s_xor_b64 s[34:35], exec, s[28:29]
	s_cbranch_execz .LBB6_22247
; %bb.22238:                            ;   in Loop: Header=BB6_20708 Depth=3
	v_mov_b32_e32 v13, 0
	v_cmp_ne_u32_e32 vcc, 0, v2
	buffer_store_dword v13, off, s[0:3], s33 offset:172 ; 4-byte Folded Spill
	s_and_saveexec_b64 s[36:37], vcc
	s_cbranch_execz .LBB6_22246
; %bb.22239:                            ;   in Loop: Header=BB6_20708 Depth=3
	v_bfe_u32 v13, v2, 23, 8
	v_cmp_gt_u32_e64 s[28:29], s47, v13
	v_sub_u32_e32 v2, 0x71, v13
	v_cmp_eq_u32_e32 vcc, 0, v13
	v_cndmask_b32_e64 v2, 0, v2, s[28:29]
	v_mov_b32_e32 v14, 0x70
	v_cndmask_b32_e32 v14, v2, v14, vcc
	v_or_b32_e32 v15, 0x800000, v0
	v_add_u32_e32 v2, 21, v14
	v_cndmask_b32_e32 v0, v15, v0, vcc
	v_lshlrev_b64 v[15:16], v2, -1
	v_add_u32_e32 v2, 20, v14
	v_bfi_b32 v15, v15, 0, v0
	v_lshlrev_b64 v[17:18], v2, 1
	v_lshrrev_b64 v[0:1], v14, v[0:1]
	v_bfi_b32 v16, v16, 0, 0
	v_cmp_eq_u64_e64 s[28:29], v[15:16], v[17:18]
	v_mov_b32_e32 v2, v1
	v_mov_b32_e32 v1, v0
	s_and_saveexec_b64 s[38:39], s[28:29]
; %bb.22240:                            ;   in Loop: Header=BB6_20708 Depth=3
	v_bfe_u32 v1, v0, 21, 1
	v_add_co_u32_e64 v1, s[28:29], v0, v1
	v_add_co_u32_e64 v1, s[28:29], -1, v1
; %bb.22241:                            ;   in Loop: Header=BB6_20708 Depth=3
	s_or_b64 exec, exec, s[38:39]
	v_add_u32_e32 v2, 0xffffff81, v13
	v_mov_b32_e32 v13, 0xffffff82
	v_cndmask_b32_e32 v2, v2, v13, vcc
	v_lshrrev_b32_e32 v13, 23, v0
	v_add3_u32 v14, v14, v2, v13
	v_add_u32_e32 v13, 14, v14
	v_and_b32_e32 v1, 0x1fffff, v1
	v_add_u32_e32 v0, v1, v0
	v_mov_b32_e32 v1, v33
	v_cmp_ne_u32_e32 vcc, 0, v13
                                        ; implicit-def: $vgpr2
	s_and_saveexec_b64 s[28:29], vcc
	s_xor_b64 s[28:29], exec, s[28:29]
; %bb.22242:                            ;   in Loop: Header=BB6_20708 Depth=3
	v_cmp_lt_u64_e32 vcc, s[88:89], v[0:1]
	v_add_u32_e32 v2, 15, v14
	v_cndmask_b32_e32 v2, v13, v2, vcc
	v_cndmask_b32_e64 v13, 0, 1, vcc
	v_lshrrev_b64 v[0:1], v13, v[0:1]
; %bb.22243:                            ;   in Loop: Header=BB6_20708 Depth=3
	s_andn2_saveexec_b64 s[28:29], s[28:29]
; %bb.22244:                            ;   in Loop: Header=BB6_20708 Depth=3
	v_bfe_u32 v2, v0, 23, 1
; %bb.22245:                            ;   in Loop: Header=BB6_20708 Depth=3
	s_or_b64 exec, exec, s[28:29]
	v_lshrrev_b64 v[0:1], 21, v[0:1]
	v_cmp_gt_i32_e32 vcc, 32, v2
	v_cndmask_b32_e32 v1, 0, v1, vcc
	v_cndmask_b32_e32 v0, 3, v0, vcc
	v_cmp_eq_u64_e64 s[28:29], 0, v[0:1]
	v_min_i32_e32 v1, 31, v2
	v_lshlrev_b32_e32 v1, 2, v1
	v_cmp_eq_u32_e32 vcc, 0, v2
	v_and_b32_e32 v1, 0xfc, v1
	v_and_or_b32 v0, v0, 3, v1
	s_and_b64 s[28:29], vcc, s[28:29]
	v_cndmask_b32_e64 v0, v0, 0, s[28:29]
	v_or_b32_e32 v0, v0, v3
	buffer_store_dword v0, off, s[0:3], s33 offset:172 ; 4-byte Folded Spill
.LBB6_22246:                            ;   in Loop: Header=BB6_20708 Depth=3
	s_or_b64 exec, exec, s[36:37]
                                        ; implicit-def: $vgpr3
.LBB6_22247:                            ;   in Loop: Header=BB6_20708 Depth=3
	s_andn2_saveexec_b64 s[28:29], s[34:35]
	s_cbranch_execz .LBB6_22249
; %bb.22248:                            ;   in Loop: Header=BB6_20708 Depth=3
	v_or_b32_e32 v0, 0x7b, v3
	buffer_store_dword v0, off, s[0:3], s33 offset:172 ; 4-byte Folded Spill
.LBB6_22249:                            ;   in Loop: Header=BB6_20708 Depth=3
	s_or_b64 exec, exec, s[28:29]
                                        ; implicit-def: $vgpr2
                                        ; implicit-def: $vgpr0_vgpr1
.LBB6_22250:                            ;   in Loop: Header=BB6_20708 Depth=3
	s_andn2_saveexec_b64 s[28:29], s[30:31]
	s_cbranch_execz .LBB6_22256
; %bb.22251:                            ;   in Loop: Header=BB6_20708 Depth=3
	v_cmp_ne_u64_e32 vcc, 0, v[0:1]
                                        ; implicit-def: $vgpr0
                                        ; kill: killed $vgpr0
	s_and_saveexec_b64 s[62:63], vcc
	s_xor_b64 vcc, exec, s[62:63]
	s_cbranch_execz .LBB6_22253
; %bb.22252:                            ;   in Loop: Header=BB6_20708 Depth=3
	v_or_b32_sdwa v0, v2, s44 dst_sel:DWORD dst_unused:UNUSED_PAD src0_sel:BYTE_3 src1_sel:DWORD
	buffer_store_dword v0, off, s[0:3], s33 offset:172 ; 4-byte Folded Spill
                                        ; implicit-def: $vgpr2
.LBB6_22253:                            ;   in Loop: Header=BB6_20708 Depth=3
	s_andn2_saveexec_b64 s[30:31], vcc
	s_cbranch_execz .LBB6_22255
; %bb.22254:                            ;   in Loop: Header=BB6_20708 Depth=3
	v_cmp_lt_i32_e32 vcc, -1, v2
	v_bfrev_b32_e32 v0, 0.5
	v_mov_b32_e32 v1, 0x7c
	v_cndmask_b32_e32 v0, v0, v1, vcc
	buffer_store_dword v0, off, s[0:3], s33 offset:172 ; 4-byte Folded Spill
.LBB6_22255:                            ;   in Loop: Header=BB6_20708 Depth=3
	s_or_b64 exec, exec, s[30:31]
.LBB6_22256:                            ;   in Loop: Header=BB6_20708 Depth=3
	s_or_b64 exec, exec, s[28:29]
	v_cmp_lt_u64_e32 vcc, s[56:57], v[8:9]
	v_mov_b32_e32 v1, 0
	s_and_saveexec_b64 s[28:29], vcc
	s_cbranch_execz .LBB6_22264
; %bb.22257:                            ;   in Loop: Header=BB6_20708 Depth=3
	v_lshrrev_b32_e32 v0, 24, v9
	v_cmp_ne_u32_e32 vcc, s97, v0
	v_bfrev_b32_e32 v1, 1
	s_and_saveexec_b64 s[30:31], vcc
	s_cbranch_execz .LBB6_22263
; %bb.22258:                            ;   in Loop: Header=BB6_20708 Depth=3
	v_and_b32_e32 v1, 0x7c000000, v9
	v_bfe_u32 v2, v9, 24, 2
	v_cmp_ne_u32_e32 vcc, s68, v1
                                        ; implicit-def: $vgpr1
	s_and_saveexec_b64 s[62:63], vcc
	s_xor_b64 s[34:35], exec, s[62:63]
	s_cbranch_execz .LBB6_22260
; %bb.22259:                            ;   in Loop: Header=BB6_20708 Depth=3
	v_ffbh_u32_e32 v1, v2
	v_min_u32_e32 v13, 32, v1
	v_subrev_u32_e32 v1, 29, v13
	v_lshlrev_b64 v[0:1], v1, v[0:1]
	v_bfe_u32 v3, v9, 26, 5
	v_sub_u32_e32 v1, 30, v13
	v_and_b32_e32 v0, 3, v0
	v_cmp_eq_u32_e32 vcc, 0, v3
	v_cndmask_b32_e32 v1, v3, v1, vcc
	v_cndmask_b32_e32 v0, v2, v0, vcc
	v_and_b32_e32 v2, 0x80000000, v9
	v_lshl_add_u32 v1, v1, 23, v2
	v_lshl_or_b32 v0, v0, 21, v1
	v_add_u32_e32 v1, 0x38000000, v0
                                        ; implicit-def: $vgpr2
.LBB6_22260:                            ;   in Loop: Header=BB6_20708 Depth=3
	s_andn2_saveexec_b64 s[34:35], s[34:35]
; %bb.22261:                            ;   in Loop: Header=BB6_20708 Depth=3
	v_cmp_lt_i64_e32 vcc, -1, v[8:9]
	v_mov_b32_e32 v0, 0xff800000
	v_mov_b32_e32 v1, 0x7f800000
	v_cndmask_b32_e32 v0, v0, v1, vcc
	v_cmp_eq_u32_e32 vcc, 0, v2
	v_mov_b32_e32 v1, 0x7f800001
	v_cndmask_b32_e32 v1, v1, v0, vcc
; %bb.22262:                            ;   in Loop: Header=BB6_20708 Depth=3
	s_or_b64 exec, exec, s[34:35]
.LBB6_22263:                            ;   in Loop: Header=BB6_20708 Depth=3
	s_or_b64 exec, exec, s[30:31]
.LBB6_22264:                            ;   in Loop: Header=BB6_20708 Depth=3
	s_or_b64 exec, exec, s[28:29]
	v_mul_f32_e32 v2, v12, v1
	v_and_b32_e32 v8, 0x7f800000, v2
	v_mov_b32_e32 v9, v33
	v_cmp_ne_u64_e32 vcc, s[76:77], v[8:9]
	v_and_b32_e32 v0, 0x7fffff, v2
	v_mov_b32_e32 v1, v33
                                        ; implicit-def: $vgpr3
                                        ; kill: killed $vgpr3
	s_and_saveexec_b64 s[28:29], vcc
	s_xor_b64 s[30:31], exec, s[28:29]
	s_cbranch_execz .LBB6_22278
; %bb.22265:                            ;   in Loop: Header=BB6_20708 Depth=3
	v_and_b32_e32 v8, 0x7fffffff, v2
	v_mov_b32_e32 v9, v33
	v_cmp_gt_u64_e32 vcc, s[78:79], v[8:9]
	v_and_b32_sdwa v3, v2, s97 dst_sel:DWORD dst_unused:UNUSED_PAD src0_sel:BYTE_3 src1_sel:DWORD
                                        ; implicit-def: $vgpr8
                                        ; kill: killed $vgpr8
	s_and_saveexec_b64 s[28:29], vcc
	s_xor_b64 s[34:35], exec, s[28:29]
	s_cbranch_execz .LBB6_22275
; %bb.22266:                            ;   in Loop: Header=BB6_20708 Depth=3
	v_mov_b32_e32 v8, 0
	v_cmp_ne_u32_e32 vcc, 0, v2
	buffer_store_dword v8, off, s[0:3], s33 offset:196 ; 4-byte Folded Spill
	s_and_saveexec_b64 s[36:37], vcc
	s_cbranch_execz .LBB6_22274
; %bb.22267:                            ;   in Loop: Header=BB6_20708 Depth=3
	v_bfe_u32 v8, v2, 23, 8
	v_cmp_gt_u32_e64 s[28:29], s47, v8
	v_sub_u32_e32 v2, 0x71, v8
	v_cmp_eq_u32_e32 vcc, 0, v8
	v_cndmask_b32_e64 v2, 0, v2, s[28:29]
	v_mov_b32_e32 v9, 0x70
	v_cndmask_b32_e32 v9, v2, v9, vcc
	v_or_b32_e32 v13, 0x800000, v0
	v_add_u32_e32 v2, 21, v9
	v_cndmask_b32_e32 v0, v13, v0, vcc
	v_lshlrev_b64 v[13:14], v2, -1
	v_add_u32_e32 v2, 20, v9
	v_bfi_b32 v13, v13, 0, v0
	v_lshlrev_b64 v[15:16], v2, 1
	v_lshrrev_b64 v[0:1], v9, v[0:1]
	v_bfi_b32 v14, v14, 0, 0
	v_cmp_eq_u64_e64 s[28:29], v[13:14], v[15:16]
	v_mov_b32_e32 v2, v1
	v_mov_b32_e32 v1, v0
	s_and_saveexec_b64 s[38:39], s[28:29]
; %bb.22268:                            ;   in Loop: Header=BB6_20708 Depth=3
	v_bfe_u32 v1, v0, 21, 1
	v_add_co_u32_e64 v1, s[28:29], v0, v1
	v_add_co_u32_e64 v1, s[28:29], -1, v1
; %bb.22269:                            ;   in Loop: Header=BB6_20708 Depth=3
	s_or_b64 exec, exec, s[38:39]
	v_add_u32_e32 v2, 0xffffff81, v8
	v_mov_b32_e32 v8, 0xffffff82
	v_cndmask_b32_e32 v2, v2, v8, vcc
	v_lshrrev_b32_e32 v8, 23, v0
	v_add3_u32 v9, v9, v2, v8
	v_add_u32_e32 v8, 14, v9
	v_and_b32_e32 v1, 0x1fffff, v1
	v_add_u32_e32 v0, v1, v0
	v_mov_b32_e32 v1, v33
	v_cmp_ne_u32_e32 vcc, 0, v8
                                        ; implicit-def: $vgpr2
	s_and_saveexec_b64 s[28:29], vcc
	s_xor_b64 s[28:29], exec, s[28:29]
; %bb.22270:                            ;   in Loop: Header=BB6_20708 Depth=3
	v_cmp_lt_u64_e32 vcc, s[88:89], v[0:1]
	v_add_u32_e32 v2, 15, v9
	v_cndmask_b32_e32 v2, v8, v2, vcc
	v_cndmask_b32_e64 v8, 0, 1, vcc
	v_lshrrev_b64 v[0:1], v8, v[0:1]
; %bb.22271:                            ;   in Loop: Header=BB6_20708 Depth=3
	s_andn2_saveexec_b64 s[28:29], s[28:29]
; %bb.22272:                            ;   in Loop: Header=BB6_20708 Depth=3
	v_bfe_u32 v2, v0, 23, 1
; %bb.22273:                            ;   in Loop: Header=BB6_20708 Depth=3
	s_or_b64 exec, exec, s[28:29]
	v_lshrrev_b64 v[0:1], 21, v[0:1]
	v_cmp_gt_i32_e32 vcc, 32, v2
	v_cndmask_b32_e32 v1, 0, v1, vcc
	v_cndmask_b32_e32 v0, 3, v0, vcc
	v_cmp_eq_u64_e64 s[28:29], 0, v[0:1]
	v_min_i32_e32 v1, 31, v2
	v_lshlrev_b32_e32 v1, 2, v1
	v_cmp_eq_u32_e32 vcc, 0, v2
	v_and_b32_e32 v1, 0xfc, v1
	v_and_or_b32 v0, v0, 3, v1
	s_and_b64 s[28:29], vcc, s[28:29]
	v_cndmask_b32_e64 v0, v0, 0, s[28:29]
	v_or_b32_e32 v0, v0, v3
	buffer_store_dword v0, off, s[0:3], s33 offset:196 ; 4-byte Folded Spill
.LBB6_22274:                            ;   in Loop: Header=BB6_20708 Depth=3
	s_or_b64 exec, exec, s[36:37]
                                        ; implicit-def: $vgpr3
.LBB6_22275:                            ;   in Loop: Header=BB6_20708 Depth=3
	s_andn2_saveexec_b64 s[28:29], s[34:35]
	s_cbranch_execz .LBB6_22277
; %bb.22276:                            ;   in Loop: Header=BB6_20708 Depth=3
	v_or_b32_e32 v0, 0x7b, v3
	buffer_store_dword v0, off, s[0:3], s33 offset:196 ; 4-byte Folded Spill
.LBB6_22277:                            ;   in Loop: Header=BB6_20708 Depth=3
	s_or_b64 exec, exec, s[28:29]
                                        ; implicit-def: $vgpr2
                                        ; implicit-def: $vgpr0_vgpr1
.LBB6_22278:                            ;   in Loop: Header=BB6_20708 Depth=3
	s_andn2_saveexec_b64 s[28:29], s[30:31]
	s_cbranch_execz .LBB6_22284
; %bb.22279:                            ;   in Loop: Header=BB6_20708 Depth=3
	v_cmp_ne_u64_e32 vcc, 0, v[0:1]
                                        ; implicit-def: $vgpr0
                                        ; kill: killed $vgpr0
	s_and_saveexec_b64 s[62:63], vcc
	s_xor_b64 vcc, exec, s[62:63]
	s_cbranch_execz .LBB6_22281
; %bb.22280:                            ;   in Loop: Header=BB6_20708 Depth=3
	v_or_b32_sdwa v0, v2, s44 dst_sel:DWORD dst_unused:UNUSED_PAD src0_sel:BYTE_3 src1_sel:DWORD
	buffer_store_dword v0, off, s[0:3], s33 offset:196 ; 4-byte Folded Spill
                                        ; implicit-def: $vgpr2
.LBB6_22281:                            ;   in Loop: Header=BB6_20708 Depth=3
	s_andn2_saveexec_b64 s[30:31], vcc
	s_cbranch_execz .LBB6_22283
; %bb.22282:                            ;   in Loop: Header=BB6_20708 Depth=3
	v_cmp_lt_i32_e32 vcc, -1, v2
	v_bfrev_b32_e32 v0, 0.5
	v_mov_b32_e32 v1, 0x7c
	v_cndmask_b32_e32 v0, v0, v1, vcc
	buffer_store_dword v0, off, s[0:3], s33 offset:196 ; 4-byte Folded Spill
.LBB6_22283:                            ;   in Loop: Header=BB6_20708 Depth=3
	s_or_b64 exec, exec, s[30:31]
.LBB6_22284:                            ;   in Loop: Header=BB6_20708 Depth=3
	s_or_b64 exec, exec, s[28:29]
	v_cmp_ne_u16_sdwa s[62:63], v10, v33 src0_sel:BYTE_0 src1_sel:DWORD
	v_mov_b32_e32 v0, 0
	s_and_saveexec_b64 s[28:29], s[62:63]
	s_cbranch_execz .LBB6_22292
; %bb.22285:                            ;   in Loop: Header=BB6_20708 Depth=3
	v_cmp_ne_u16_sdwa s[62:63], sext(v10), s46 src0_sel:BYTE_0 src1_sel:DWORD
	v_bfrev_b32_e32 v0, 1
	s_and_saveexec_b64 s[30:31], s[62:63]
	s_cbranch_execz .LBB6_22291
; %bb.22286:                            ;   in Loop: Header=BB6_20708 Depth=3
	v_and_b32_e32 v0, 0x7c, v10
	v_and_b32_e32 v1, 3, v10
	v_cmp_ne_u32_e32 vcc, s86, v0
                                        ; implicit-def: $vgpr0
	s_and_saveexec_b64 s[62:63], vcc
	s_xor_b64 s[34:35], exec, s[62:63]
	s_cbranch_execz .LBB6_22288
; %bb.22287:                            ;   in Loop: Header=BB6_20708 Depth=3
	v_ffbh_u32_e32 v2, v1
	v_min_u32_e32 v8, 32, v2
	v_subrev_u32_e32 v2, 29, v8
	v_lshlrev_b64 v[2:3], v2, v[10:11]
	v_bfe_u32 v0, v10, 2, 5
	v_and_b32_e32 v2, 3, v2
	v_cmp_eq_u32_e32 vcc, 0, v0
	v_sub_u32_e32 v3, 30, v8
	v_cndmask_b32_e32 v1, v1, v2, vcc
	v_lshlrev_b32_e32 v2, 24, v10
	v_cndmask_b32_e32 v0, v0, v3, vcc
	v_and_b32_e32 v2, 0x80000000, v2
	v_lshl_add_u32 v0, v0, 23, v2
	v_lshl_or_b32 v0, v1, 21, v0
	v_add_u32_e32 v0, 0x38000000, v0
                                        ; implicit-def: $vgpr1
.LBB6_22288:                            ;   in Loop: Header=BB6_20708 Depth=3
	s_andn2_saveexec_b64 s[34:35], s[34:35]
; %bb.22289:                            ;   in Loop: Header=BB6_20708 Depth=3
	v_mov_b32_e32 v0, -1
	v_cmp_gt_i16_sdwa vcc, sext(v10), v0 src0_sel:BYTE_0 src1_sel:DWORD
	v_mov_b32_e32 v0, 0xff800000
	v_mov_b32_e32 v2, 0x7f800000
	v_cndmask_b32_e32 v0, v0, v2, vcc
	v_cmp_eq_u32_e32 vcc, 0, v1
	v_mov_b32_e32 v1, 0x7f800001
	v_cndmask_b32_e32 v0, v1, v0, vcc
; %bb.22290:                            ;   in Loop: Header=BB6_20708 Depth=3
	s_or_b64 exec, exec, s[34:35]
.LBB6_22291:                            ;   in Loop: Header=BB6_20708 Depth=3
	s_or_b64 exec, exec, s[30:31]
.LBB6_22292:                            ;   in Loop: Header=BB6_20708 Depth=3
	s_or_b64 exec, exec, s[28:29]
	v_mul_f32_e32 v2, v12, v0
	v_and_b32_e32 v8, 0x7f800000, v2
	v_mov_b32_e32 v9, v33
	v_cmp_ne_u64_e32 vcc, s[76:77], v[8:9]
	v_and_b32_e32 v0, 0x7fffff, v2
	v_mov_b32_e32 v1, v33
                                        ; implicit-def: $vgpr28
	s_and_saveexec_b64 s[28:29], vcc
	s_xor_b64 s[30:31], exec, s[28:29]
	s_cbranch_execz .LBB6_22306
; %bb.22293:                            ;   in Loop: Header=BB6_20708 Depth=3
	v_and_b32_e32 v8, 0x7fffffff, v2
	v_mov_b32_e32 v9, v33
	v_cmp_gt_u64_e32 vcc, s[78:79], v[8:9]
	v_and_b32_sdwa v3, v2, s97 dst_sel:DWORD dst_unused:UNUSED_PAD src0_sel:BYTE_3 src1_sel:DWORD
                                        ; implicit-def: $vgpr28
	s_and_saveexec_b64 s[28:29], vcc
	s_xor_b64 s[34:35], exec, s[28:29]
	s_cbranch_execz .LBB6_22303
; %bb.22294:                            ;   in Loop: Header=BB6_20708 Depth=3
	v_mov_b32_e32 v28, 0
	v_cmp_ne_u32_e32 vcc, 0, v2
	s_and_saveexec_b64 s[36:37], vcc
	s_cbranch_execz .LBB6_22302
; %bb.22295:                            ;   in Loop: Header=BB6_20708 Depth=3
	v_bfe_u32 v8, v2, 23, 8
	v_cmp_gt_u32_e64 s[28:29], s47, v8
	v_sub_u32_e32 v2, 0x71, v8
	v_cmp_eq_u32_e32 vcc, 0, v8
	v_cndmask_b32_e64 v2, 0, v2, s[28:29]
	v_mov_b32_e32 v9, 0x70
	v_cndmask_b32_e32 v9, v2, v9, vcc
	v_or_b32_e32 v13, 0x800000, v0
	v_add_u32_e32 v2, 21, v9
	v_cndmask_b32_e32 v0, v13, v0, vcc
	v_lshlrev_b64 v[13:14], v2, -1
	v_add_u32_e32 v2, 20, v9
	v_bfi_b32 v13, v13, 0, v0
	v_lshlrev_b64 v[15:16], v2, 1
	v_lshrrev_b64 v[0:1], v9, v[0:1]
	v_bfi_b32 v14, v14, 0, 0
	v_cmp_eq_u64_e64 s[28:29], v[13:14], v[15:16]
	v_mov_b32_e32 v2, v1
	v_mov_b32_e32 v1, v0
	s_and_saveexec_b64 s[38:39], s[28:29]
; %bb.22296:                            ;   in Loop: Header=BB6_20708 Depth=3
	v_bfe_u32 v1, v0, 21, 1
	v_add_co_u32_e64 v1, s[28:29], v0, v1
	v_add_co_u32_e64 v1, s[28:29], -1, v1
; %bb.22297:                            ;   in Loop: Header=BB6_20708 Depth=3
	s_or_b64 exec, exec, s[38:39]
	v_add_u32_e32 v2, 0xffffff81, v8
	v_mov_b32_e32 v8, 0xffffff82
	v_cndmask_b32_e32 v2, v2, v8, vcc
	v_lshrrev_b32_e32 v8, 23, v0
	v_add3_u32 v9, v9, v2, v8
	v_add_u32_e32 v8, 14, v9
	v_and_b32_e32 v1, 0x1fffff, v1
	v_add_u32_e32 v0, v1, v0
	v_mov_b32_e32 v1, v33
	v_cmp_ne_u32_e32 vcc, 0, v8
                                        ; implicit-def: $vgpr2
	s_and_saveexec_b64 s[28:29], vcc
	s_xor_b64 s[28:29], exec, s[28:29]
; %bb.22298:                            ;   in Loop: Header=BB6_20708 Depth=3
	v_cmp_lt_u64_e32 vcc, s[88:89], v[0:1]
	v_add_u32_e32 v2, 15, v9
	v_cndmask_b32_e32 v2, v8, v2, vcc
	v_cndmask_b32_e64 v8, 0, 1, vcc
	v_lshrrev_b64 v[0:1], v8, v[0:1]
; %bb.22299:                            ;   in Loop: Header=BB6_20708 Depth=3
	s_andn2_saveexec_b64 s[28:29], s[28:29]
; %bb.22300:                            ;   in Loop: Header=BB6_20708 Depth=3
	v_bfe_u32 v2, v0, 23, 1
; %bb.22301:                            ;   in Loop: Header=BB6_20708 Depth=3
	s_or_b64 exec, exec, s[28:29]
	v_lshrrev_b64 v[0:1], 21, v[0:1]
	v_cmp_gt_i32_e32 vcc, 32, v2
	v_cndmask_b32_e32 v1, 0, v1, vcc
	v_cndmask_b32_e32 v0, 3, v0, vcc
	v_cmp_eq_u64_e64 s[28:29], 0, v[0:1]
	v_min_i32_e32 v1, 31, v2
	v_lshlrev_b32_e32 v1, 2, v1
	v_cmp_eq_u32_e32 vcc, 0, v2
	v_and_b32_e32 v1, 0xfc, v1
	v_and_or_b32 v0, v0, 3, v1
	s_and_b64 s[28:29], vcc, s[28:29]
	v_cndmask_b32_e64 v0, v0, 0, s[28:29]
	v_or_b32_e32 v28, v0, v3
.LBB6_22302:                            ;   in Loop: Header=BB6_20708 Depth=3
	s_or_b64 exec, exec, s[36:37]
                                        ; implicit-def: $vgpr3
.LBB6_22303:                            ;   in Loop: Header=BB6_20708 Depth=3
	s_andn2_saveexec_b64 s[28:29], s[34:35]
; %bb.22304:                            ;   in Loop: Header=BB6_20708 Depth=3
	v_or_b32_e32 v28, 0x7b, v3
; %bb.22305:                            ;   in Loop: Header=BB6_20708 Depth=3
	s_or_b64 exec, exec, s[28:29]
                                        ; implicit-def: $vgpr2
                                        ; implicit-def: $vgpr0_vgpr1
.LBB6_22306:                            ;   in Loop: Header=BB6_20708 Depth=3
	s_andn2_saveexec_b64 s[28:29], s[30:31]
	s_cbranch_execz .LBB6_22312
; %bb.22307:                            ;   in Loop: Header=BB6_20708 Depth=3
	v_cmp_ne_u64_e32 vcc, 0, v[0:1]
                                        ; implicit-def: $vgpr28
	s_and_saveexec_b64 s[62:63], vcc
	s_xor_b64 vcc, exec, s[62:63]
; %bb.22308:                            ;   in Loop: Header=BB6_20708 Depth=3
	v_or_b32_sdwa v28, v2, s44 dst_sel:DWORD dst_unused:UNUSED_PAD src0_sel:BYTE_3 src1_sel:DWORD
                                        ; implicit-def: $vgpr2
; %bb.22309:                            ;   in Loop: Header=BB6_20708 Depth=3
	s_andn2_saveexec_b64 s[30:31], vcc
; %bb.22310:                            ;   in Loop: Header=BB6_20708 Depth=3
	v_cmp_lt_i32_e32 vcc, -1, v2
	v_bfrev_b32_e32 v0, 0.5
	v_mov_b32_e32 v1, 0x7c
	v_cndmask_b32_e32 v28, v0, v1, vcc
; %bb.22311:                            ;   in Loop: Header=BB6_20708 Depth=3
	s_or_b64 exec, exec, s[30:31]
.LBB6_22312:                            ;   in Loop: Header=BB6_20708 Depth=3
	s_or_b64 exec, exec, s[28:29]
	v_lshrrev_b16_e32 v0, 8, v10
	v_cmp_ne_u16_e32 vcc, 0, v0
	v_mov_b32_e32 v1, 0
	s_and_saveexec_b64 s[28:29], vcc
	s_cbranch_execz .LBB6_22320
; %bb.22313:                            ;   in Loop: Header=BB6_20708 Depth=3
	v_cmp_ne_u16_e32 vcc, s97, v0
	v_bfrev_b32_e32 v1, 1
	s_and_saveexec_b64 s[30:31], vcc
	s_cbranch_execz .LBB6_22319
; %bb.22314:                            ;   in Loop: Header=BB6_20708 Depth=3
	v_and_b32_e32 v1, 0x7c, v0
	v_and_b32_e32 v2, 3, v0
	v_cmp_ne_u32_e32 vcc, s86, v1
                                        ; implicit-def: $vgpr1
	s_and_saveexec_b64 s[62:63], vcc
	s_xor_b64 s[34:35], exec, s[62:63]
	s_cbranch_execz .LBB6_22316
; %bb.22315:                            ;   in Loop: Header=BB6_20708 Depth=3
	v_ffbh_u32_e32 v8, v2
	v_min_u32_e32 v8, 32, v8
	v_mov_b32_e32 v1, v33
	v_subrev_u32_e32 v9, 29, v8
	v_bfe_u32 v3, v0, 2, 5
	v_lshlrev_b64 v[0:1], v9, v[0:1]
	v_cmp_eq_u32_e32 vcc, 0, v3
	v_and_b32_e32 v0, 3, v0
	v_sub_u32_e32 v1, 30, v8
	v_cndmask_b32_e32 v0, v2, v0, vcc
	v_lshlrev_b32_e32 v2, 16, v10
	v_cndmask_b32_e32 v1, v3, v1, vcc
	v_and_b32_e32 v2, 0x80000000, v2
	v_lshl_add_u32 v1, v1, 23, v2
	v_lshl_or_b32 v0, v0, 21, v1
	v_add_u32_e32 v1, 0x38000000, v0
                                        ; implicit-def: $vgpr2
.LBB6_22316:                            ;   in Loop: Header=BB6_20708 Depth=3
	s_andn2_saveexec_b64 s[34:35], s[34:35]
; %bb.22317:                            ;   in Loop: Header=BB6_20708 Depth=3
	v_cmp_lt_i16_e32 vcc, -1, v10
	v_mov_b32_e32 v0, 0xff800000
	v_mov_b32_e32 v1, 0x7f800000
	v_cndmask_b32_e32 v0, v0, v1, vcc
	v_cmp_eq_u32_e32 vcc, 0, v2
	v_mov_b32_e32 v1, 0x7f800001
	v_cndmask_b32_e32 v1, v1, v0, vcc
; %bb.22318:                            ;   in Loop: Header=BB6_20708 Depth=3
	s_or_b64 exec, exec, s[34:35]
.LBB6_22319:                            ;   in Loop: Header=BB6_20708 Depth=3
	s_or_b64 exec, exec, s[30:31]
.LBB6_22320:                            ;   in Loop: Header=BB6_20708 Depth=3
	s_or_b64 exec, exec, s[28:29]
	v_mul_f32_e32 v2, v12, v1
	v_and_b32_e32 v8, 0x7f800000, v2
	v_mov_b32_e32 v9, v33
	v_cmp_ne_u64_e32 vcc, s[76:77], v[8:9]
	v_and_b32_e32 v0, 0x7fffff, v2
	v_mov_b32_e32 v1, v33
                                        ; implicit-def: $vgpr3
                                        ; kill: killed $vgpr3
	s_and_saveexec_b64 s[28:29], vcc
	s_xor_b64 s[30:31], exec, s[28:29]
	s_cbranch_execz .LBB6_22334
; %bb.22321:                            ;   in Loop: Header=BB6_20708 Depth=3
	v_and_b32_e32 v8, 0x7fffffff, v2
	v_mov_b32_e32 v9, v33
	v_cmp_gt_u64_e32 vcc, s[78:79], v[8:9]
	v_and_b32_sdwa v3, v2, s97 dst_sel:DWORD dst_unused:UNUSED_PAD src0_sel:BYTE_3 src1_sel:DWORD
                                        ; implicit-def: $vgpr8
                                        ; kill: killed $vgpr8
	s_and_saveexec_b64 s[28:29], vcc
	s_xor_b64 s[34:35], exec, s[28:29]
	s_cbranch_execz .LBB6_22331
; %bb.22322:                            ;   in Loop: Header=BB6_20708 Depth=3
	v_mov_b32_e32 v8, 0
	v_cmp_ne_u32_e32 vcc, 0, v2
	buffer_store_dword v8, off, s[0:3], s33 offset:124 ; 4-byte Folded Spill
	s_and_saveexec_b64 s[36:37], vcc
	s_cbranch_execz .LBB6_22330
; %bb.22323:                            ;   in Loop: Header=BB6_20708 Depth=3
	v_bfe_u32 v8, v2, 23, 8
	v_cmp_gt_u32_e64 s[28:29], s47, v8
	v_sub_u32_e32 v2, 0x71, v8
	v_cmp_eq_u32_e32 vcc, 0, v8
	v_cndmask_b32_e64 v2, 0, v2, s[28:29]
	v_mov_b32_e32 v9, 0x70
	v_cndmask_b32_e32 v9, v2, v9, vcc
	v_or_b32_e32 v13, 0x800000, v0
	v_add_u32_e32 v2, 21, v9
	v_cndmask_b32_e32 v0, v13, v0, vcc
	v_lshlrev_b64 v[13:14], v2, -1
	v_add_u32_e32 v2, 20, v9
	v_bfi_b32 v13, v13, 0, v0
	v_lshlrev_b64 v[15:16], v2, 1
	v_lshrrev_b64 v[0:1], v9, v[0:1]
	v_bfi_b32 v14, v14, 0, 0
	v_cmp_eq_u64_e64 s[28:29], v[13:14], v[15:16]
	v_mov_b32_e32 v2, v1
	v_mov_b32_e32 v1, v0
	s_and_saveexec_b64 s[38:39], s[28:29]
; %bb.22324:                            ;   in Loop: Header=BB6_20708 Depth=3
	v_bfe_u32 v1, v0, 21, 1
	v_add_co_u32_e64 v1, s[28:29], v0, v1
	v_add_co_u32_e64 v1, s[28:29], -1, v1
; %bb.22325:                            ;   in Loop: Header=BB6_20708 Depth=3
	s_or_b64 exec, exec, s[38:39]
	v_add_u32_e32 v2, 0xffffff81, v8
	v_mov_b32_e32 v8, 0xffffff82
	v_cndmask_b32_e32 v2, v2, v8, vcc
	v_lshrrev_b32_e32 v8, 23, v0
	v_add3_u32 v9, v9, v2, v8
	v_add_u32_e32 v8, 14, v9
	v_and_b32_e32 v1, 0x1fffff, v1
	v_add_u32_e32 v0, v1, v0
	v_mov_b32_e32 v1, v33
	v_cmp_ne_u32_e32 vcc, 0, v8
                                        ; implicit-def: $vgpr2
	s_and_saveexec_b64 s[28:29], vcc
	s_xor_b64 s[28:29], exec, s[28:29]
; %bb.22326:                            ;   in Loop: Header=BB6_20708 Depth=3
	v_cmp_lt_u64_e32 vcc, s[88:89], v[0:1]
	v_add_u32_e32 v2, 15, v9
	v_cndmask_b32_e32 v2, v8, v2, vcc
	v_cndmask_b32_e64 v8, 0, 1, vcc
	v_lshrrev_b64 v[0:1], v8, v[0:1]
; %bb.22327:                            ;   in Loop: Header=BB6_20708 Depth=3
	s_andn2_saveexec_b64 s[28:29], s[28:29]
; %bb.22328:                            ;   in Loop: Header=BB6_20708 Depth=3
	v_bfe_u32 v2, v0, 23, 1
; %bb.22329:                            ;   in Loop: Header=BB6_20708 Depth=3
	s_or_b64 exec, exec, s[28:29]
	v_lshrrev_b64 v[0:1], 21, v[0:1]
	v_cmp_gt_i32_e32 vcc, 32, v2
	v_cndmask_b32_e32 v1, 0, v1, vcc
	v_cndmask_b32_e32 v0, 3, v0, vcc
	v_cmp_eq_u64_e64 s[28:29], 0, v[0:1]
	v_min_i32_e32 v1, 31, v2
	v_lshlrev_b32_e32 v1, 2, v1
	v_cmp_eq_u32_e32 vcc, 0, v2
	v_and_b32_e32 v1, 0xfc, v1
	v_and_or_b32 v0, v0, 3, v1
	s_and_b64 s[28:29], vcc, s[28:29]
	v_cndmask_b32_e64 v0, v0, 0, s[28:29]
	v_or_b32_e32 v0, v0, v3
	buffer_store_dword v0, off, s[0:3], s33 offset:124 ; 4-byte Folded Spill
.LBB6_22330:                            ;   in Loop: Header=BB6_20708 Depth=3
	s_or_b64 exec, exec, s[36:37]
                                        ; implicit-def: $vgpr3
.LBB6_22331:                            ;   in Loop: Header=BB6_20708 Depth=3
	s_andn2_saveexec_b64 s[28:29], s[34:35]
	s_cbranch_execz .LBB6_22333
; %bb.22332:                            ;   in Loop: Header=BB6_20708 Depth=3
	v_or_b32_e32 v0, 0x7b, v3
	buffer_store_dword v0, off, s[0:3], s33 offset:124 ; 4-byte Folded Spill
.LBB6_22333:                            ;   in Loop: Header=BB6_20708 Depth=3
	s_or_b64 exec, exec, s[28:29]
                                        ; implicit-def: $vgpr2
                                        ; implicit-def: $vgpr0_vgpr1
.LBB6_22334:                            ;   in Loop: Header=BB6_20708 Depth=3
	s_andn2_saveexec_b64 s[28:29], s[30:31]
	s_cbranch_execz .LBB6_22340
; %bb.22335:                            ;   in Loop: Header=BB6_20708 Depth=3
	v_cmp_ne_u64_e32 vcc, 0, v[0:1]
                                        ; implicit-def: $vgpr0
                                        ; kill: killed $vgpr0
	s_and_saveexec_b64 s[62:63], vcc
	s_xor_b64 vcc, exec, s[62:63]
	s_cbranch_execz .LBB6_22337
; %bb.22336:                            ;   in Loop: Header=BB6_20708 Depth=3
	v_or_b32_sdwa v0, v2, s44 dst_sel:DWORD dst_unused:UNUSED_PAD src0_sel:BYTE_3 src1_sel:DWORD
	buffer_store_dword v0, off, s[0:3], s33 offset:124 ; 4-byte Folded Spill
                                        ; implicit-def: $vgpr2
.LBB6_22337:                            ;   in Loop: Header=BB6_20708 Depth=3
	s_andn2_saveexec_b64 s[30:31], vcc
	s_cbranch_execz .LBB6_22339
; %bb.22338:                            ;   in Loop: Header=BB6_20708 Depth=3
	v_cmp_lt_i32_e32 vcc, -1, v2
	v_bfrev_b32_e32 v0, 0.5
	v_mov_b32_e32 v1, 0x7c
	v_cndmask_b32_e32 v0, v0, v1, vcc
	buffer_store_dword v0, off, s[0:3], s33 offset:124 ; 4-byte Folded Spill
.LBB6_22339:                            ;   in Loop: Header=BB6_20708 Depth=3
	s_or_b64 exec, exec, s[30:31]
.LBB6_22340:                            ;   in Loop: Header=BB6_20708 Depth=3
	s_or_b64 exec, exec, s[28:29]
	v_lshrrev_b32_e32 v0, 16, v10
	v_cmp_ne_u16_sdwa s[62:63], v0, v33 src0_sel:BYTE_0 src1_sel:DWORD
	v_mov_b32_e32 v1, 0
	s_and_saveexec_b64 s[28:29], s[62:63]
	s_cbranch_execz .LBB6_22348
; %bb.22341:                            ;   in Loop: Header=BB6_20708 Depth=3
	v_cmp_ne_u16_sdwa s[62:63], v0, s97 src0_sel:BYTE_0 src1_sel:DWORD
	v_bfrev_b32_e32 v1, 1
	s_and_saveexec_b64 s[30:31], s[62:63]
	s_cbranch_execz .LBB6_22347
; %bb.22342:                            ;   in Loop: Header=BB6_20708 Depth=3
	v_and_b32_e32 v1, 0x7c0000, v10
	v_bfe_u32 v2, v10, 16, 2
	v_cmp_ne_u32_e32 vcc, s45, v1
                                        ; implicit-def: $vgpr1
	s_and_saveexec_b64 s[62:63], vcc
	s_xor_b64 s[34:35], exec, s[62:63]
	s_cbranch_execz .LBB6_22344
; %bb.22343:                            ;   in Loop: Header=BB6_20708 Depth=3
	v_ffbh_u32_e32 v1, v2
	v_min_u32_e32 v8, 32, v1
	v_subrev_u32_e32 v1, 29, v8
	v_lshlrev_b64 v[0:1], v1, v[0:1]
	v_bfe_u32 v3, v10, 18, 5
	v_and_b32_e32 v0, 3, v0
	v_cmp_eq_u32_e32 vcc, 0, v3
	v_sub_u32_e32 v1, 30, v8
	v_cndmask_b32_e32 v0, v2, v0, vcc
	v_lshlrev_b32_e32 v2, 8, v10
	v_cndmask_b32_e32 v1, v3, v1, vcc
	v_and_b32_e32 v2, 0x80000000, v2
	v_lshl_add_u32 v1, v1, 23, v2
	v_lshl_or_b32 v0, v0, 21, v1
	v_add_u32_e32 v1, 0x38000000, v0
                                        ; implicit-def: $vgpr2
                                        ; implicit-def: $vgpr0
.LBB6_22344:                            ;   in Loop: Header=BB6_20708 Depth=3
	s_andn2_saveexec_b64 s[34:35], s[34:35]
; %bb.22345:                            ;   in Loop: Header=BB6_20708 Depth=3
	v_mov_b32_e32 v1, -1
	v_cmp_gt_i16_sdwa vcc, sext(v0), v1 src0_sel:BYTE_0 src1_sel:DWORD
	v_mov_b32_e32 v0, 0xff800000
	v_mov_b32_e32 v1, 0x7f800000
	v_cndmask_b32_e32 v0, v0, v1, vcc
	v_cmp_eq_u32_e32 vcc, 0, v2
	v_mov_b32_e32 v1, 0x7f800001
	v_cndmask_b32_e32 v1, v1, v0, vcc
; %bb.22346:                            ;   in Loop: Header=BB6_20708 Depth=3
	s_or_b64 exec, exec, s[34:35]
.LBB6_22347:                            ;   in Loop: Header=BB6_20708 Depth=3
	s_or_b64 exec, exec, s[30:31]
.LBB6_22348:                            ;   in Loop: Header=BB6_20708 Depth=3
	s_or_b64 exec, exec, s[28:29]
	v_mul_f32_e32 v2, v12, v1
	v_and_b32_e32 v8, 0x7f800000, v2
	v_mov_b32_e32 v9, v33
	v_cmp_ne_u64_e32 vcc, s[76:77], v[8:9]
	v_and_b32_e32 v0, 0x7fffff, v2
	v_mov_b32_e32 v1, v33
                                        ; implicit-def: $vgpr3
                                        ; kill: killed $vgpr3
	s_and_saveexec_b64 s[28:29], vcc
	s_xor_b64 s[30:31], exec, s[28:29]
	s_cbranch_execz .LBB6_22362
; %bb.22349:                            ;   in Loop: Header=BB6_20708 Depth=3
	v_and_b32_e32 v8, 0x7fffffff, v2
	v_mov_b32_e32 v9, v33
	v_cmp_gt_u64_e32 vcc, s[78:79], v[8:9]
	v_and_b32_sdwa v3, v2, s97 dst_sel:DWORD dst_unused:UNUSED_PAD src0_sel:BYTE_3 src1_sel:DWORD
                                        ; implicit-def: $vgpr8
                                        ; kill: killed $vgpr8
	s_and_saveexec_b64 s[28:29], vcc
	s_xor_b64 s[34:35], exec, s[28:29]
	s_cbranch_execz .LBB6_22359
; %bb.22350:                            ;   in Loop: Header=BB6_20708 Depth=3
	v_mov_b32_e32 v8, 0
	v_cmp_ne_u32_e32 vcc, 0, v2
	buffer_store_dword v8, off, s[0:3], s33 offset:140 ; 4-byte Folded Spill
	s_and_saveexec_b64 s[36:37], vcc
	s_cbranch_execz .LBB6_22358
; %bb.22351:                            ;   in Loop: Header=BB6_20708 Depth=3
	v_bfe_u32 v8, v2, 23, 8
	v_cmp_gt_u32_e64 s[28:29], s47, v8
	v_sub_u32_e32 v2, 0x71, v8
	v_cmp_eq_u32_e32 vcc, 0, v8
	v_cndmask_b32_e64 v2, 0, v2, s[28:29]
	v_mov_b32_e32 v9, 0x70
	v_cndmask_b32_e32 v9, v2, v9, vcc
	v_or_b32_e32 v13, 0x800000, v0
	v_add_u32_e32 v2, 21, v9
	v_cndmask_b32_e32 v0, v13, v0, vcc
	v_lshlrev_b64 v[13:14], v2, -1
	v_add_u32_e32 v2, 20, v9
	v_bfi_b32 v13, v13, 0, v0
	v_lshlrev_b64 v[15:16], v2, 1
	v_lshrrev_b64 v[0:1], v9, v[0:1]
	v_bfi_b32 v14, v14, 0, 0
	v_cmp_eq_u64_e64 s[28:29], v[13:14], v[15:16]
	v_mov_b32_e32 v2, v1
	v_mov_b32_e32 v1, v0
	s_and_saveexec_b64 s[38:39], s[28:29]
; %bb.22352:                            ;   in Loop: Header=BB6_20708 Depth=3
	v_bfe_u32 v1, v0, 21, 1
	v_add_co_u32_e64 v1, s[28:29], v0, v1
	v_add_co_u32_e64 v1, s[28:29], -1, v1
; %bb.22353:                            ;   in Loop: Header=BB6_20708 Depth=3
	s_or_b64 exec, exec, s[38:39]
	v_add_u32_e32 v2, 0xffffff81, v8
	v_mov_b32_e32 v8, 0xffffff82
	v_cndmask_b32_e32 v2, v2, v8, vcc
	v_lshrrev_b32_e32 v8, 23, v0
	v_add3_u32 v9, v9, v2, v8
	v_add_u32_e32 v8, 14, v9
	v_and_b32_e32 v1, 0x1fffff, v1
	v_add_u32_e32 v0, v1, v0
	v_mov_b32_e32 v1, v33
	v_cmp_ne_u32_e32 vcc, 0, v8
                                        ; implicit-def: $vgpr2
	s_and_saveexec_b64 s[28:29], vcc
	s_xor_b64 s[28:29], exec, s[28:29]
; %bb.22354:                            ;   in Loop: Header=BB6_20708 Depth=3
	v_cmp_lt_u64_e32 vcc, s[88:89], v[0:1]
	v_add_u32_e32 v2, 15, v9
	v_cndmask_b32_e32 v2, v8, v2, vcc
	v_cndmask_b32_e64 v8, 0, 1, vcc
	v_lshrrev_b64 v[0:1], v8, v[0:1]
; %bb.22355:                            ;   in Loop: Header=BB6_20708 Depth=3
	s_andn2_saveexec_b64 s[28:29], s[28:29]
; %bb.22356:                            ;   in Loop: Header=BB6_20708 Depth=3
	v_bfe_u32 v2, v0, 23, 1
; %bb.22357:                            ;   in Loop: Header=BB6_20708 Depth=3
	s_or_b64 exec, exec, s[28:29]
	v_lshrrev_b64 v[0:1], 21, v[0:1]
	v_cmp_gt_i32_e32 vcc, 32, v2
	v_cndmask_b32_e32 v1, 0, v1, vcc
	v_cndmask_b32_e32 v0, 3, v0, vcc
	v_cmp_eq_u64_e64 s[28:29], 0, v[0:1]
	v_min_i32_e32 v1, 31, v2
	v_lshlrev_b32_e32 v1, 2, v1
	v_cmp_eq_u32_e32 vcc, 0, v2
	v_and_b32_e32 v1, 0xfc, v1
	v_and_or_b32 v0, v0, 3, v1
	s_and_b64 s[28:29], vcc, s[28:29]
	v_cndmask_b32_e64 v0, v0, 0, s[28:29]
	v_or_b32_e32 v0, v0, v3
	buffer_store_dword v0, off, s[0:3], s33 offset:140 ; 4-byte Folded Spill
.LBB6_22358:                            ;   in Loop: Header=BB6_20708 Depth=3
	s_or_b64 exec, exec, s[36:37]
                                        ; implicit-def: $vgpr3
.LBB6_22359:                            ;   in Loop: Header=BB6_20708 Depth=3
	s_andn2_saveexec_b64 s[28:29], s[34:35]
	s_cbranch_execz .LBB6_22361
; %bb.22360:                            ;   in Loop: Header=BB6_20708 Depth=3
	v_or_b32_e32 v0, 0x7b, v3
	buffer_store_dword v0, off, s[0:3], s33 offset:140 ; 4-byte Folded Spill
.LBB6_22361:                            ;   in Loop: Header=BB6_20708 Depth=3
	s_or_b64 exec, exec, s[28:29]
                                        ; implicit-def: $vgpr2
                                        ; implicit-def: $vgpr0_vgpr1
.LBB6_22362:                            ;   in Loop: Header=BB6_20708 Depth=3
	s_andn2_saveexec_b64 s[28:29], s[30:31]
	s_cbranch_execz .LBB6_22368
; %bb.22363:                            ;   in Loop: Header=BB6_20708 Depth=3
	v_cmp_ne_u64_e32 vcc, 0, v[0:1]
                                        ; implicit-def: $vgpr0
                                        ; kill: killed $vgpr0
	s_and_saveexec_b64 s[62:63], vcc
	s_xor_b64 vcc, exec, s[62:63]
	s_cbranch_execz .LBB6_22365
; %bb.22364:                            ;   in Loop: Header=BB6_20708 Depth=3
	v_or_b32_sdwa v0, v2, s44 dst_sel:DWORD dst_unused:UNUSED_PAD src0_sel:BYTE_3 src1_sel:DWORD
	buffer_store_dword v0, off, s[0:3], s33 offset:140 ; 4-byte Folded Spill
                                        ; implicit-def: $vgpr2
.LBB6_22365:                            ;   in Loop: Header=BB6_20708 Depth=3
	s_andn2_saveexec_b64 s[30:31], vcc
	s_cbranch_execz .LBB6_22367
; %bb.22366:                            ;   in Loop: Header=BB6_20708 Depth=3
	v_cmp_lt_i32_e32 vcc, -1, v2
	v_bfrev_b32_e32 v0, 0.5
	v_mov_b32_e32 v1, 0x7c
	v_cndmask_b32_e32 v0, v0, v1, vcc
	buffer_store_dword v0, off, s[0:3], s33 offset:140 ; 4-byte Folded Spill
.LBB6_22367:                            ;   in Loop: Header=BB6_20708 Depth=3
	s_or_b64 exec, exec, s[30:31]
.LBB6_22368:                            ;   in Loop: Header=BB6_20708 Depth=3
	s_or_b64 exec, exec, s[28:29]
	v_cmp_lt_u32_e32 vcc, s57, v10
	v_mov_b32_e32 v1, 0
	s_and_saveexec_b64 s[28:29], vcc
	s_cbranch_execz .LBB6_22376
; %bb.22369:                            ;   in Loop: Header=BB6_20708 Depth=3
	v_lshrrev_b32_e32 v0, 24, v10
	v_cmp_ne_u32_e32 vcc, s97, v0
	v_bfrev_b32_e32 v1, 1
	s_and_saveexec_b64 s[30:31], vcc
	s_cbranch_execz .LBB6_22375
; %bb.22370:                            ;   in Loop: Header=BB6_20708 Depth=3
	v_and_b32_e32 v1, 0x7c000000, v10
	v_bfe_u32 v2, v10, 24, 2
	v_cmp_ne_u32_e32 vcc, s68, v1
                                        ; implicit-def: $vgpr1
	s_and_saveexec_b64 s[62:63], vcc
	s_xor_b64 s[34:35], exec, s[62:63]
	s_cbranch_execz .LBB6_22372
; %bb.22371:                            ;   in Loop: Header=BB6_20708 Depth=3
	v_ffbh_u32_e32 v1, v2
	v_min_u32_e32 v8, 32, v1
	v_subrev_u32_e32 v1, 29, v8
	v_lshlrev_b64 v[0:1], v1, v[0:1]
	v_bfe_u32 v3, v10, 26, 5
	v_sub_u32_e32 v1, 30, v8
	v_and_b32_e32 v0, 3, v0
	v_cmp_eq_u32_e32 vcc, 0, v3
	v_cndmask_b32_e32 v1, v3, v1, vcc
	v_cndmask_b32_e32 v0, v2, v0, vcc
	v_and_b32_e32 v2, 0x80000000, v10
	v_lshl_add_u32 v1, v1, 23, v2
	v_lshl_or_b32 v0, v0, 21, v1
	v_add_u32_e32 v1, 0x38000000, v0
                                        ; implicit-def: $vgpr2
.LBB6_22372:                            ;   in Loop: Header=BB6_20708 Depth=3
	s_andn2_saveexec_b64 s[34:35], s[34:35]
; %bb.22373:                            ;   in Loop: Header=BB6_20708 Depth=3
	v_cmp_lt_i32_e32 vcc, -1, v10
	v_mov_b32_e32 v0, 0xff800000
	v_mov_b32_e32 v1, 0x7f800000
	v_cndmask_b32_e32 v0, v0, v1, vcc
	v_cmp_eq_u32_e32 vcc, 0, v2
	v_mov_b32_e32 v1, 0x7f800001
	v_cndmask_b32_e32 v1, v1, v0, vcc
; %bb.22374:                            ;   in Loop: Header=BB6_20708 Depth=3
	s_or_b64 exec, exec, s[34:35]
.LBB6_22375:                            ;   in Loop: Header=BB6_20708 Depth=3
	s_or_b64 exec, exec, s[30:31]
.LBB6_22376:                            ;   in Loop: Header=BB6_20708 Depth=3
	s_or_b64 exec, exec, s[28:29]
	v_mul_f32_e32 v2, v12, v1
	v_and_b32_e32 v8, 0x7f800000, v2
	v_mov_b32_e32 v9, v33
	v_cmp_ne_u64_e32 vcc, s[76:77], v[8:9]
	v_and_b32_e32 v0, 0x7fffff, v2
	v_mov_b32_e32 v1, v33
                                        ; implicit-def: $vgpr3
                                        ; kill: killed $vgpr3
	s_and_saveexec_b64 s[28:29], vcc
	s_xor_b64 s[30:31], exec, s[28:29]
	s_cbranch_execz .LBB6_22390
; %bb.22377:                            ;   in Loop: Header=BB6_20708 Depth=3
	v_and_b32_e32 v8, 0x7fffffff, v2
	v_mov_b32_e32 v9, v33
	v_cmp_gt_u64_e32 vcc, s[78:79], v[8:9]
	v_and_b32_sdwa v3, v2, s97 dst_sel:DWORD dst_unused:UNUSED_PAD src0_sel:BYTE_3 src1_sel:DWORD
                                        ; implicit-def: $vgpr8
                                        ; kill: killed $vgpr8
	s_and_saveexec_b64 s[28:29], vcc
	s_xor_b64 s[34:35], exec, s[28:29]
	s_cbranch_execz .LBB6_22387
; %bb.22378:                            ;   in Loop: Header=BB6_20708 Depth=3
	v_mov_b32_e32 v8, 0
	v_cmp_ne_u32_e32 vcc, 0, v2
	buffer_store_dword v8, off, s[0:3], s33 offset:164 ; 4-byte Folded Spill
	s_and_saveexec_b64 s[36:37], vcc
	s_cbranch_execz .LBB6_22386
; %bb.22379:                            ;   in Loop: Header=BB6_20708 Depth=3
	v_bfe_u32 v8, v2, 23, 8
	v_cmp_gt_u32_e64 s[28:29], s47, v8
	v_sub_u32_e32 v2, 0x71, v8
	v_cmp_eq_u32_e32 vcc, 0, v8
	v_cndmask_b32_e64 v2, 0, v2, s[28:29]
	v_mov_b32_e32 v9, 0x70
	v_cndmask_b32_e32 v9, v2, v9, vcc
	v_or_b32_e32 v13, 0x800000, v0
	v_add_u32_e32 v2, 21, v9
	v_cndmask_b32_e32 v0, v13, v0, vcc
	v_lshlrev_b64 v[13:14], v2, -1
	v_add_u32_e32 v2, 20, v9
	v_bfi_b32 v13, v13, 0, v0
	v_lshlrev_b64 v[15:16], v2, 1
	v_lshrrev_b64 v[0:1], v9, v[0:1]
	v_bfi_b32 v14, v14, 0, 0
	v_cmp_eq_u64_e64 s[28:29], v[13:14], v[15:16]
	v_mov_b32_e32 v2, v1
	v_mov_b32_e32 v1, v0
	s_and_saveexec_b64 s[38:39], s[28:29]
; %bb.22380:                            ;   in Loop: Header=BB6_20708 Depth=3
	v_bfe_u32 v1, v0, 21, 1
	v_add_co_u32_e64 v1, s[28:29], v0, v1
	v_add_co_u32_e64 v1, s[28:29], -1, v1
; %bb.22381:                            ;   in Loop: Header=BB6_20708 Depth=3
	s_or_b64 exec, exec, s[38:39]
	v_add_u32_e32 v2, 0xffffff81, v8
	v_mov_b32_e32 v8, 0xffffff82
	v_cndmask_b32_e32 v2, v2, v8, vcc
	v_lshrrev_b32_e32 v8, 23, v0
	v_add3_u32 v9, v9, v2, v8
	v_add_u32_e32 v8, 14, v9
	v_and_b32_e32 v1, 0x1fffff, v1
	v_add_u32_e32 v0, v1, v0
	v_mov_b32_e32 v1, v33
	v_cmp_ne_u32_e32 vcc, 0, v8
                                        ; implicit-def: $vgpr2
	s_and_saveexec_b64 s[28:29], vcc
	s_xor_b64 s[28:29], exec, s[28:29]
; %bb.22382:                            ;   in Loop: Header=BB6_20708 Depth=3
	v_cmp_lt_u64_e32 vcc, s[88:89], v[0:1]
	v_add_u32_e32 v2, 15, v9
	v_cndmask_b32_e32 v2, v8, v2, vcc
	v_cndmask_b32_e64 v8, 0, 1, vcc
	v_lshrrev_b64 v[0:1], v8, v[0:1]
; %bb.22383:                            ;   in Loop: Header=BB6_20708 Depth=3
	s_andn2_saveexec_b64 s[28:29], s[28:29]
; %bb.22384:                            ;   in Loop: Header=BB6_20708 Depth=3
	v_bfe_u32 v2, v0, 23, 1
; %bb.22385:                            ;   in Loop: Header=BB6_20708 Depth=3
	s_or_b64 exec, exec, s[28:29]
	v_lshrrev_b64 v[0:1], 21, v[0:1]
	v_cmp_gt_i32_e32 vcc, 32, v2
	v_cndmask_b32_e32 v1, 0, v1, vcc
	v_cndmask_b32_e32 v0, 3, v0, vcc
	v_cmp_eq_u64_e64 s[28:29], 0, v[0:1]
	v_min_i32_e32 v1, 31, v2
	v_lshlrev_b32_e32 v1, 2, v1
	v_cmp_eq_u32_e32 vcc, 0, v2
	v_and_b32_e32 v1, 0xfc, v1
	v_and_or_b32 v0, v0, 3, v1
	s_and_b64 s[28:29], vcc, s[28:29]
	v_cndmask_b32_e64 v0, v0, 0, s[28:29]
	v_or_b32_e32 v0, v0, v3
	buffer_store_dword v0, off, s[0:3], s33 offset:164 ; 4-byte Folded Spill
.LBB6_22386:                            ;   in Loop: Header=BB6_20708 Depth=3
	s_or_b64 exec, exec, s[36:37]
                                        ; implicit-def: $vgpr3
.LBB6_22387:                            ;   in Loop: Header=BB6_20708 Depth=3
	s_andn2_saveexec_b64 s[28:29], s[34:35]
	s_cbranch_execz .LBB6_22389
; %bb.22388:                            ;   in Loop: Header=BB6_20708 Depth=3
	v_or_b32_e32 v0, 0x7b, v3
	buffer_store_dword v0, off, s[0:3], s33 offset:164 ; 4-byte Folded Spill
.LBB6_22389:                            ;   in Loop: Header=BB6_20708 Depth=3
	s_or_b64 exec, exec, s[28:29]
                                        ; implicit-def: $vgpr2
                                        ; implicit-def: $vgpr0_vgpr1
.LBB6_22390:                            ;   in Loop: Header=BB6_20708 Depth=3
	s_andn2_saveexec_b64 s[28:29], s[30:31]
	s_cbranch_execz .LBB6_22396
; %bb.22391:                            ;   in Loop: Header=BB6_20708 Depth=3
	v_cmp_ne_u64_e32 vcc, 0, v[0:1]
                                        ; implicit-def: $vgpr0
                                        ; kill: killed $vgpr0
	s_and_saveexec_b64 s[62:63], vcc
	s_xor_b64 vcc, exec, s[62:63]
	s_cbranch_execz .LBB6_22393
; %bb.22392:                            ;   in Loop: Header=BB6_20708 Depth=3
	v_or_b32_sdwa v0, v2, s44 dst_sel:DWORD dst_unused:UNUSED_PAD src0_sel:BYTE_3 src1_sel:DWORD
	buffer_store_dword v0, off, s[0:3], s33 offset:164 ; 4-byte Folded Spill
                                        ; implicit-def: $vgpr2
.LBB6_22393:                            ;   in Loop: Header=BB6_20708 Depth=3
	s_andn2_saveexec_b64 s[30:31], vcc
	s_cbranch_execz .LBB6_22395
; %bb.22394:                            ;   in Loop: Header=BB6_20708 Depth=3
	v_cmp_lt_i32_e32 vcc, -1, v2
	v_bfrev_b32_e32 v0, 0.5
	v_mov_b32_e32 v1, 0x7c
	v_cndmask_b32_e32 v0, v0, v1, vcc
	buffer_store_dword v0, off, s[0:3], s33 offset:164 ; 4-byte Folded Spill
.LBB6_22395:                            ;   in Loop: Header=BB6_20708 Depth=3
	s_or_b64 exec, exec, s[30:31]
.LBB6_22396:                            ;   in Loop: Header=BB6_20708 Depth=3
	s_or_b64 exec, exec, s[28:29]
	v_mov_b32_e32 v0, v11
	v_mov_b32_e32 v1, v33
	v_cmp_ne_u16_sdwa s[62:63], v11, v33 src0_sel:BYTE_0 src1_sel:DWORD
	v_mov_b32_e32 v2, 0
	s_and_saveexec_b64 s[28:29], s[62:63]
	s_cbranch_execz .LBB6_22404
; %bb.22397:                            ;   in Loop: Header=BB6_20708 Depth=3
	v_cmp_ne_u16_sdwa s[62:63], v11, s97 src0_sel:BYTE_0 src1_sel:DWORD
	v_bfrev_b32_e32 v2, 1
	s_and_saveexec_b64 s[30:31], s[62:63]
	s_cbranch_execz .LBB6_22403
; %bb.22398:                            ;   in Loop: Header=BB6_20708 Depth=3
	v_and_b32_e32 v2, 0x7c, v11
	v_and_b32_e32 v3, 3, v11
	v_cmp_ne_u32_e32 vcc, s86, v2
                                        ; implicit-def: $vgpr2
	s_and_saveexec_b64 s[62:63], vcc
	s_xor_b64 s[34:35], exec, s[62:63]
	s_cbranch_execz .LBB6_22400
; %bb.22399:                            ;   in Loop: Header=BB6_20708 Depth=3
	v_ffbh_u32_e32 v2, v3
	v_min_u32_e32 v9, 32, v2
	v_subrev_u32_e32 v2, 29, v9
	v_lshlrev_b64 v[1:2], v2, v[0:1]
	v_bfe_u32 v8, v11, 2, 5
	v_and_b32_e32 v1, 3, v1
	v_cmp_eq_u32_e32 vcc, 0, v8
	v_sub_u32_e32 v2, 30, v9
	v_cndmask_b32_e32 v1, v3, v1, vcc
	v_lshlrev_b32_e32 v3, 24, v11
	v_cndmask_b32_e32 v2, v8, v2, vcc
	v_and_b32_e32 v3, 0x80000000, v3
	v_lshl_add_u32 v2, v2, 23, v3
	v_lshl_or_b32 v1, v1, 21, v2
	v_add_u32_e32 v2, 0x38000000, v1
                                        ; implicit-def: $vgpr3
.LBB6_22400:                            ;   in Loop: Header=BB6_20708 Depth=3
	s_andn2_saveexec_b64 s[34:35], s[34:35]
; %bb.22401:                            ;   in Loop: Header=BB6_20708 Depth=3
	v_mov_b32_e32 v1, -1
	v_cmp_gt_i16_sdwa vcc, sext(v11), v1 src0_sel:BYTE_0 src1_sel:DWORD
	v_mov_b32_e32 v1, 0xff800000
	v_mov_b32_e32 v2, 0x7f800000
	v_cndmask_b32_e32 v1, v1, v2, vcc
	v_cmp_eq_u32_e32 vcc, 0, v3
	v_mov_b32_e32 v2, 0x7f800001
	v_cndmask_b32_e32 v2, v2, v1, vcc
; %bb.22402:                            ;   in Loop: Header=BB6_20708 Depth=3
	s_or_b64 exec, exec, s[34:35]
.LBB6_22403:                            ;   in Loop: Header=BB6_20708 Depth=3
	s_or_b64 exec, exec, s[30:31]
.LBB6_22404:                            ;   in Loop: Header=BB6_20708 Depth=3
	s_or_b64 exec, exec, s[28:29]
	v_mul_f32_e32 v3, v12, v2
	v_and_b32_e32 v8, 0x7f800000, v3
	v_mov_b32_e32 v9, v33
	v_cmp_ne_u64_e32 vcc, s[76:77], v[8:9]
	v_and_b32_e32 v1, 0x7fffff, v3
	v_mov_b32_e32 v2, v33
                                        ; implicit-def: $vgpr24
	s_and_saveexec_b64 s[28:29], vcc
	s_xor_b64 s[30:31], exec, s[28:29]
	s_cbranch_execz .LBB6_22418
; %bb.22405:                            ;   in Loop: Header=BB6_20708 Depth=3
	v_and_b32_e32 v8, 0x7fffffff, v3
	v_mov_b32_e32 v9, v33
	v_cmp_gt_u64_e32 vcc, s[78:79], v[8:9]
	v_and_b32_sdwa v8, v3, s97 dst_sel:DWORD dst_unused:UNUSED_PAD src0_sel:BYTE_3 src1_sel:DWORD
                                        ; implicit-def: $vgpr24
	s_and_saveexec_b64 s[28:29], vcc
	s_xor_b64 s[34:35], exec, s[28:29]
	s_cbranch_execz .LBB6_22415
; %bb.22406:                            ;   in Loop: Header=BB6_20708 Depth=3
	v_mov_b32_e32 v24, 0
	v_cmp_ne_u32_e32 vcc, 0, v3
	s_and_saveexec_b64 s[36:37], vcc
	s_cbranch_execz .LBB6_22414
; %bb.22407:                            ;   in Loop: Header=BB6_20708 Depth=3
	v_bfe_u32 v9, v3, 23, 8
	v_cmp_gt_u32_e64 s[28:29], s47, v9
	v_sub_u32_e32 v3, 0x71, v9
	v_cmp_eq_u32_e32 vcc, 0, v9
	v_cndmask_b32_e64 v3, 0, v3, s[28:29]
	v_mov_b32_e32 v13, 0x70
	v_cndmask_b32_e32 v13, v3, v13, vcc
	v_or_b32_e32 v14, 0x800000, v1
	v_add_u32_e32 v3, 21, v13
	v_cndmask_b32_e32 v1, v14, v1, vcc
	v_lshlrev_b64 v[14:15], v3, -1
	v_add_u32_e32 v3, 20, v13
	v_bfi_b32 v14, v14, 0, v1
	v_lshlrev_b64 v[16:17], v3, 1
	v_lshrrev_b64 v[1:2], v13, v[1:2]
	v_bfi_b32 v15, v15, 0, 0
	v_cmp_eq_u64_e64 s[28:29], v[14:15], v[16:17]
	v_mov_b32_e32 v3, v2
	v_mov_b32_e32 v2, v1
	s_and_saveexec_b64 s[38:39], s[28:29]
; %bb.22408:                            ;   in Loop: Header=BB6_20708 Depth=3
	v_bfe_u32 v2, v1, 21, 1
	v_add_co_u32_e64 v2, s[28:29], v1, v2
	v_add_co_u32_e64 v2, s[28:29], -1, v2
; %bb.22409:                            ;   in Loop: Header=BB6_20708 Depth=3
	s_or_b64 exec, exec, s[38:39]
	v_add_u32_e32 v3, 0xffffff81, v9
	v_mov_b32_e32 v9, 0xffffff82
	v_cndmask_b32_e32 v3, v3, v9, vcc
	v_lshrrev_b32_e32 v9, 23, v1
	v_add3_u32 v13, v13, v3, v9
	v_add_u32_e32 v9, 14, v13
	v_and_b32_e32 v2, 0x1fffff, v2
	v_add_u32_e32 v1, v2, v1
	v_mov_b32_e32 v2, v33
	v_cmp_ne_u32_e32 vcc, 0, v9
                                        ; implicit-def: $vgpr3
	s_and_saveexec_b64 s[28:29], vcc
	s_xor_b64 s[28:29], exec, s[28:29]
; %bb.22410:                            ;   in Loop: Header=BB6_20708 Depth=3
	v_cmp_lt_u64_e32 vcc, s[88:89], v[1:2]
	v_add_u32_e32 v3, 15, v13
	v_cndmask_b32_e32 v3, v9, v3, vcc
	v_cndmask_b32_e64 v9, 0, 1, vcc
	v_lshrrev_b64 v[1:2], v9, v[1:2]
; %bb.22411:                            ;   in Loop: Header=BB6_20708 Depth=3
	s_andn2_saveexec_b64 s[28:29], s[28:29]
; %bb.22412:                            ;   in Loop: Header=BB6_20708 Depth=3
	v_bfe_u32 v3, v1, 23, 1
; %bb.22413:                            ;   in Loop: Header=BB6_20708 Depth=3
	s_or_b64 exec, exec, s[28:29]
	v_lshrrev_b64 v[1:2], 21, v[1:2]
	v_cmp_gt_i32_e32 vcc, 32, v3
	v_cndmask_b32_e32 v2, 0, v2, vcc
	v_cndmask_b32_e32 v1, 3, v1, vcc
	v_cmp_eq_u64_e64 s[28:29], 0, v[1:2]
	v_min_i32_e32 v2, 31, v3
	v_lshlrev_b32_e32 v2, 2, v2
	v_cmp_eq_u32_e32 vcc, 0, v3
	v_and_b32_e32 v2, 0xfc, v2
	v_and_or_b32 v1, v1, 3, v2
	s_and_b64 s[28:29], vcc, s[28:29]
	v_cndmask_b32_e64 v1, v1, 0, s[28:29]
	v_or_b32_e32 v24, v1, v8
.LBB6_22414:                            ;   in Loop: Header=BB6_20708 Depth=3
	s_or_b64 exec, exec, s[36:37]
                                        ; implicit-def: $vgpr8
.LBB6_22415:                            ;   in Loop: Header=BB6_20708 Depth=3
	s_andn2_saveexec_b64 s[28:29], s[34:35]
; %bb.22416:                            ;   in Loop: Header=BB6_20708 Depth=3
	v_or_b32_e32 v24, 0x7b, v8
; %bb.22417:                            ;   in Loop: Header=BB6_20708 Depth=3
	s_or_b64 exec, exec, s[28:29]
                                        ; implicit-def: $vgpr3
                                        ; implicit-def: $vgpr1_vgpr2
.LBB6_22418:                            ;   in Loop: Header=BB6_20708 Depth=3
	s_andn2_saveexec_b64 s[28:29], s[30:31]
	s_cbranch_execz .LBB6_22424
; %bb.22419:                            ;   in Loop: Header=BB6_20708 Depth=3
	v_cmp_ne_u64_e32 vcc, 0, v[1:2]
                                        ; implicit-def: $vgpr24
	s_and_saveexec_b64 s[62:63], vcc
	s_xor_b64 vcc, exec, s[62:63]
; %bb.22420:                            ;   in Loop: Header=BB6_20708 Depth=3
	v_or_b32_sdwa v24, v3, s44 dst_sel:DWORD dst_unused:UNUSED_PAD src0_sel:BYTE_3 src1_sel:DWORD
                                        ; implicit-def: $vgpr3
; %bb.22421:                            ;   in Loop: Header=BB6_20708 Depth=3
	s_andn2_saveexec_b64 s[30:31], vcc
; %bb.22422:                            ;   in Loop: Header=BB6_20708 Depth=3
	v_cmp_lt_i32_e32 vcc, -1, v3
	v_bfrev_b32_e32 v1, 0.5
	v_mov_b32_e32 v2, 0x7c
	v_cndmask_b32_e32 v24, v1, v2, vcc
; %bb.22423:                            ;   in Loop: Header=BB6_20708 Depth=3
	s_or_b64 exec, exec, s[30:31]
.LBB6_22424:                            ;   in Loop: Header=BB6_20708 Depth=3
	s_or_b64 exec, exec, s[28:29]
	v_lshrrev_b16_e32 v1, 8, v0
	v_cmp_ne_u16_e32 vcc, 0, v1
	v_mov_b32_e32 v2, 0
	s_and_saveexec_b64 s[28:29], vcc
	s_cbranch_execz .LBB6_22432
; %bb.22425:                            ;   in Loop: Header=BB6_20708 Depth=3
	v_cmp_ne_u16_e32 vcc, s97, v1
	v_bfrev_b32_e32 v2, 1
	s_and_saveexec_b64 s[30:31], vcc
	s_cbranch_execz .LBB6_22431
; %bb.22426:                            ;   in Loop: Header=BB6_20708 Depth=3
	v_and_b32_e32 v2, 0x7c, v1
	v_and_b32_e32 v3, 3, v1
	v_cmp_ne_u32_e32 vcc, s86, v2
                                        ; implicit-def: $vgpr2
	s_and_saveexec_b64 s[62:63], vcc
	s_xor_b64 s[34:35], exec, s[62:63]
	s_cbranch_execz .LBB6_22428
; %bb.22427:                            ;   in Loop: Header=BB6_20708 Depth=3
	v_ffbh_u32_e32 v9, v3
	v_min_u32_e32 v9, 32, v9
	v_mov_b32_e32 v2, v33
	v_subrev_u32_e32 v13, 29, v9
	v_bfe_u32 v8, v1, 2, 5
	v_lshlrev_b64 v[1:2], v13, v[1:2]
	v_sub_u32_e32 v2, 30, v9
	v_cmp_eq_u32_e32 vcc, 0, v8
	v_lshlrev_b32_e32 v0, 16, v0
	v_and_b32_e32 v1, 3, v1
	v_cndmask_b32_e32 v2, v8, v2, vcc
	v_and_b32_e32 v0, 0x80000000, v0
	v_cndmask_b32_e32 v1, v3, v1, vcc
	v_lshl_add_u32 v0, v2, 23, v0
	v_lshl_or_b32 v0, v1, 21, v0
	v_add_u32_e32 v2, 0x38000000, v0
                                        ; implicit-def: $vgpr3
                                        ; implicit-def: $vgpr0_vgpr1
.LBB6_22428:                            ;   in Loop: Header=BB6_20708 Depth=3
	s_andn2_saveexec_b64 s[34:35], s[34:35]
; %bb.22429:                            ;   in Loop: Header=BB6_20708 Depth=3
	v_cmp_lt_i16_e32 vcc, -1, v0
	v_mov_b32_e32 v0, 0xff800000
	v_mov_b32_e32 v1, 0x7f800000
	v_cndmask_b32_e32 v0, v0, v1, vcc
	v_cmp_eq_u32_e32 vcc, 0, v3
	v_mov_b32_e32 v1, 0x7f800001
	v_cndmask_b32_e32 v2, v1, v0, vcc
; %bb.22430:                            ;   in Loop: Header=BB6_20708 Depth=3
	s_or_b64 exec, exec, s[34:35]
.LBB6_22431:                            ;   in Loop: Header=BB6_20708 Depth=3
	s_or_b64 exec, exec, s[30:31]
.LBB6_22432:                            ;   in Loop: Header=BB6_20708 Depth=3
	s_or_b64 exec, exec, s[28:29]
	v_mul_f32_e32 v2, v12, v2
	v_and_b32_e32 v8, 0x7f800000, v2
	v_mov_b32_e32 v9, v33
	v_cmp_ne_u64_e32 vcc, s[76:77], v[8:9]
	v_and_b32_e32 v0, 0x7fffff, v2
	v_mov_b32_e32 v1, v33
                                        ; implicit-def: $vgpr3
                                        ; kill: killed $vgpr3
	s_and_saveexec_b64 s[28:29], vcc
	s_xor_b64 s[30:31], exec, s[28:29]
	s_cbranch_execz .LBB6_22446
; %bb.22433:                            ;   in Loop: Header=BB6_20708 Depth=3
	v_and_b32_e32 v8, 0x7fffffff, v2
	v_mov_b32_e32 v9, v33
	v_cmp_gt_u64_e32 vcc, s[78:79], v[8:9]
	v_and_b32_sdwa v3, v2, s97 dst_sel:DWORD dst_unused:UNUSED_PAD src0_sel:BYTE_3 src1_sel:DWORD
                                        ; implicit-def: $vgpr8
                                        ; kill: killed $vgpr8
	s_and_saveexec_b64 s[28:29], vcc
	s_xor_b64 s[34:35], exec, s[28:29]
	s_cbranch_execz .LBB6_22443
; %bb.22434:                            ;   in Loop: Header=BB6_20708 Depth=3
	v_mov_b32_e32 v8, 0
	v_cmp_ne_u32_e32 vcc, 0, v2
	buffer_store_dword v8, off, s[0:3], s33 offset:100 ; 4-byte Folded Spill
	s_and_saveexec_b64 s[36:37], vcc
	s_cbranch_execz .LBB6_22442
; %bb.22435:                            ;   in Loop: Header=BB6_20708 Depth=3
	v_bfe_u32 v8, v2, 23, 8
	v_cmp_gt_u32_e64 s[28:29], s47, v8
	v_sub_u32_e32 v2, 0x71, v8
	v_cmp_eq_u32_e32 vcc, 0, v8
	v_cndmask_b32_e64 v2, 0, v2, s[28:29]
	v_mov_b32_e32 v9, 0x70
	v_cndmask_b32_e32 v9, v2, v9, vcc
	v_or_b32_e32 v13, 0x800000, v0
	v_add_u32_e32 v2, 21, v9
	v_cndmask_b32_e32 v0, v13, v0, vcc
	v_lshlrev_b64 v[13:14], v2, -1
	v_add_u32_e32 v2, 20, v9
	v_bfi_b32 v13, v13, 0, v0
	v_lshlrev_b64 v[15:16], v2, 1
	v_lshrrev_b64 v[0:1], v9, v[0:1]
	v_bfi_b32 v14, v14, 0, 0
	v_cmp_eq_u64_e64 s[28:29], v[13:14], v[15:16]
	v_mov_b32_e32 v2, v1
	v_mov_b32_e32 v1, v0
	s_and_saveexec_b64 s[38:39], s[28:29]
; %bb.22436:                            ;   in Loop: Header=BB6_20708 Depth=3
	v_bfe_u32 v1, v0, 21, 1
	v_add_co_u32_e64 v1, s[28:29], v0, v1
	v_add_co_u32_e64 v1, s[28:29], -1, v1
; %bb.22437:                            ;   in Loop: Header=BB6_20708 Depth=3
	s_or_b64 exec, exec, s[38:39]
	v_add_u32_e32 v2, 0xffffff81, v8
	v_mov_b32_e32 v8, 0xffffff82
	v_cndmask_b32_e32 v2, v2, v8, vcc
	v_lshrrev_b32_e32 v8, 23, v0
	v_add3_u32 v9, v9, v2, v8
	v_add_u32_e32 v8, 14, v9
	v_and_b32_e32 v1, 0x1fffff, v1
	v_add_u32_e32 v0, v1, v0
	v_mov_b32_e32 v1, v33
	v_cmp_ne_u32_e32 vcc, 0, v8
                                        ; implicit-def: $vgpr2
	s_and_saveexec_b64 s[28:29], vcc
	s_xor_b64 s[28:29], exec, s[28:29]
; %bb.22438:                            ;   in Loop: Header=BB6_20708 Depth=3
	v_cmp_lt_u64_e32 vcc, s[88:89], v[0:1]
	v_add_u32_e32 v2, 15, v9
	v_cndmask_b32_e32 v2, v8, v2, vcc
	v_cndmask_b32_e64 v8, 0, 1, vcc
	v_lshrrev_b64 v[0:1], v8, v[0:1]
; %bb.22439:                            ;   in Loop: Header=BB6_20708 Depth=3
	s_andn2_saveexec_b64 s[28:29], s[28:29]
; %bb.22440:                            ;   in Loop: Header=BB6_20708 Depth=3
	v_bfe_u32 v2, v0, 23, 1
; %bb.22441:                            ;   in Loop: Header=BB6_20708 Depth=3
	s_or_b64 exec, exec, s[28:29]
	v_lshrrev_b64 v[0:1], 21, v[0:1]
	v_cmp_gt_i32_e32 vcc, 32, v2
	v_cndmask_b32_e32 v1, 0, v1, vcc
	v_cndmask_b32_e32 v0, 3, v0, vcc
	v_cmp_eq_u64_e64 s[28:29], 0, v[0:1]
	v_min_i32_e32 v1, 31, v2
	v_lshlrev_b32_e32 v1, 2, v1
	v_cmp_eq_u32_e32 vcc, 0, v2
	v_and_b32_e32 v1, 0xfc, v1
	v_and_or_b32 v0, v0, 3, v1
	s_and_b64 s[28:29], vcc, s[28:29]
	v_cndmask_b32_e64 v0, v0, 0, s[28:29]
	v_or_b32_e32 v0, v0, v3
	buffer_store_dword v0, off, s[0:3], s33 offset:100 ; 4-byte Folded Spill
.LBB6_22442:                            ;   in Loop: Header=BB6_20708 Depth=3
	s_or_b64 exec, exec, s[36:37]
                                        ; implicit-def: $vgpr3
.LBB6_22443:                            ;   in Loop: Header=BB6_20708 Depth=3
	s_andn2_saveexec_b64 s[28:29], s[34:35]
	s_cbranch_execz .LBB6_22445
; %bb.22444:                            ;   in Loop: Header=BB6_20708 Depth=3
	v_or_b32_e32 v0, 0x7b, v3
	buffer_store_dword v0, off, s[0:3], s33 offset:100 ; 4-byte Folded Spill
.LBB6_22445:                            ;   in Loop: Header=BB6_20708 Depth=3
	s_or_b64 exec, exec, s[28:29]
                                        ; implicit-def: $vgpr2
                                        ; implicit-def: $vgpr0_vgpr1
.LBB6_22446:                            ;   in Loop: Header=BB6_20708 Depth=3
	s_andn2_saveexec_b64 s[28:29], s[30:31]
	s_cbranch_execz .LBB6_22452
; %bb.22447:                            ;   in Loop: Header=BB6_20708 Depth=3
	v_cmp_ne_u64_e32 vcc, 0, v[0:1]
                                        ; implicit-def: $vgpr0
                                        ; kill: killed $vgpr0
	s_and_saveexec_b64 s[62:63], vcc
	s_xor_b64 vcc, exec, s[62:63]
	s_cbranch_execz .LBB6_22449
; %bb.22448:                            ;   in Loop: Header=BB6_20708 Depth=3
	v_or_b32_sdwa v0, v2, s44 dst_sel:DWORD dst_unused:UNUSED_PAD src0_sel:BYTE_3 src1_sel:DWORD
	buffer_store_dword v0, off, s[0:3], s33 offset:100 ; 4-byte Folded Spill
                                        ; implicit-def: $vgpr2
.LBB6_22449:                            ;   in Loop: Header=BB6_20708 Depth=3
	s_andn2_saveexec_b64 s[30:31], vcc
	s_cbranch_execz .LBB6_22451
; %bb.22450:                            ;   in Loop: Header=BB6_20708 Depth=3
	v_cmp_lt_i32_e32 vcc, -1, v2
	v_bfrev_b32_e32 v0, 0.5
	v_mov_b32_e32 v1, 0x7c
	v_cndmask_b32_e32 v0, v0, v1, vcc
	buffer_store_dword v0, off, s[0:3], s33 offset:100 ; 4-byte Folded Spill
.LBB6_22451:                            ;   in Loop: Header=BB6_20708 Depth=3
	s_or_b64 exec, exec, s[30:31]
.LBB6_22452:                            ;   in Loop: Header=BB6_20708 Depth=3
	s_or_b64 exec, exec, s[28:29]
	v_lshrrev_b32_e32 v0, 16, v11
	v_cmp_ne_u16_sdwa s[62:63], v0, v33 src0_sel:BYTE_0 src1_sel:DWORD
	v_mov_b32_e32 v1, 0
	s_and_saveexec_b64 s[28:29], s[62:63]
	s_cbranch_execz .LBB6_22460
; %bb.22453:                            ;   in Loop: Header=BB6_20708 Depth=3
	v_cmp_ne_u16_sdwa s[62:63], v0, s97 src0_sel:BYTE_0 src1_sel:DWORD
	v_bfrev_b32_e32 v1, 1
	s_and_saveexec_b64 s[30:31], s[62:63]
	s_cbranch_execz .LBB6_22459
; %bb.22454:                            ;   in Loop: Header=BB6_20708 Depth=3
	v_and_b32_e32 v1, 0x7c0000, v11
	v_bfe_u32 v2, v11, 16, 2
	v_cmp_ne_u32_e32 vcc, s45, v1
                                        ; implicit-def: $vgpr1
	s_and_saveexec_b64 s[62:63], vcc
	s_xor_b64 s[34:35], exec, s[62:63]
	s_cbranch_execz .LBB6_22456
; %bb.22455:                            ;   in Loop: Header=BB6_20708 Depth=3
	v_ffbh_u32_e32 v1, v2
	v_min_u32_e32 v8, 32, v1
	v_subrev_u32_e32 v1, 29, v8
	v_lshlrev_b64 v[0:1], v1, v[0:1]
	v_bfe_u32 v3, v11, 18, 5
	v_and_b32_e32 v0, 3, v0
	v_cmp_eq_u32_e32 vcc, 0, v3
	v_sub_u32_e32 v1, 30, v8
	v_cndmask_b32_e32 v0, v2, v0, vcc
	v_lshlrev_b32_e32 v2, 8, v11
	v_cndmask_b32_e32 v1, v3, v1, vcc
	v_and_b32_e32 v2, 0x80000000, v2
	v_lshl_add_u32 v1, v1, 23, v2
	v_lshl_or_b32 v0, v0, 21, v1
	v_add_u32_e32 v1, 0x38000000, v0
                                        ; implicit-def: $vgpr2
                                        ; implicit-def: $vgpr0
.LBB6_22456:                            ;   in Loop: Header=BB6_20708 Depth=3
	s_andn2_saveexec_b64 s[34:35], s[34:35]
; %bb.22457:                            ;   in Loop: Header=BB6_20708 Depth=3
	v_mov_b32_e32 v1, -1
	v_cmp_gt_i16_sdwa vcc, sext(v0), v1 src0_sel:BYTE_0 src1_sel:DWORD
	v_mov_b32_e32 v0, 0xff800000
	v_mov_b32_e32 v1, 0x7f800000
	v_cndmask_b32_e32 v0, v0, v1, vcc
	v_cmp_eq_u32_e32 vcc, 0, v2
	v_mov_b32_e32 v1, 0x7f800001
	v_cndmask_b32_e32 v1, v1, v0, vcc
; %bb.22458:                            ;   in Loop: Header=BB6_20708 Depth=3
	s_or_b64 exec, exec, s[34:35]
.LBB6_22459:                            ;   in Loop: Header=BB6_20708 Depth=3
	s_or_b64 exec, exec, s[30:31]
.LBB6_22460:                            ;   in Loop: Header=BB6_20708 Depth=3
	s_or_b64 exec, exec, s[28:29]
	v_mul_f32_e32 v2, v12, v1
	v_and_b32_e32 v8, 0x7f800000, v2
	v_mov_b32_e32 v9, v33
	v_cmp_ne_u64_e32 vcc, s[76:77], v[8:9]
	v_and_b32_e32 v0, 0x7fffff, v2
	v_mov_b32_e32 v1, v33
                                        ; implicit-def: $vgpr3
                                        ; kill: killed $vgpr3
	s_and_saveexec_b64 s[28:29], vcc
	s_xor_b64 s[30:31], exec, s[28:29]
	s_cbranch_execz .LBB6_22474
; %bb.22461:                            ;   in Loop: Header=BB6_20708 Depth=3
	v_and_b32_e32 v8, 0x7fffffff, v2
	v_mov_b32_e32 v9, v33
	v_cmp_gt_u64_e32 vcc, s[78:79], v[8:9]
	v_and_b32_sdwa v3, v2, s97 dst_sel:DWORD dst_unused:UNUSED_PAD src0_sel:BYTE_3 src1_sel:DWORD
                                        ; implicit-def: $vgpr8
                                        ; kill: killed $vgpr8
	s_and_saveexec_b64 s[28:29], vcc
	s_xor_b64 s[34:35], exec, s[28:29]
	s_cbranch_execz .LBB6_22471
; %bb.22462:                            ;   in Loop: Header=BB6_20708 Depth=3
	v_mov_b32_e32 v8, 0
	v_cmp_ne_u32_e32 vcc, 0, v2
	buffer_store_dword v8, off, s[0:3], s33 offset:116 ; 4-byte Folded Spill
	s_and_saveexec_b64 s[36:37], vcc
	s_cbranch_execz .LBB6_22470
; %bb.22463:                            ;   in Loop: Header=BB6_20708 Depth=3
	v_bfe_u32 v8, v2, 23, 8
	v_cmp_gt_u32_e64 s[28:29], s47, v8
	v_sub_u32_e32 v2, 0x71, v8
	v_cmp_eq_u32_e32 vcc, 0, v8
	v_cndmask_b32_e64 v2, 0, v2, s[28:29]
	v_mov_b32_e32 v9, 0x70
	v_cndmask_b32_e32 v9, v2, v9, vcc
	v_or_b32_e32 v13, 0x800000, v0
	v_add_u32_e32 v2, 21, v9
	v_cndmask_b32_e32 v0, v13, v0, vcc
	v_lshlrev_b64 v[13:14], v2, -1
	v_add_u32_e32 v2, 20, v9
	v_bfi_b32 v13, v13, 0, v0
	v_lshlrev_b64 v[15:16], v2, 1
	v_lshrrev_b64 v[0:1], v9, v[0:1]
	v_bfi_b32 v14, v14, 0, 0
	v_cmp_eq_u64_e64 s[28:29], v[13:14], v[15:16]
	v_mov_b32_e32 v2, v1
	v_mov_b32_e32 v1, v0
	s_and_saveexec_b64 s[38:39], s[28:29]
; %bb.22464:                            ;   in Loop: Header=BB6_20708 Depth=3
	v_bfe_u32 v1, v0, 21, 1
	v_add_co_u32_e64 v1, s[28:29], v0, v1
	v_add_co_u32_e64 v1, s[28:29], -1, v1
; %bb.22465:                            ;   in Loop: Header=BB6_20708 Depth=3
	s_or_b64 exec, exec, s[38:39]
	v_add_u32_e32 v2, 0xffffff81, v8
	v_mov_b32_e32 v8, 0xffffff82
	v_cndmask_b32_e32 v2, v2, v8, vcc
	v_lshrrev_b32_e32 v8, 23, v0
	v_add3_u32 v9, v9, v2, v8
	v_add_u32_e32 v8, 14, v9
	v_and_b32_e32 v1, 0x1fffff, v1
	v_add_u32_e32 v0, v1, v0
	v_mov_b32_e32 v1, v33
	v_cmp_ne_u32_e32 vcc, 0, v8
                                        ; implicit-def: $vgpr2
	s_and_saveexec_b64 s[28:29], vcc
	s_xor_b64 s[28:29], exec, s[28:29]
; %bb.22466:                            ;   in Loop: Header=BB6_20708 Depth=3
	v_cmp_lt_u64_e32 vcc, s[88:89], v[0:1]
	v_add_u32_e32 v2, 15, v9
	v_cndmask_b32_e32 v2, v8, v2, vcc
	v_cndmask_b32_e64 v8, 0, 1, vcc
	v_lshrrev_b64 v[0:1], v8, v[0:1]
; %bb.22467:                            ;   in Loop: Header=BB6_20708 Depth=3
	s_andn2_saveexec_b64 s[28:29], s[28:29]
; %bb.22468:                            ;   in Loop: Header=BB6_20708 Depth=3
	v_bfe_u32 v2, v0, 23, 1
; %bb.22469:                            ;   in Loop: Header=BB6_20708 Depth=3
	s_or_b64 exec, exec, s[28:29]
	v_lshrrev_b64 v[0:1], 21, v[0:1]
	v_cmp_gt_i32_e32 vcc, 32, v2
	v_cndmask_b32_e32 v1, 0, v1, vcc
	v_cndmask_b32_e32 v0, 3, v0, vcc
	v_cmp_eq_u64_e64 s[28:29], 0, v[0:1]
	v_min_i32_e32 v1, 31, v2
	v_lshlrev_b32_e32 v1, 2, v1
	v_cmp_eq_u32_e32 vcc, 0, v2
	v_and_b32_e32 v1, 0xfc, v1
	v_and_or_b32 v0, v0, 3, v1
	s_and_b64 s[28:29], vcc, s[28:29]
	v_cndmask_b32_e64 v0, v0, 0, s[28:29]
	v_or_b32_e32 v0, v0, v3
	buffer_store_dword v0, off, s[0:3], s33 offset:116 ; 4-byte Folded Spill
.LBB6_22470:                            ;   in Loop: Header=BB6_20708 Depth=3
	s_or_b64 exec, exec, s[36:37]
                                        ; implicit-def: $vgpr3
.LBB6_22471:                            ;   in Loop: Header=BB6_20708 Depth=3
	s_andn2_saveexec_b64 s[28:29], s[34:35]
	s_cbranch_execz .LBB6_22473
; %bb.22472:                            ;   in Loop: Header=BB6_20708 Depth=3
	v_or_b32_e32 v0, 0x7b, v3
	buffer_store_dword v0, off, s[0:3], s33 offset:116 ; 4-byte Folded Spill
.LBB6_22473:                            ;   in Loop: Header=BB6_20708 Depth=3
	s_or_b64 exec, exec, s[28:29]
                                        ; implicit-def: $vgpr2
                                        ; implicit-def: $vgpr0_vgpr1
.LBB6_22474:                            ;   in Loop: Header=BB6_20708 Depth=3
	s_andn2_saveexec_b64 s[28:29], s[30:31]
	s_cbranch_execz .LBB6_22480
; %bb.22475:                            ;   in Loop: Header=BB6_20708 Depth=3
	v_cmp_ne_u64_e32 vcc, 0, v[0:1]
                                        ; implicit-def: $vgpr0
                                        ; kill: killed $vgpr0
	s_and_saveexec_b64 s[62:63], vcc
	s_xor_b64 vcc, exec, s[62:63]
	s_cbranch_execz .LBB6_22477
; %bb.22476:                            ;   in Loop: Header=BB6_20708 Depth=3
	v_or_b32_sdwa v0, v2, s44 dst_sel:DWORD dst_unused:UNUSED_PAD src0_sel:BYTE_3 src1_sel:DWORD
	buffer_store_dword v0, off, s[0:3], s33 offset:116 ; 4-byte Folded Spill
                                        ; implicit-def: $vgpr2
.LBB6_22477:                            ;   in Loop: Header=BB6_20708 Depth=3
	s_andn2_saveexec_b64 s[30:31], vcc
	s_cbranch_execz .LBB6_22479
; %bb.22478:                            ;   in Loop: Header=BB6_20708 Depth=3
	v_cmp_lt_i32_e32 vcc, -1, v2
	v_bfrev_b32_e32 v0, 0.5
	v_mov_b32_e32 v1, 0x7c
	v_cndmask_b32_e32 v0, v0, v1, vcc
	buffer_store_dword v0, off, s[0:3], s33 offset:116 ; 4-byte Folded Spill
.LBB6_22479:                            ;   in Loop: Header=BB6_20708 Depth=3
	s_or_b64 exec, exec, s[30:31]
.LBB6_22480:                            ;   in Loop: Header=BB6_20708 Depth=3
	s_or_b64 exec, exec, s[28:29]
	v_cmp_lt_u64_e32 vcc, s[56:57], v[10:11]
	v_mov_b32_e32 v1, 0
	s_and_saveexec_b64 s[28:29], vcc
	s_cbranch_execz .LBB6_22488
; %bb.22481:                            ;   in Loop: Header=BB6_20708 Depth=3
	v_lshrrev_b32_e32 v0, 24, v11
	v_cmp_ne_u32_e32 vcc, s97, v0
	v_bfrev_b32_e32 v1, 1
	s_and_saveexec_b64 s[30:31], vcc
	s_cbranch_execz .LBB6_22487
; %bb.22482:                            ;   in Loop: Header=BB6_20708 Depth=3
	v_and_b32_e32 v1, 0x7c000000, v11
	v_bfe_u32 v2, v11, 24, 2
	v_cmp_ne_u32_e32 vcc, s68, v1
                                        ; implicit-def: $vgpr1
	s_and_saveexec_b64 s[62:63], vcc
	s_xor_b64 s[34:35], exec, s[62:63]
	s_cbranch_execz .LBB6_22484
; %bb.22483:                            ;   in Loop: Header=BB6_20708 Depth=3
	v_ffbh_u32_e32 v1, v2
	v_min_u32_e32 v8, 32, v1
	v_subrev_u32_e32 v1, 29, v8
	v_lshlrev_b64 v[0:1], v1, v[0:1]
	v_bfe_u32 v3, v11, 26, 5
	v_sub_u32_e32 v1, 30, v8
	v_and_b32_e32 v0, 3, v0
	v_cmp_eq_u32_e32 vcc, 0, v3
	v_cndmask_b32_e32 v1, v3, v1, vcc
	v_cndmask_b32_e32 v0, v2, v0, vcc
	v_and_b32_e32 v2, 0x80000000, v11
	v_lshl_add_u32 v1, v1, 23, v2
	v_lshl_or_b32 v0, v0, 21, v1
	v_add_u32_e32 v1, 0x38000000, v0
                                        ; implicit-def: $vgpr2
                                        ; implicit-def: $vgpr10_vgpr11
.LBB6_22484:                            ;   in Loop: Header=BB6_20708 Depth=3
	s_andn2_saveexec_b64 s[34:35], s[34:35]
; %bb.22485:                            ;   in Loop: Header=BB6_20708 Depth=3
	v_cmp_lt_i64_e32 vcc, -1, v[10:11]
	v_mov_b32_e32 v0, 0xff800000
	v_mov_b32_e32 v1, 0x7f800000
	v_cndmask_b32_e32 v0, v0, v1, vcc
	v_cmp_eq_u32_e32 vcc, 0, v2
	v_mov_b32_e32 v1, 0x7f800001
	v_cndmask_b32_e32 v1, v1, v0, vcc
; %bb.22486:                            ;   in Loop: Header=BB6_20708 Depth=3
	s_or_b64 exec, exec, s[34:35]
.LBB6_22487:                            ;   in Loop: Header=BB6_20708 Depth=3
	s_or_b64 exec, exec, s[30:31]
.LBB6_22488:                            ;   in Loop: Header=BB6_20708 Depth=3
	s_or_b64 exec, exec, s[28:29]
	v_mul_f32_e32 v2, v12, v1
	v_and_b32_e32 v8, 0x7f800000, v2
	v_mov_b32_e32 v9, v33
	v_cmp_ne_u64_e32 vcc, s[76:77], v[8:9]
	v_and_b32_e32 v0, 0x7fffff, v2
	v_mov_b32_e32 v1, v33
                                        ; implicit-def: $vgpr3
                                        ; kill: killed $vgpr3
	s_and_saveexec_b64 s[28:29], vcc
	s_xor_b64 s[30:31], exec, s[28:29]
	s_cbranch_execz .LBB6_22502
; %bb.22489:                            ;   in Loop: Header=BB6_20708 Depth=3
	v_and_b32_e32 v8, 0x7fffffff, v2
	v_mov_b32_e32 v9, v33
	v_cmp_gt_u64_e32 vcc, s[78:79], v[8:9]
	v_and_b32_sdwa v3, v2, s97 dst_sel:DWORD dst_unused:UNUSED_PAD src0_sel:BYTE_3 src1_sel:DWORD
                                        ; implicit-def: $vgpr8
                                        ; kill: killed $vgpr8
	s_and_saveexec_b64 s[28:29], vcc
	s_xor_b64 s[34:35], exec, s[28:29]
	s_cbranch_execz .LBB6_22499
; %bb.22490:                            ;   in Loop: Header=BB6_20708 Depth=3
	v_mov_b32_e32 v8, 0
	v_cmp_ne_u32_e32 vcc, 0, v2
	buffer_store_dword v8, off, s[0:3], s33 offset:148 ; 4-byte Folded Spill
	s_and_saveexec_b64 s[36:37], vcc
	s_cbranch_execz .LBB6_22498
; %bb.22491:                            ;   in Loop: Header=BB6_20708 Depth=3
	v_bfe_u32 v8, v2, 23, 8
	v_cmp_gt_u32_e64 s[28:29], s47, v8
	v_sub_u32_e32 v2, 0x71, v8
	v_cmp_eq_u32_e32 vcc, 0, v8
	v_cndmask_b32_e64 v2, 0, v2, s[28:29]
	v_mov_b32_e32 v9, 0x70
	v_cndmask_b32_e32 v9, v2, v9, vcc
	v_or_b32_e32 v10, 0x800000, v0
	v_add_u32_e32 v2, 21, v9
	v_cndmask_b32_e32 v0, v10, v0, vcc
	v_lshlrev_b64 v[10:11], v2, -1
	v_add_u32_e32 v2, 20, v9
	v_bfi_b32 v10, v10, 0, v0
	v_lshlrev_b64 v[12:13], v2, 1
	v_lshrrev_b64 v[0:1], v9, v[0:1]
	v_bfi_b32 v11, v11, 0, 0
	v_cmp_eq_u64_e64 s[28:29], v[10:11], v[12:13]
	v_mov_b32_e32 v2, v1
	v_mov_b32_e32 v1, v0
	s_and_saveexec_b64 s[38:39], s[28:29]
; %bb.22492:                            ;   in Loop: Header=BB6_20708 Depth=3
	v_bfe_u32 v1, v0, 21, 1
	v_add_co_u32_e64 v1, s[28:29], v0, v1
	v_add_co_u32_e64 v1, s[28:29], -1, v1
; %bb.22493:                            ;   in Loop: Header=BB6_20708 Depth=3
	s_or_b64 exec, exec, s[38:39]
	v_add_u32_e32 v2, 0xffffff81, v8
	v_mov_b32_e32 v8, 0xffffff82
	v_cndmask_b32_e32 v2, v2, v8, vcc
	v_lshrrev_b32_e32 v8, 23, v0
	v_add3_u32 v9, v9, v2, v8
	v_add_u32_e32 v8, 14, v9
	v_and_b32_e32 v1, 0x1fffff, v1
	v_add_u32_e32 v0, v1, v0
	v_mov_b32_e32 v1, v33
	v_cmp_ne_u32_e32 vcc, 0, v8
                                        ; implicit-def: $vgpr2
	s_and_saveexec_b64 s[28:29], vcc
	s_xor_b64 s[28:29], exec, s[28:29]
; %bb.22494:                            ;   in Loop: Header=BB6_20708 Depth=3
	v_cmp_lt_u64_e32 vcc, s[88:89], v[0:1]
	v_add_u32_e32 v2, 15, v9
	v_cndmask_b32_e32 v2, v8, v2, vcc
	v_cndmask_b32_e64 v8, 0, 1, vcc
	v_lshrrev_b64 v[0:1], v8, v[0:1]
; %bb.22495:                            ;   in Loop: Header=BB6_20708 Depth=3
	s_andn2_saveexec_b64 s[28:29], s[28:29]
; %bb.22496:                            ;   in Loop: Header=BB6_20708 Depth=3
	v_bfe_u32 v2, v0, 23, 1
; %bb.22497:                            ;   in Loop: Header=BB6_20708 Depth=3
	s_or_b64 exec, exec, s[28:29]
	v_lshrrev_b64 v[0:1], 21, v[0:1]
	v_cmp_gt_i32_e32 vcc, 32, v2
	v_cndmask_b32_e32 v1, 0, v1, vcc
	v_cndmask_b32_e32 v0, 3, v0, vcc
	v_cmp_eq_u64_e64 s[28:29], 0, v[0:1]
	v_min_i32_e32 v1, 31, v2
	v_lshlrev_b32_e32 v1, 2, v1
	v_cmp_eq_u32_e32 vcc, 0, v2
	v_and_b32_e32 v1, 0xfc, v1
	v_and_or_b32 v0, v0, 3, v1
	s_and_b64 s[28:29], vcc, s[28:29]
	v_cndmask_b32_e64 v0, v0, 0, s[28:29]
	v_or_b32_e32 v0, v0, v3
	buffer_store_dword v0, off, s[0:3], s33 offset:148 ; 4-byte Folded Spill
.LBB6_22498:                            ;   in Loop: Header=BB6_20708 Depth=3
	s_or_b64 exec, exec, s[36:37]
                                        ; implicit-def: $vgpr3
.LBB6_22499:                            ;   in Loop: Header=BB6_20708 Depth=3
	s_andn2_saveexec_b64 s[28:29], s[34:35]
	s_cbranch_execz .LBB6_22501
; %bb.22500:                            ;   in Loop: Header=BB6_20708 Depth=3
	v_or_b32_e32 v0, 0x7b, v3
	buffer_store_dword v0, off, s[0:3], s33 offset:148 ; 4-byte Folded Spill
.LBB6_22501:                            ;   in Loop: Header=BB6_20708 Depth=3
	s_or_b64 exec, exec, s[28:29]
                                        ; implicit-def: $vgpr2
                                        ; implicit-def: $vgpr0_vgpr1
.LBB6_22502:                            ;   in Loop: Header=BB6_20708 Depth=3
	s_andn2_saveexec_b64 s[28:29], s[30:31]
	s_cbranch_execz .LBB6_22508
; %bb.22503:                            ;   in Loop: Header=BB6_20708 Depth=3
	v_cmp_ne_u64_e32 vcc, 0, v[0:1]
                                        ; implicit-def: $vgpr0
                                        ; kill: killed $vgpr0
	s_and_saveexec_b64 s[62:63], vcc
	s_xor_b64 vcc, exec, s[62:63]
	s_cbranch_execz .LBB6_22505
; %bb.22504:                            ;   in Loop: Header=BB6_20708 Depth=3
	v_or_b32_sdwa v0, v2, s44 dst_sel:DWORD dst_unused:UNUSED_PAD src0_sel:BYTE_3 src1_sel:DWORD
	buffer_store_dword v0, off, s[0:3], s33 offset:148 ; 4-byte Folded Spill
                                        ; implicit-def: $vgpr2
.LBB6_22505:                            ;   in Loop: Header=BB6_20708 Depth=3
	s_andn2_saveexec_b64 s[30:31], vcc
	s_cbranch_execz .LBB6_22507
; %bb.22506:                            ;   in Loop: Header=BB6_20708 Depth=3
	v_cmp_lt_i32_e32 vcc, -1, v2
	v_bfrev_b32_e32 v0, 0.5
	v_mov_b32_e32 v1, 0x7c
	v_cndmask_b32_e32 v0, v0, v1, vcc
	buffer_store_dword v0, off, s[0:3], s33 offset:148 ; 4-byte Folded Spill
.LBB6_22507:                            ;   in Loop: Header=BB6_20708 Depth=3
	s_or_b64 exec, exec, s[30:31]
.LBB6_22508:                            ;   in Loop: Header=BB6_20708 Depth=3
	s_or_b64 exec, exec, s[28:29]
	global_load_dwordx4 v[20:23], v[58:59], off glc slc
	global_load_dwordx4 v[16:19], v[58:59], off offset:1024 glc slc
	global_load_dwordx4 v[12:15], v[58:59], off offset:2048 glc slc
	global_load_dwordx4 v[8:11], v[58:59], off offset:3072 glc slc
	v_lshl_or_b32 v49, v49, 8, v29
	v_lshlrev_b32_e32 v0, 16, v54
	v_lshlrev_b32_e32 v1, 24, v55
	v_or3_b32 v0, v0, v1, v49
	v_mov_b32_e32 v1, v33
	v_cmp_ne_u32_e32 vcc, 0, v29
	v_mov_b32_e32 v2, 0
	v_mov_b32_e32 v3, 0
	s_and_saveexec_b64 s[30:31], vcc
	s_cbranch_execz .LBB6_22516
; %bb.22509:                            ;   in Loop: Header=BB6_20708 Depth=3
	v_cmp_ne_u32_e32 vcc, s97, v29
	v_bfrev_b32_e32 v3, 1
	s_and_saveexec_b64 s[34:35], vcc
	s_cbranch_execz .LBB6_22515
; %bb.22510:                            ;   in Loop: Header=BB6_20708 Depth=3
	v_and_b32_e32 v3, 0x7c, v29
	v_and_b32_e32 v54, 3, v29
	v_cmp_ne_u32_e32 vcc, s86, v3
                                        ; implicit-def: $vgpr3
	s_and_saveexec_b64 s[28:29], vcc
	s_xor_b64 s[28:29], exec, s[28:29]
	s_cbranch_execz .LBB6_22512
; %bb.22511:                            ;   in Loop: Header=BB6_20708 Depth=3
	v_ffbh_u32_e32 v55, v54
	v_min_u32_e32 v55, 32, v55
	v_subrev_u32_e32 v43, 29, v55
	v_bfe_u32 v3, v29, 2, 5
	v_mov_b32_e32 v5, v44
	v_lshlrev_b64 v[43:44], v43, v[0:1]
	v_sub_u32_e32 v1, 30, v55
	v_cmp_eq_u32_e32 vcc, 0, v3
	v_lshlrev_b32_e32 v29, 24, v29
	v_and_b32_e32 v55, 3, v43
	v_cndmask_b32_e32 v1, v3, v1, vcc
	v_and_b32_e32 v29, 0x80000000, v29
	v_cndmask_b32_e32 v3, v54, v55, vcc
	v_lshl_add_u32 v1, v1, 23, v29
	v_lshl_or_b32 v1, v3, 21, v1
	v_mov_b32_e32 v44, v5
	v_add_u32_e32 v3, 0x38000000, v1
                                        ; implicit-def: $vgpr54
                                        ; implicit-def: $vgpr29
.LBB6_22512:                            ;   in Loop: Header=BB6_20708 Depth=3
	s_andn2_saveexec_b64 s[36:37], s[28:29]
; %bb.22513:                            ;   in Loop: Header=BB6_20708 Depth=3
	v_and_b32_e32 v1, 0x80, v29
	v_cmp_eq_u32_e64 s[28:29], 0, v1
	v_mov_b32_e32 v1, 0xff800000
	v_mov_b32_e32 v3, 0x7f800000
	v_cmp_eq_u32_e32 vcc, 0, v54
	v_cndmask_b32_e64 v1, v1, v3, s[28:29]
	v_mov_b32_e32 v3, 0x7f800001
	v_cndmask_b32_e32 v3, v3, v1, vcc
; %bb.22514:                            ;   in Loop: Header=BB6_20708 Depth=3
	s_or_b64 exec, exec, s[36:37]
.LBB6_22515:                            ;   in Loop: Header=BB6_20708 Depth=3
	s_or_b64 exec, exec, s[34:35]
.LBB6_22516:                            ;   in Loop: Header=BB6_20708 Depth=3
	s_or_b64 exec, exec, s[30:31]
	s_waitcnt vmcnt(3)
	v_cmp_ne_u16_sdwa s[62:63], v20, v33 src0_sel:BYTE_0 src1_sel:DWORD
	s_and_saveexec_b64 s[28:29], s[62:63]
	s_cbranch_execz .LBB6_22524
; %bb.22517:                            ;   in Loop: Header=BB6_20708 Depth=3
	v_cmp_ne_u16_sdwa s[62:63], sext(v20), s46 src0_sel:BYTE_0 src1_sel:DWORD
	v_bfrev_b32_e32 v2, 1
	s_and_saveexec_b64 s[30:31], s[62:63]
	s_cbranch_execz .LBB6_22523
; %bb.22518:                            ;   in Loop: Header=BB6_20708 Depth=3
	v_and_b32_e32 v2, 0x7c, v20
	v_and_b32_e32 v1, 3, v20
	v_cmp_ne_u32_e32 vcc, s86, v2
                                        ; implicit-def: $vgpr2
	s_and_saveexec_b64 s[62:63], vcc
	s_xor_b64 s[34:35], exec, s[62:63]
	s_cbranch_execz .LBB6_22520
; %bb.22519:                            ;   in Loop: Header=BB6_20708 Depth=3
	v_ffbh_u32_e32 v29, v1
	v_min_u32_e32 v29, 32, v29
	v_bfe_u32 v2, v20, 2, 5
	v_subrev_u32_e32 v54, 29, v29
	v_lshlrev_b64 v[54:55], v54, v[20:21]
	v_sub_u32_e32 v29, 30, v29
	v_cmp_eq_u32_e32 vcc, 0, v2
	v_cndmask_b32_e32 v2, v2, v29, vcc
	v_lshlrev_b32_e32 v29, 24, v20
	v_and_b32_e32 v54, 3, v54
	v_and_b32_e32 v29, 0x80000000, v29
	v_cndmask_b32_e32 v1, v1, v54, vcc
	v_lshl_add_u32 v2, v2, 23, v29
	v_lshl_or_b32 v1, v1, 21, v2
	v_add_u32_e32 v2, 0x38000000, v1
                                        ; implicit-def: $vgpr1
.LBB6_22520:                            ;   in Loop: Header=BB6_20708 Depth=3
	s_andn2_saveexec_b64 s[34:35], s[34:35]
; %bb.22521:                            ;   in Loop: Header=BB6_20708 Depth=3
	v_mov_b32_e32 v2, -1
	v_cmp_gt_i16_sdwa vcc, sext(v20), v2 src0_sel:BYTE_0 src1_sel:DWORD
	v_mov_b32_e32 v2, 0xff800000
	v_mov_b32_e32 v29, 0x7f800000
	v_cndmask_b32_e32 v2, v2, v29, vcc
	v_cmp_eq_u32_e32 vcc, 0, v1
	v_mov_b32_e32 v1, 0x7f800001
	v_cndmask_b32_e32 v2, v1, v2, vcc
; %bb.22522:                            ;   in Loop: Header=BB6_20708 Depth=3
	s_or_b64 exec, exec, s[34:35]
.LBB6_22523:                            ;   in Loop: Header=BB6_20708 Depth=3
	s_or_b64 exec, exec, s[30:31]
.LBB6_22524:                            ;   in Loop: Header=BB6_20708 Depth=3
	s_or_b64 exec, exec, s[28:29]
	v_add_f32_e32 v3, v3, v2
	v_and_b32_e32 v54, 0x7f800000, v3
	v_mov_b32_e32 v55, v33
	v_cmp_ne_u64_e32 vcc, s[76:77], v[54:55]
	v_and_b32_e32 v1, 0x7fffff, v3
	v_mov_b32_e32 v2, v33
                                        ; implicit-def: $vgpr29
                                        ; kill: killed $vgpr29
	s_and_saveexec_b64 s[28:29], vcc
	s_xor_b64 s[30:31], exec, s[28:29]
	s_cbranch_execz .LBB6_22538
; %bb.22525:                            ;   in Loop: Header=BB6_20708 Depth=3
	v_and_b32_e32 v54, 0x7fffffff, v3
	v_mov_b32_e32 v55, v33
	v_cmp_gt_u64_e32 vcc, s[78:79], v[54:55]
	v_and_b32_sdwa v29, v3, s97 dst_sel:DWORD dst_unused:UNUSED_PAD src0_sel:BYTE_3 src1_sel:DWORD
                                        ; implicit-def: $vgpr54
                                        ; kill: killed $vgpr54
	s_and_saveexec_b64 s[28:29], vcc
	s_xor_b64 s[34:35], exec, s[28:29]
	s_cbranch_execz .LBB6_22535
; %bb.22526:                            ;   in Loop: Header=BB6_20708 Depth=3
	v_mov_b32_e32 v54, 0
	v_cmp_ne_u32_e32 vcc, 0, v3
	buffer_store_dword v54, off, s[0:3], s33 offset:84 ; 4-byte Folded Spill
	s_and_saveexec_b64 s[36:37], vcc
	s_cbranch_execz .LBB6_22534
; %bb.22527:                            ;   in Loop: Header=BB6_20708 Depth=3
	v_bfe_u32 v54, v3, 23, 8
	v_cmp_gt_u32_e64 s[28:29], s47, v54
	v_sub_u32_e32 v3, 0x71, v54
	v_cmp_eq_u32_e32 vcc, 0, v54
	v_cndmask_b32_e64 v3, 0, v3, s[28:29]
	v_mov_b32_e32 v55, 0x70
	v_cndmask_b32_e32 v55, v3, v55, vcc
	v_or_b32_e32 v43, 0x800000, v1
	v_add_u32_e32 v3, 21, v55
	v_mov_b32_e32 v7, v44
	v_cndmask_b32_e32 v1, v43, v1, vcc
	v_lshlrev_b64 v[43:44], v3, -1
	v_add_u32_e32 v3, 20, v55
	v_mov_b32_e32 v5, v56
	v_mov_b32_e32 v45, v57
	v_bfi_b32 v43, v43, 0, v1
	v_lshlrev_b64 v[56:57], v3, 1
	v_lshrrev_b64 v[1:2], v55, v[1:2]
	v_bfi_b32 v44, v44, 0, 0
	v_cmp_eq_u64_e64 s[28:29], v[43:44], v[56:57]
	v_mov_b32_e32 v3, v2
	v_mov_b32_e32 v2, v1
	s_and_saveexec_b64 s[38:39], s[28:29]
; %bb.22528:                            ;   in Loop: Header=BB6_20708 Depth=3
	v_bfe_u32 v2, v1, 21, 1
	v_add_co_u32_e64 v2, s[28:29], v1, v2
	v_add_co_u32_e64 v2, s[28:29], -1, v2
; %bb.22529:                            ;   in Loop: Header=BB6_20708 Depth=3
	s_or_b64 exec, exec, s[38:39]
	v_add_u32_e32 v3, 0xffffff81, v54
	v_mov_b32_e32 v54, 0xffffff82
	v_cndmask_b32_e32 v3, v3, v54, vcc
	v_lshrrev_b32_e32 v54, 23, v1
	v_add3_u32 v55, v55, v3, v54
	v_add_u32_e32 v54, 14, v55
	v_and_b32_e32 v2, 0x1fffff, v2
	v_add_u32_e32 v1, v2, v1
	v_mov_b32_e32 v2, v33
	v_cmp_ne_u32_e32 vcc, 0, v54
                                        ; implicit-def: $vgpr3
	s_and_saveexec_b64 s[28:29], vcc
	s_xor_b64 s[28:29], exec, s[28:29]
; %bb.22530:                            ;   in Loop: Header=BB6_20708 Depth=3
	v_cmp_lt_u64_e32 vcc, s[88:89], v[1:2]
	v_add_u32_e32 v3, 15, v55
	v_cndmask_b32_e32 v3, v54, v3, vcc
	v_cndmask_b32_e64 v54, 0, 1, vcc
	v_lshrrev_b64 v[1:2], v54, v[1:2]
; %bb.22531:                            ;   in Loop: Header=BB6_20708 Depth=3
	s_or_saveexec_b64 s[28:29], s[28:29]
	v_mov_b32_e32 v57, v45
	v_mov_b32_e32 v56, v5
	;; [unrolled: 1-line block ×3, first 2 shown]
	s_xor_b64 exec, exec, s[28:29]
; %bb.22532:                            ;   in Loop: Header=BB6_20708 Depth=3
	v_bfe_u32 v3, v1, 23, 1
; %bb.22533:                            ;   in Loop: Header=BB6_20708 Depth=3
	s_or_b64 exec, exec, s[28:29]
	v_lshrrev_b64 v[1:2], 21, v[1:2]
	v_cmp_gt_i32_e32 vcc, 32, v3
	v_cndmask_b32_e32 v2, 0, v2, vcc
	v_cndmask_b32_e32 v1, 3, v1, vcc
	v_cmp_eq_u64_e64 s[28:29], 0, v[1:2]
	v_min_i32_e32 v2, 31, v3
	v_lshlrev_b32_e32 v2, 2, v2
	v_cmp_eq_u32_e32 vcc, 0, v3
	v_and_b32_e32 v2, 0xfc, v2
	v_and_or_b32 v1, v1, 3, v2
	s_and_b64 s[28:29], vcc, s[28:29]
	v_cndmask_b32_e64 v1, v1, 0, s[28:29]
	v_or_b32_e32 v1, v1, v29
	buffer_store_dword v1, off, s[0:3], s33 offset:84 ; 4-byte Folded Spill
.LBB6_22534:                            ;   in Loop: Header=BB6_20708 Depth=3
	s_or_b64 exec, exec, s[36:37]
                                        ; implicit-def: $vgpr29
.LBB6_22535:                            ;   in Loop: Header=BB6_20708 Depth=3
	s_andn2_saveexec_b64 s[28:29], s[34:35]
	s_cbranch_execz .LBB6_22537
; %bb.22536:                            ;   in Loop: Header=BB6_20708 Depth=3
	v_or_b32_e32 v1, 0x7b, v29
	buffer_store_dword v1, off, s[0:3], s33 offset:84 ; 4-byte Folded Spill
.LBB6_22537:                            ;   in Loop: Header=BB6_20708 Depth=3
	s_or_b64 exec, exec, s[28:29]
                                        ; implicit-def: $vgpr3
                                        ; implicit-def: $vgpr1_vgpr2
.LBB6_22538:                            ;   in Loop: Header=BB6_20708 Depth=3
	s_andn2_saveexec_b64 s[28:29], s[30:31]
	s_cbranch_execz .LBB6_22544
; %bb.22539:                            ;   in Loop: Header=BB6_20708 Depth=3
	v_cmp_ne_u64_e32 vcc, 0, v[1:2]
                                        ; implicit-def: $vgpr1
                                        ; kill: killed $vgpr1
	s_and_saveexec_b64 s[62:63], vcc
	s_xor_b64 vcc, exec, s[62:63]
	s_cbranch_execz .LBB6_22541
; %bb.22540:                            ;   in Loop: Header=BB6_20708 Depth=3
	v_or_b32_sdwa v1, v3, s44 dst_sel:DWORD dst_unused:UNUSED_PAD src0_sel:BYTE_3 src1_sel:DWORD
	buffer_store_dword v1, off, s[0:3], s33 offset:84 ; 4-byte Folded Spill
                                        ; implicit-def: $vgpr3
.LBB6_22541:                            ;   in Loop: Header=BB6_20708 Depth=3
	s_andn2_saveexec_b64 s[30:31], vcc
	s_cbranch_execz .LBB6_22543
; %bb.22542:                            ;   in Loop: Header=BB6_20708 Depth=3
	v_cmp_lt_i32_e32 vcc, -1, v3
	v_bfrev_b32_e32 v1, 0.5
	v_mov_b32_e32 v2, 0x7c
	v_cndmask_b32_e32 v1, v1, v2, vcc
	buffer_store_dword v1, off, s[0:3], s33 offset:84 ; 4-byte Folded Spill
.LBB6_22543:                            ;   in Loop: Header=BB6_20708 Depth=3
	s_or_b64 exec, exec, s[30:31]
.LBB6_22544:                            ;   in Loop: Header=BB6_20708 Depth=3
	s_or_b64 exec, exec, s[28:29]
	v_lshrrev_b16_e32 v1, 8, v49
	v_cmp_ne_u16_e32 vcc, 0, v1
	v_mov_b32_e32 v3, 0
	v_mov_b32_e32 v29, 0
	s_and_saveexec_b64 s[28:29], vcc
	s_cbranch_execz .LBB6_22552
; %bb.22545:                            ;   in Loop: Header=BB6_20708 Depth=3
	v_cmp_ne_u16_e32 vcc, s97, v1
	v_bfrev_b32_e32 v29, 1
	s_and_saveexec_b64 s[30:31], vcc
	s_cbranch_execz .LBB6_22551
; %bb.22546:                            ;   in Loop: Header=BB6_20708 Depth=3
	v_and_b32_e32 v2, 0x7c, v1
	v_and_b32_e32 v54, 3, v1
	v_cmp_ne_u32_e32 vcc, s86, v2
                                        ; implicit-def: $vgpr29
	s_and_saveexec_b64 s[62:63], vcc
	s_xor_b64 s[34:35], exec, s[62:63]
	s_cbranch_execz .LBB6_22548
; %bb.22547:                            ;   in Loop: Header=BB6_20708 Depth=3
	v_ffbh_u32_e32 v55, v54
	v_min_u32_e32 v55, 32, v55
	v_mov_b32_e32 v2, v33
	v_subrev_u32_e32 v43, 29, v55
	v_bfe_u32 v29, v1, 2, 5
	v_lshlrev_b64 v[1:2], v43, v[1:2]
	v_sub_u32_e32 v2, 30, v55
	v_cmp_eq_u32_e32 vcc, 0, v29
	v_cndmask_b32_e32 v2, v29, v2, vcc
	v_lshlrev_b32_e32 v29, 16, v49
	v_and_b32_e32 v1, 3, v1
	v_and_b32_e32 v29, 0x80000000, v29
	v_cndmask_b32_e32 v1, v54, v1, vcc
	v_lshl_add_u32 v2, v2, 23, v29
	v_lshl_or_b32 v1, v1, 21, v2
	v_add_u32_e32 v29, 0x38000000, v1
                                        ; implicit-def: $vgpr54
                                        ; implicit-def: $vgpr49
.LBB6_22548:                            ;   in Loop: Header=BB6_20708 Depth=3
	s_andn2_saveexec_b64 s[34:35], s[34:35]
; %bb.22549:                            ;   in Loop: Header=BB6_20708 Depth=3
	v_cmp_lt_i16_e32 vcc, -1, v49
	v_mov_b32_e32 v1, 0xff800000
	v_mov_b32_e32 v2, 0x7f800000
	v_cndmask_b32_e32 v1, v1, v2, vcc
	v_cmp_eq_u32_e32 vcc, 0, v54
	v_mov_b32_e32 v2, 0x7f800001
	v_cndmask_b32_e32 v29, v2, v1, vcc
; %bb.22550:                            ;   in Loop: Header=BB6_20708 Depth=3
	s_or_b64 exec, exec, s[34:35]
.LBB6_22551:                            ;   in Loop: Header=BB6_20708 Depth=3
	s_or_b64 exec, exec, s[30:31]
.LBB6_22552:                            ;   in Loop: Header=BB6_20708 Depth=3
	s_or_b64 exec, exec, s[28:29]
	v_lshrrev_b16_e32 v1, 8, v20
	v_cmp_ne_u16_e32 vcc, 0, v1
	s_and_saveexec_b64 s[28:29], vcc
	s_cbranch_execz .LBB6_22560
; %bb.22553:                            ;   in Loop: Header=BB6_20708 Depth=3
	v_cmp_ne_u16_e32 vcc, s97, v1
	v_bfrev_b32_e32 v3, 1
	s_and_saveexec_b64 s[30:31], vcc
	s_cbranch_execz .LBB6_22559
; %bb.22554:                            ;   in Loop: Header=BB6_20708 Depth=3
	v_and_b32_e32 v2, 0x7c, v1
	v_and_b32_e32 v49, 3, v1
	v_cmp_ne_u32_e32 vcc, s86, v2
                                        ; implicit-def: $vgpr3
	s_and_saveexec_b64 s[62:63], vcc
	s_xor_b64 s[34:35], exec, s[62:63]
	s_cbranch_execz .LBB6_22556
; %bb.22555:                            ;   in Loop: Header=BB6_20708 Depth=3
	v_ffbh_u32_e32 v54, v49
	v_min_u32_e32 v54, 32, v54
	v_mov_b32_e32 v2, v33
	v_subrev_u32_e32 v55, 29, v54
	v_bfe_u32 v3, v1, 2, 5
	v_lshlrev_b64 v[1:2], v55, v[1:2]
	v_sub_u32_e32 v2, 30, v54
	v_cmp_eq_u32_e32 vcc, 0, v3
	v_cndmask_b32_e32 v2, v3, v2, vcc
	v_lshlrev_b32_e32 v3, 16, v20
	v_and_b32_e32 v1, 3, v1
	v_and_b32_e32 v3, 0x80000000, v3
	v_cndmask_b32_e32 v1, v49, v1, vcc
	v_lshl_add_u32 v2, v2, 23, v3
	v_lshl_or_b32 v1, v1, 21, v2
	v_add_u32_e32 v3, 0x38000000, v1
                                        ; implicit-def: $vgpr49
.LBB6_22556:                            ;   in Loop: Header=BB6_20708 Depth=3
	s_andn2_saveexec_b64 s[34:35], s[34:35]
; %bb.22557:                            ;   in Loop: Header=BB6_20708 Depth=3
	v_cmp_lt_i16_e32 vcc, -1, v20
	v_mov_b32_e32 v1, 0xff800000
	v_mov_b32_e32 v2, 0x7f800000
	v_cndmask_b32_e32 v1, v1, v2, vcc
	v_cmp_eq_u32_e32 vcc, 0, v49
	v_mov_b32_e32 v2, 0x7f800001
	v_cndmask_b32_e32 v3, v2, v1, vcc
; %bb.22558:                            ;   in Loop: Header=BB6_20708 Depth=3
	s_or_b64 exec, exec, s[34:35]
.LBB6_22559:                            ;   in Loop: Header=BB6_20708 Depth=3
	s_or_b64 exec, exec, s[30:31]
.LBB6_22560:                            ;   in Loop: Header=BB6_20708 Depth=3
	s_or_b64 exec, exec, s[28:29]
	v_add_f32_e32 v3, v29, v3
	v_and_b32_e32 v54, 0x7f800000, v3
	v_mov_b32_e32 v55, v33
	v_cmp_ne_u64_e32 vcc, s[76:77], v[54:55]
	v_and_b32_e32 v1, 0x7fffff, v3
	v_mov_b32_e32 v2, v33
                                        ; implicit-def: $vgpr29
                                        ; kill: killed $vgpr29
	s_and_saveexec_b64 s[28:29], vcc
	s_xor_b64 s[30:31], exec, s[28:29]
	s_cbranch_execz .LBB6_22574
; %bb.22561:                            ;   in Loop: Header=BB6_20708 Depth=3
	v_and_b32_e32 v54, 0x7fffffff, v3
	v_mov_b32_e32 v55, v33
	v_cmp_gt_u64_e32 vcc, s[78:79], v[54:55]
	v_and_b32_sdwa v29, v3, s97 dst_sel:DWORD dst_unused:UNUSED_PAD src0_sel:BYTE_3 src1_sel:DWORD
                                        ; implicit-def: $vgpr49
                                        ; kill: killed $vgpr49
	s_and_saveexec_b64 s[28:29], vcc
	s_xor_b64 s[34:35], exec, s[28:29]
	s_cbranch_execz .LBB6_22571
; %bb.22562:                            ;   in Loop: Header=BB6_20708 Depth=3
	v_mov_b32_e32 v49, 0
	v_cmp_ne_u32_e32 vcc, 0, v3
	buffer_store_dword v49, off, s[0:3], s33 offset:92 ; 4-byte Folded Spill
	s_and_saveexec_b64 s[36:37], vcc
	s_cbranch_execz .LBB6_22570
; %bb.22563:                            ;   in Loop: Header=BB6_20708 Depth=3
	v_bfe_u32 v49, v3, 23, 8
	v_cmp_gt_u32_e64 s[28:29], s47, v49
	v_sub_u32_e32 v3, 0x71, v49
	v_cmp_eq_u32_e32 vcc, 0, v49
	v_cndmask_b32_e64 v3, 0, v3, s[28:29]
	v_mov_b32_e32 v54, 0x70
	v_cndmask_b32_e32 v54, v3, v54, vcc
	v_add_u32_e32 v3, 21, v54
	v_mov_b32_e32 v7, v44
	v_or_b32_e32 v55, 0x800000, v1
	v_lshlrev_b64 v[43:44], v3, -1
	v_cndmask_b32_e32 v1, v55, v1, vcc
	v_add_u32_e32 v3, 20, v54
	v_mov_b32_e32 v5, v56
	v_bfi_b32 v43, v43, 0, v1
	v_lshlrev_b64 v[55:56], v3, 1
	v_lshrrev_b64 v[1:2], v54, v[1:2]
	v_bfi_b32 v44, v44, 0, 0
	v_cmp_eq_u64_e64 s[28:29], v[43:44], v[55:56]
	v_mov_b32_e32 v3, v2
	v_mov_b32_e32 v2, v1
	s_and_saveexec_b64 s[38:39], s[28:29]
; %bb.22564:                            ;   in Loop: Header=BB6_20708 Depth=3
	v_bfe_u32 v2, v1, 21, 1
	v_add_co_u32_e64 v2, s[28:29], v1, v2
	v_add_co_u32_e64 v2, s[28:29], -1, v2
; %bb.22565:                            ;   in Loop: Header=BB6_20708 Depth=3
	s_or_b64 exec, exec, s[38:39]
	v_add_u32_e32 v3, 0xffffff81, v49
	v_mov_b32_e32 v49, 0xffffff82
	v_cndmask_b32_e32 v3, v3, v49, vcc
	v_lshrrev_b32_e32 v49, 23, v1
	v_add3_u32 v54, v54, v3, v49
	v_add_u32_e32 v49, 14, v54
	v_and_b32_e32 v2, 0x1fffff, v2
	v_add_u32_e32 v1, v2, v1
	v_mov_b32_e32 v2, v33
	v_cmp_ne_u32_e32 vcc, 0, v49
                                        ; implicit-def: $vgpr3
	s_and_saveexec_b64 s[28:29], vcc
	s_xor_b64 s[28:29], exec, s[28:29]
; %bb.22566:                            ;   in Loop: Header=BB6_20708 Depth=3
	v_cmp_lt_u64_e32 vcc, s[88:89], v[1:2]
	v_add_u32_e32 v3, 15, v54
	v_cndmask_b32_e32 v3, v49, v3, vcc
	v_cndmask_b32_e64 v49, 0, 1, vcc
	v_lshrrev_b64 v[1:2], v49, v[1:2]
; %bb.22567:                            ;   in Loop: Header=BB6_20708 Depth=3
	s_or_saveexec_b64 s[28:29], s[28:29]
	v_mov_b32_e32 v56, v5
	v_mov_b32_e32 v44, v7
	s_xor_b64 exec, exec, s[28:29]
; %bb.22568:                            ;   in Loop: Header=BB6_20708 Depth=3
	v_bfe_u32 v3, v1, 23, 1
; %bb.22569:                            ;   in Loop: Header=BB6_20708 Depth=3
	s_or_b64 exec, exec, s[28:29]
	v_lshrrev_b64 v[1:2], 21, v[1:2]
	v_cmp_gt_i32_e32 vcc, 32, v3
	v_cndmask_b32_e32 v2, 0, v2, vcc
	v_cndmask_b32_e32 v1, 3, v1, vcc
	v_cmp_eq_u64_e64 s[28:29], 0, v[1:2]
	v_min_i32_e32 v2, 31, v3
	v_lshlrev_b32_e32 v2, 2, v2
	v_cmp_eq_u32_e32 vcc, 0, v3
	v_and_b32_e32 v2, 0xfc, v2
	v_and_or_b32 v1, v1, 3, v2
	s_and_b64 s[28:29], vcc, s[28:29]
	v_cndmask_b32_e64 v1, v1, 0, s[28:29]
	v_or_b32_e32 v1, v1, v29
	buffer_store_dword v1, off, s[0:3], s33 offset:92 ; 4-byte Folded Spill
.LBB6_22570:                            ;   in Loop: Header=BB6_20708 Depth=3
	s_or_b64 exec, exec, s[36:37]
                                        ; implicit-def: $vgpr29
.LBB6_22571:                            ;   in Loop: Header=BB6_20708 Depth=3
	s_andn2_saveexec_b64 s[28:29], s[34:35]
	s_cbranch_execz .LBB6_22573
; %bb.22572:                            ;   in Loop: Header=BB6_20708 Depth=3
	v_or_b32_e32 v1, 0x7b, v29
	buffer_store_dword v1, off, s[0:3], s33 offset:92 ; 4-byte Folded Spill
.LBB6_22573:                            ;   in Loop: Header=BB6_20708 Depth=3
	s_or_b64 exec, exec, s[28:29]
                                        ; implicit-def: $vgpr3
                                        ; implicit-def: $vgpr1_vgpr2
.LBB6_22574:                            ;   in Loop: Header=BB6_20708 Depth=3
	s_andn2_saveexec_b64 s[28:29], s[30:31]
	s_cbranch_execz .LBB6_22580
; %bb.22575:                            ;   in Loop: Header=BB6_20708 Depth=3
	v_cmp_ne_u64_e32 vcc, 0, v[1:2]
                                        ; implicit-def: $vgpr1
                                        ; kill: killed $vgpr1
	s_and_saveexec_b64 s[62:63], vcc
	s_xor_b64 vcc, exec, s[62:63]
	s_cbranch_execz .LBB6_22577
; %bb.22576:                            ;   in Loop: Header=BB6_20708 Depth=3
	v_or_b32_sdwa v1, v3, s44 dst_sel:DWORD dst_unused:UNUSED_PAD src0_sel:BYTE_3 src1_sel:DWORD
	buffer_store_dword v1, off, s[0:3], s33 offset:92 ; 4-byte Folded Spill
                                        ; implicit-def: $vgpr3
.LBB6_22577:                            ;   in Loop: Header=BB6_20708 Depth=3
	s_andn2_saveexec_b64 s[30:31], vcc
	s_cbranch_execz .LBB6_22579
; %bb.22578:                            ;   in Loop: Header=BB6_20708 Depth=3
	v_cmp_lt_i32_e32 vcc, -1, v3
	v_bfrev_b32_e32 v1, 0.5
	v_mov_b32_e32 v2, 0x7c
	v_cndmask_b32_e32 v1, v1, v2, vcc
	buffer_store_dword v1, off, s[0:3], s33 offset:92 ; 4-byte Folded Spill
.LBB6_22579:                            ;   in Loop: Header=BB6_20708 Depth=3
	s_or_b64 exec, exec, s[30:31]
.LBB6_22580:                            ;   in Loop: Header=BB6_20708 Depth=3
	s_or_b64 exec, exec, s[28:29]
	v_and_b32_sdwa v29, v0, s96 dst_sel:DWORD dst_unused:UNUSED_PAD src0_sel:WORD_1 src1_sel:DWORD
	v_lshrrev_b32_e32 v1, 16, v0
	v_cmp_ne_u16_e32 vcc, 0, v29
	v_mov_b32_e32 v2, 0
	v_mov_b32_e32 v3, 0
	s_and_saveexec_b64 s[28:29], vcc
	s_cbranch_execz .LBB6_22588
; %bb.22581:                            ;   in Loop: Header=BB6_20708 Depth=3
	v_cmp_ne_u16_e32 vcc, s97, v29
	v_bfrev_b32_e32 v3, 1
	s_and_saveexec_b64 s[30:31], vcc
	s_cbranch_execz .LBB6_22587
; %bb.22582:                            ;   in Loop: Header=BB6_20708 Depth=3
	v_and_b32_e32 v3, 0x7c0000, v0
	v_bfe_u32 v29, v0, 16, 2
	v_cmp_ne_u32_e32 vcc, s45, v3
                                        ; implicit-def: $vgpr3
	s_and_saveexec_b64 s[62:63], vcc
	s_xor_b64 s[34:35], exec, s[62:63]
	s_cbranch_execz .LBB6_22584
; %bb.22583:                            ;   in Loop: Header=BB6_20708 Depth=3
	v_ffbh_u32_e32 v49, v29
	v_min_u32_e32 v49, 32, v49
	v_subrev_u32_e32 v54, 29, v49
	v_lshlrev_b64 v[54:55], v54, v[1:2]
	v_bfe_u32 v3, v0, 18, 5
	v_sub_u32_e32 v1, 30, v49
	v_and_b32_e32 v49, 3, v54
	v_cmp_eq_u32_e32 vcc, 0, v3
	v_cndmask_b32_e32 v1, v3, v1, vcc
	v_cndmask_b32_e32 v3, v29, v49, vcc
	v_lshlrev_b32_e32 v29, 8, v0
	v_and_b32_e32 v29, 0x80000000, v29
	v_lshl_add_u32 v1, v1, 23, v29
	v_lshl_or_b32 v1, v3, 21, v1
	v_add_u32_e32 v3, 0x38000000, v1
                                        ; implicit-def: $vgpr29
                                        ; implicit-def: $vgpr1
.LBB6_22584:                            ;   in Loop: Header=BB6_20708 Depth=3
	s_andn2_saveexec_b64 s[34:35], s[34:35]
; %bb.22585:                            ;   in Loop: Header=BB6_20708 Depth=3
	v_mov_b32_e32 v3, -1
	v_cmp_gt_i16_sdwa vcc, sext(v1), v3 src0_sel:BYTE_0 src1_sel:DWORD
	v_mov_b32_e32 v1, 0xff800000
	v_mov_b32_e32 v3, 0x7f800000
	v_cndmask_b32_e32 v1, v1, v3, vcc
	v_cmp_eq_u32_e32 vcc, 0, v29
	v_mov_b32_e32 v3, 0x7f800001
	v_cndmask_b32_e32 v3, v3, v1, vcc
; %bb.22586:                            ;   in Loop: Header=BB6_20708 Depth=3
	s_or_b64 exec, exec, s[34:35]
.LBB6_22587:                            ;   in Loop: Header=BB6_20708 Depth=3
	s_or_b64 exec, exec, s[30:31]
.LBB6_22588:                            ;   in Loop: Header=BB6_20708 Depth=3
	s_or_b64 exec, exec, s[28:29]
	v_lshrrev_b32_e32 v1, 16, v20
	v_cmp_ne_u16_sdwa s[62:63], v1, v33 src0_sel:BYTE_0 src1_sel:DWORD
	s_and_saveexec_b64 s[28:29], s[62:63]
	s_cbranch_execz .LBB6_22596
; %bb.22589:                            ;   in Loop: Header=BB6_20708 Depth=3
	v_cmp_ne_u16_sdwa s[62:63], v1, s97 src0_sel:BYTE_0 src1_sel:DWORD
	v_bfrev_b32_e32 v2, 1
	s_and_saveexec_b64 s[30:31], s[62:63]
	s_cbranch_execz .LBB6_22595
; %bb.22590:                            ;   in Loop: Header=BB6_20708 Depth=3
	v_and_b32_e32 v2, 0x7c0000, v20
	v_bfe_u32 v29, v20, 16, 2
	v_cmp_ne_u32_e32 vcc, s45, v2
                                        ; implicit-def: $vgpr2
	s_and_saveexec_b64 s[62:63], vcc
	s_xor_b64 s[34:35], exec, s[62:63]
	s_cbranch_execz .LBB6_22592
; %bb.22591:                            ;   in Loop: Header=BB6_20708 Depth=3
	v_ffbh_u32_e32 v2, v29
	v_min_u32_e32 v54, 32, v2
	v_subrev_u32_e32 v2, 29, v54
	v_lshlrev_b64 v[1:2], v2, v[1:2]
	v_bfe_u32 v49, v20, 18, 5
	v_and_b32_e32 v1, 3, v1
	v_cmp_eq_u32_e32 vcc, 0, v49
	v_sub_u32_e32 v2, 30, v54
	v_cndmask_b32_e32 v1, v29, v1, vcc
	v_lshlrev_b32_e32 v29, 8, v20
	v_cndmask_b32_e32 v2, v49, v2, vcc
	v_and_b32_e32 v29, 0x80000000, v29
	v_lshl_add_u32 v2, v2, 23, v29
	v_lshl_or_b32 v1, v1, 21, v2
	v_add_u32_e32 v2, 0x38000000, v1
                                        ; implicit-def: $vgpr29
                                        ; implicit-def: $vgpr1
.LBB6_22592:                            ;   in Loop: Header=BB6_20708 Depth=3
	s_andn2_saveexec_b64 s[34:35], s[34:35]
; %bb.22593:                            ;   in Loop: Header=BB6_20708 Depth=3
	v_mov_b32_e32 v2, -1
	v_cmp_gt_i16_sdwa vcc, sext(v1), v2 src0_sel:BYTE_0 src1_sel:DWORD
	v_mov_b32_e32 v1, 0xff800000
	v_mov_b32_e32 v2, 0x7f800000
	v_cndmask_b32_e32 v1, v1, v2, vcc
	v_cmp_eq_u32_e32 vcc, 0, v29
	v_mov_b32_e32 v2, 0x7f800001
	v_cndmask_b32_e32 v2, v2, v1, vcc
; %bb.22594:                            ;   in Loop: Header=BB6_20708 Depth=3
	s_or_b64 exec, exec, s[34:35]
.LBB6_22595:                            ;   in Loop: Header=BB6_20708 Depth=3
	s_or_b64 exec, exec, s[30:31]
.LBB6_22596:                            ;   in Loop: Header=BB6_20708 Depth=3
	s_or_b64 exec, exec, s[28:29]
	v_add_f32_e32 v3, v3, v2
	v_and_b32_e32 v54, 0x7f800000, v3
	v_mov_b32_e32 v55, v33
	v_cmp_ne_u64_e32 vcc, s[76:77], v[54:55]
	v_and_b32_e32 v1, 0x7fffff, v3
	v_mov_b32_e32 v2, v33
                                        ; implicit-def: $vgpr29
                                        ; kill: killed $vgpr29
	s_and_saveexec_b64 s[28:29], vcc
	s_xor_b64 s[30:31], exec, s[28:29]
	s_cbranch_execz .LBB6_22610
; %bb.22597:                            ;   in Loop: Header=BB6_20708 Depth=3
	v_and_b32_e32 v54, 0x7fffffff, v3
	v_mov_b32_e32 v55, v33
	v_cmp_gt_u64_e32 vcc, s[78:79], v[54:55]
	v_and_b32_sdwa v29, v3, s97 dst_sel:DWORD dst_unused:UNUSED_PAD src0_sel:BYTE_3 src1_sel:DWORD
                                        ; implicit-def: $vgpr49
                                        ; kill: killed $vgpr49
	s_and_saveexec_b64 s[28:29], vcc
	s_xor_b64 s[34:35], exec, s[28:29]
	s_cbranch_execz .LBB6_22607
; %bb.22598:                            ;   in Loop: Header=BB6_20708 Depth=3
	v_mov_b32_e32 v49, 0
	v_cmp_ne_u32_e32 vcc, 0, v3
	buffer_store_dword v49, off, s[0:3], s33 offset:108 ; 4-byte Folded Spill
	s_and_saveexec_b64 s[36:37], vcc
	s_cbranch_execz .LBB6_22606
; %bb.22599:                            ;   in Loop: Header=BB6_20708 Depth=3
	v_bfe_u32 v49, v3, 23, 8
	v_cmp_gt_u32_e64 s[28:29], s47, v49
	v_sub_u32_e32 v3, 0x71, v49
	v_cmp_eq_u32_e32 vcc, 0, v49
	v_cndmask_b32_e64 v3, 0, v3, s[28:29]
	v_mov_b32_e32 v54, 0x70
	v_cndmask_b32_e32 v54, v3, v54, vcc
	v_add_u32_e32 v3, 21, v54
	v_mov_b32_e32 v7, v44
	v_or_b32_e32 v55, 0x800000, v1
	v_lshlrev_b64 v[43:44], v3, -1
	v_cndmask_b32_e32 v1, v55, v1, vcc
	v_add_u32_e32 v3, 20, v54
	v_mov_b32_e32 v5, v56
	v_bfi_b32 v43, v43, 0, v1
	v_lshlrev_b64 v[55:56], v3, 1
	v_lshrrev_b64 v[1:2], v54, v[1:2]
	v_bfi_b32 v44, v44, 0, 0
	v_cmp_eq_u64_e64 s[28:29], v[43:44], v[55:56]
	v_mov_b32_e32 v3, v2
	v_mov_b32_e32 v2, v1
	s_and_saveexec_b64 s[38:39], s[28:29]
; %bb.22600:                            ;   in Loop: Header=BB6_20708 Depth=3
	v_bfe_u32 v2, v1, 21, 1
	v_add_co_u32_e64 v2, s[28:29], v1, v2
	v_add_co_u32_e64 v2, s[28:29], -1, v2
; %bb.22601:                            ;   in Loop: Header=BB6_20708 Depth=3
	s_or_b64 exec, exec, s[38:39]
	v_add_u32_e32 v3, 0xffffff81, v49
	v_mov_b32_e32 v49, 0xffffff82
	v_cndmask_b32_e32 v3, v3, v49, vcc
	v_lshrrev_b32_e32 v49, 23, v1
	v_add3_u32 v54, v54, v3, v49
	v_add_u32_e32 v49, 14, v54
	v_and_b32_e32 v2, 0x1fffff, v2
	v_add_u32_e32 v1, v2, v1
	v_mov_b32_e32 v2, v33
	v_cmp_ne_u32_e32 vcc, 0, v49
                                        ; implicit-def: $vgpr3
	s_and_saveexec_b64 s[28:29], vcc
	s_xor_b64 s[28:29], exec, s[28:29]
; %bb.22602:                            ;   in Loop: Header=BB6_20708 Depth=3
	v_cmp_lt_u64_e32 vcc, s[88:89], v[1:2]
	v_add_u32_e32 v3, 15, v54
	v_cndmask_b32_e32 v3, v49, v3, vcc
	v_cndmask_b32_e64 v49, 0, 1, vcc
	v_lshrrev_b64 v[1:2], v49, v[1:2]
; %bb.22603:                            ;   in Loop: Header=BB6_20708 Depth=3
	s_or_saveexec_b64 s[28:29], s[28:29]
	v_mov_b32_e32 v56, v5
	v_mov_b32_e32 v44, v7
	s_xor_b64 exec, exec, s[28:29]
; %bb.22604:                            ;   in Loop: Header=BB6_20708 Depth=3
	v_bfe_u32 v3, v1, 23, 1
; %bb.22605:                            ;   in Loop: Header=BB6_20708 Depth=3
	s_or_b64 exec, exec, s[28:29]
	v_lshrrev_b64 v[1:2], 21, v[1:2]
	v_cmp_gt_i32_e32 vcc, 32, v3
	v_cndmask_b32_e32 v2, 0, v2, vcc
	v_cndmask_b32_e32 v1, 3, v1, vcc
	v_cmp_eq_u64_e64 s[28:29], 0, v[1:2]
	v_min_i32_e32 v2, 31, v3
	v_lshlrev_b32_e32 v2, 2, v2
	v_cmp_eq_u32_e32 vcc, 0, v3
	v_and_b32_e32 v2, 0xfc, v2
	v_and_or_b32 v1, v1, 3, v2
	s_and_b64 s[28:29], vcc, s[28:29]
	v_cndmask_b32_e64 v1, v1, 0, s[28:29]
	v_or_b32_e32 v1, v1, v29
	buffer_store_dword v1, off, s[0:3], s33 offset:108 ; 4-byte Folded Spill
.LBB6_22606:                            ;   in Loop: Header=BB6_20708 Depth=3
	s_or_b64 exec, exec, s[36:37]
                                        ; implicit-def: $vgpr29
.LBB6_22607:                            ;   in Loop: Header=BB6_20708 Depth=3
	s_andn2_saveexec_b64 s[28:29], s[34:35]
	s_cbranch_execz .LBB6_22609
; %bb.22608:                            ;   in Loop: Header=BB6_20708 Depth=3
	v_or_b32_e32 v1, 0x7b, v29
	buffer_store_dword v1, off, s[0:3], s33 offset:108 ; 4-byte Folded Spill
.LBB6_22609:                            ;   in Loop: Header=BB6_20708 Depth=3
	s_or_b64 exec, exec, s[28:29]
                                        ; implicit-def: $vgpr3
                                        ; implicit-def: $vgpr1_vgpr2
.LBB6_22610:                            ;   in Loop: Header=BB6_20708 Depth=3
	s_andn2_saveexec_b64 s[28:29], s[30:31]
	s_cbranch_execz .LBB6_22616
; %bb.22611:                            ;   in Loop: Header=BB6_20708 Depth=3
	v_cmp_ne_u64_e32 vcc, 0, v[1:2]
                                        ; implicit-def: $vgpr1
                                        ; kill: killed $vgpr1
	s_and_saveexec_b64 s[62:63], vcc
	s_xor_b64 vcc, exec, s[62:63]
	s_cbranch_execz .LBB6_22613
; %bb.22612:                            ;   in Loop: Header=BB6_20708 Depth=3
	v_or_b32_sdwa v1, v3, s44 dst_sel:DWORD dst_unused:UNUSED_PAD src0_sel:BYTE_3 src1_sel:DWORD
	buffer_store_dword v1, off, s[0:3], s33 offset:108 ; 4-byte Folded Spill
                                        ; implicit-def: $vgpr3
.LBB6_22613:                            ;   in Loop: Header=BB6_20708 Depth=3
	s_andn2_saveexec_b64 s[30:31], vcc
	s_cbranch_execz .LBB6_22615
; %bb.22614:                            ;   in Loop: Header=BB6_20708 Depth=3
	v_cmp_lt_i32_e32 vcc, -1, v3
	v_bfrev_b32_e32 v1, 0.5
	v_mov_b32_e32 v2, 0x7c
	v_cndmask_b32_e32 v1, v1, v2, vcc
	buffer_store_dword v1, off, s[0:3], s33 offset:108 ; 4-byte Folded Spill
.LBB6_22615:                            ;   in Loop: Header=BB6_20708 Depth=3
	s_or_b64 exec, exec, s[30:31]
.LBB6_22616:                            ;   in Loop: Header=BB6_20708 Depth=3
	s_or_b64 exec, exec, s[28:29]
	v_cmp_lt_u32_e32 vcc, s57, v0
	v_mov_b32_e32 v2, 0
	v_mov_b32_e32 v3, 0
	s_and_saveexec_b64 s[28:29], vcc
	s_cbranch_execz .LBB6_22624
; %bb.22617:                            ;   in Loop: Header=BB6_20708 Depth=3
	v_lshrrev_b32_e32 v1, 24, v0
	v_cmp_ne_u32_e32 vcc, s97, v1
	v_bfrev_b32_e32 v3, 1
	s_and_saveexec_b64 s[30:31], vcc
	s_cbranch_execz .LBB6_22623
; %bb.22618:                            ;   in Loop: Header=BB6_20708 Depth=3
	v_and_b32_e32 v3, 0x7c000000, v0
	v_bfe_u32 v29, v0, 24, 2
	v_cmp_ne_u32_e32 vcc, s68, v3
                                        ; implicit-def: $vgpr3
	s_and_saveexec_b64 s[62:63], vcc
	s_xor_b64 s[34:35], exec, s[62:63]
	s_cbranch_execz .LBB6_22620
; %bb.22619:                            ;   in Loop: Header=BB6_20708 Depth=3
	v_ffbh_u32_e32 v49, v29
	v_min_u32_e32 v49, 32, v49
	v_subrev_u32_e32 v54, 29, v49
	v_bfe_u32 v3, v0, 26, 5
	v_lshlrev_b64 v[54:55], v54, v[1:2]
	v_sub_u32_e32 v1, 30, v49
	v_cmp_eq_u32_e32 vcc, 0, v3
	v_and_b32_e32 v49, 3, v54
	v_cndmask_b32_e32 v1, v3, v1, vcc
	v_and_b32_e32 v0, 0x80000000, v0
	v_cndmask_b32_e32 v3, v29, v49, vcc
	v_lshl_add_u32 v0, v1, 23, v0
	v_lshl_or_b32 v0, v3, 21, v0
	v_add_u32_e32 v3, 0x38000000, v0
                                        ; implicit-def: $vgpr29
                                        ; implicit-def: $vgpr0_vgpr1
.LBB6_22620:                            ;   in Loop: Header=BB6_20708 Depth=3
	s_andn2_saveexec_b64 s[34:35], s[34:35]
; %bb.22621:                            ;   in Loop: Header=BB6_20708 Depth=3
	v_cmp_lt_i32_e32 vcc, -1, v0
	v_mov_b32_e32 v0, 0xff800000
	v_mov_b32_e32 v1, 0x7f800000
	v_cndmask_b32_e32 v0, v0, v1, vcc
	v_cmp_eq_u32_e32 vcc, 0, v29
	v_mov_b32_e32 v1, 0x7f800001
	v_cndmask_b32_e32 v3, v1, v0, vcc
; %bb.22622:                            ;   in Loop: Header=BB6_20708 Depth=3
	s_or_b64 exec, exec, s[34:35]
.LBB6_22623:                            ;   in Loop: Header=BB6_20708 Depth=3
	s_or_b64 exec, exec, s[30:31]
.LBB6_22624:                            ;   in Loop: Header=BB6_20708 Depth=3
	s_or_b64 exec, exec, s[28:29]
	v_cmp_lt_u32_e32 vcc, s57, v20
	s_and_saveexec_b64 s[28:29], vcc
	s_cbranch_execz .LBB6_22632
; %bb.22625:                            ;   in Loop: Header=BB6_20708 Depth=3
	v_lshrrev_b32_e32 v0, 24, v20
	v_cmp_ne_u32_e32 vcc, s97, v0
	v_bfrev_b32_e32 v2, 1
	s_and_saveexec_b64 s[30:31], vcc
	s_cbranch_execz .LBB6_22631
; %bb.22626:                            ;   in Loop: Header=BB6_20708 Depth=3
	v_and_b32_e32 v2, 0x7c000000, v20
	v_bfe_u32 v1, v20, 24, 2
	v_cmp_ne_u32_e32 vcc, s68, v2
                                        ; implicit-def: $vgpr2
	s_and_saveexec_b64 s[62:63], vcc
	s_xor_b64 s[34:35], exec, s[62:63]
	s_cbranch_execz .LBB6_22628
; %bb.22627:                            ;   in Loop: Header=BB6_20708 Depth=3
	v_ffbh_u32_e32 v29, v1
	v_min_u32_e32 v29, 32, v29
	v_subrev_u32_e32 v49, 29, v29
	v_bfe_u32 v2, v20, 26, 5
	v_lshlrev_b64 v[54:55], v49, v[0:1]
	v_sub_u32_e32 v0, 30, v29
	v_cmp_eq_u32_e32 vcc, 0, v2
	v_and_b32_e32 v29, 3, v54
	v_cndmask_b32_e32 v0, v2, v0, vcc
	v_and_b32_e32 v2, 0x80000000, v20
	v_cndmask_b32_e32 v1, v1, v29, vcc
	v_lshl_add_u32 v0, v0, 23, v2
	v_lshl_or_b32 v0, v1, 21, v0
	v_add_u32_e32 v2, 0x38000000, v0
                                        ; implicit-def: $vgpr1
.LBB6_22628:                            ;   in Loop: Header=BB6_20708 Depth=3
	s_andn2_saveexec_b64 s[34:35], s[34:35]
; %bb.22629:                            ;   in Loop: Header=BB6_20708 Depth=3
	v_cmp_lt_i32_e32 vcc, -1, v20
	v_mov_b32_e32 v0, 0xff800000
	v_mov_b32_e32 v2, 0x7f800000
	v_cndmask_b32_e32 v0, v0, v2, vcc
	v_cmp_eq_u32_e32 vcc, 0, v1
	v_mov_b32_e32 v1, 0x7f800001
	v_cndmask_b32_e32 v2, v1, v0, vcc
; %bb.22630:                            ;   in Loop: Header=BB6_20708 Depth=3
	s_or_b64 exec, exec, s[34:35]
.LBB6_22631:                            ;   in Loop: Header=BB6_20708 Depth=3
	s_or_b64 exec, exec, s[30:31]
.LBB6_22632:                            ;   in Loop: Header=BB6_20708 Depth=3
	s_or_b64 exec, exec, s[28:29]
	v_add_f32_e32 v2, v3, v2
	v_and_b32_e32 v54, 0x7f800000, v2
	v_mov_b32_e32 v55, v33
	v_cmp_ne_u64_e32 vcc, s[76:77], v[54:55]
	v_and_b32_e32 v0, 0x7fffff, v2
	v_mov_b32_e32 v1, v33
                                        ; implicit-def: $vgpr3
                                        ; kill: killed $vgpr3
	s_and_saveexec_b64 s[28:29], vcc
	s_xor_b64 s[30:31], exec, s[28:29]
	s_cbranch_execz .LBB6_22646
; %bb.22633:                            ;   in Loop: Header=BB6_20708 Depth=3
	v_and_b32_e32 v54, 0x7fffffff, v2
	v_mov_b32_e32 v55, v33
	v_cmp_gt_u64_e32 vcc, s[78:79], v[54:55]
	v_and_b32_sdwa v3, v2, s97 dst_sel:DWORD dst_unused:UNUSED_PAD src0_sel:BYTE_3 src1_sel:DWORD
                                        ; implicit-def: $vgpr29
                                        ; kill: killed $vgpr29
	s_and_saveexec_b64 s[28:29], vcc
	s_xor_b64 s[34:35], exec, s[28:29]
	s_cbranch_execz .LBB6_22643
; %bb.22634:                            ;   in Loop: Header=BB6_20708 Depth=3
	v_mov_b32_e32 v29, 0
	v_cmp_ne_u32_e32 vcc, 0, v2
	buffer_store_dword v29, off, s[0:3], s33 offset:132 ; 4-byte Folded Spill
	s_and_saveexec_b64 s[36:37], vcc
	s_cbranch_execz .LBB6_22642
; %bb.22635:                            ;   in Loop: Header=BB6_20708 Depth=3
	v_bfe_u32 v29, v2, 23, 8
	v_cmp_gt_u32_e64 s[28:29], s47, v29
	v_sub_u32_e32 v2, 0x71, v29
	v_cmp_eq_u32_e32 vcc, 0, v29
	v_cndmask_b32_e64 v2, 0, v2, s[28:29]
	v_mov_b32_e32 v49, 0x70
	v_cndmask_b32_e32 v49, v2, v49, vcc
	v_or_b32_e32 v54, 0x800000, v0
	v_add_u32_e32 v2, 21, v49
	v_cndmask_b32_e32 v0, v54, v0, vcc
	v_lshlrev_b64 v[54:55], v2, -1
	v_add_u32_e32 v2, 20, v49
	v_mov_b32_e32 v5, v44
	v_bfi_b32 v54, v54, 0, v0
	v_lshlrev_b64 v[43:44], v2, 1
	v_lshrrev_b64 v[0:1], v49, v[0:1]
	v_bfi_b32 v55, v55, 0, 0
	v_cmp_eq_u64_e64 s[28:29], v[54:55], v[43:44]
	v_mov_b32_e32 v2, v1
	v_mov_b32_e32 v1, v0
	s_and_saveexec_b64 s[38:39], s[28:29]
; %bb.22636:                            ;   in Loop: Header=BB6_20708 Depth=3
	v_bfe_u32 v1, v0, 21, 1
	v_add_co_u32_e64 v1, s[28:29], v0, v1
	v_add_co_u32_e64 v1, s[28:29], -1, v1
; %bb.22637:                            ;   in Loop: Header=BB6_20708 Depth=3
	s_or_b64 exec, exec, s[38:39]
	v_add_u32_e32 v2, 0xffffff81, v29
	v_mov_b32_e32 v29, 0xffffff82
	v_cndmask_b32_e32 v2, v2, v29, vcc
	v_lshrrev_b32_e32 v29, 23, v0
	v_add3_u32 v49, v49, v2, v29
	v_add_u32_e32 v29, 14, v49
	v_and_b32_e32 v1, 0x1fffff, v1
	v_add_u32_e32 v0, v1, v0
	v_mov_b32_e32 v1, v33
	v_cmp_ne_u32_e32 vcc, 0, v29
                                        ; implicit-def: $vgpr2
	s_and_saveexec_b64 s[28:29], vcc
	s_xor_b64 s[28:29], exec, s[28:29]
; %bb.22638:                            ;   in Loop: Header=BB6_20708 Depth=3
	v_cmp_lt_u64_e32 vcc, s[88:89], v[0:1]
	v_add_u32_e32 v2, 15, v49
	v_cndmask_b32_e32 v2, v29, v2, vcc
	v_cndmask_b32_e64 v29, 0, 1, vcc
	v_lshrrev_b64 v[0:1], v29, v[0:1]
; %bb.22639:                            ;   in Loop: Header=BB6_20708 Depth=3
	s_or_saveexec_b64 s[28:29], s[28:29]
	v_mov_b32_e32 v44, v5
	s_xor_b64 exec, exec, s[28:29]
; %bb.22640:                            ;   in Loop: Header=BB6_20708 Depth=3
	v_bfe_u32 v2, v0, 23, 1
; %bb.22641:                            ;   in Loop: Header=BB6_20708 Depth=3
	s_or_b64 exec, exec, s[28:29]
	v_lshrrev_b64 v[0:1], 21, v[0:1]
	v_cmp_gt_i32_e32 vcc, 32, v2
	v_cndmask_b32_e32 v1, 0, v1, vcc
	v_cndmask_b32_e32 v0, 3, v0, vcc
	v_cmp_eq_u64_e64 s[28:29], 0, v[0:1]
	v_min_i32_e32 v1, 31, v2
	v_lshlrev_b32_e32 v1, 2, v1
	v_cmp_eq_u32_e32 vcc, 0, v2
	v_and_b32_e32 v1, 0xfc, v1
	v_and_or_b32 v0, v0, 3, v1
	s_and_b64 s[28:29], vcc, s[28:29]
	v_cndmask_b32_e64 v0, v0, 0, s[28:29]
	v_or_b32_e32 v0, v0, v3
	buffer_store_dword v0, off, s[0:3], s33 offset:132 ; 4-byte Folded Spill
.LBB6_22642:                            ;   in Loop: Header=BB6_20708 Depth=3
	s_or_b64 exec, exec, s[36:37]
                                        ; implicit-def: $vgpr3
.LBB6_22643:                            ;   in Loop: Header=BB6_20708 Depth=3
	s_andn2_saveexec_b64 s[28:29], s[34:35]
	s_cbranch_execz .LBB6_22645
; %bb.22644:                            ;   in Loop: Header=BB6_20708 Depth=3
	v_or_b32_e32 v0, 0x7b, v3
	buffer_store_dword v0, off, s[0:3], s33 offset:132 ; 4-byte Folded Spill
.LBB6_22645:                            ;   in Loop: Header=BB6_20708 Depth=3
	s_or_b64 exec, exec, s[28:29]
                                        ; implicit-def: $vgpr2
                                        ; implicit-def: $vgpr0_vgpr1
.LBB6_22646:                            ;   in Loop: Header=BB6_20708 Depth=3
	s_andn2_saveexec_b64 s[28:29], s[30:31]
	s_cbranch_execz .LBB6_22652
; %bb.22647:                            ;   in Loop: Header=BB6_20708 Depth=3
	v_cmp_ne_u64_e32 vcc, 0, v[0:1]
                                        ; implicit-def: $vgpr0
                                        ; kill: killed $vgpr0
	s_and_saveexec_b64 s[62:63], vcc
	s_xor_b64 vcc, exec, s[62:63]
	s_cbranch_execz .LBB6_22649
; %bb.22648:                            ;   in Loop: Header=BB6_20708 Depth=3
	v_or_b32_sdwa v0, v2, s44 dst_sel:DWORD dst_unused:UNUSED_PAD src0_sel:BYTE_3 src1_sel:DWORD
	buffer_store_dword v0, off, s[0:3], s33 offset:132 ; 4-byte Folded Spill
                                        ; implicit-def: $vgpr2
.LBB6_22649:                            ;   in Loop: Header=BB6_20708 Depth=3
	s_andn2_saveexec_b64 s[30:31], vcc
	s_cbranch_execz .LBB6_22651
; %bb.22650:                            ;   in Loop: Header=BB6_20708 Depth=3
	v_cmp_lt_i32_e32 vcc, -1, v2
	v_bfrev_b32_e32 v0, 0.5
	v_mov_b32_e32 v1, 0x7c
	v_cndmask_b32_e32 v0, v0, v1, vcc
	buffer_store_dword v0, off, s[0:3], s33 offset:132 ; 4-byte Folded Spill
.LBB6_22651:                            ;   in Loop: Header=BB6_20708 Depth=3
	s_or_b64 exec, exec, s[30:31]
.LBB6_22652:                            ;   in Loop: Header=BB6_20708 Depth=3
	s_or_b64 exec, exec, s[28:29]
	v_lshl_or_b32 v29, v36, 8, v40
	v_lshlrev_b32_e32 v0, 16, v39
	v_lshlrev_b32_e32 v1, 24, v52
	v_or3_b32 v0, v0, v1, v29
	v_mov_b32_e32 v1, v33
	v_cmp_ne_u32_e32 vcc, 0, v40
	v_mov_b32_e32 v2, 0
	v_mov_b32_e32 v3, 0
	s_and_saveexec_b64 s[30:31], vcc
	s_cbranch_execz .LBB6_22660
; %bb.22653:                            ;   in Loop: Header=BB6_20708 Depth=3
	v_cmp_ne_u32_e32 vcc, s97, v40
	v_bfrev_b32_e32 v3, 1
	s_and_saveexec_b64 s[34:35], vcc
	s_cbranch_execz .LBB6_22659
; %bb.22654:                            ;   in Loop: Header=BB6_20708 Depth=3
	v_and_b32_e32 v3, 0x7c, v40
	v_and_b32_e32 v36, 3, v40
	v_cmp_ne_u32_e32 vcc, s86, v3
                                        ; implicit-def: $vgpr3
	s_and_saveexec_b64 s[28:29], vcc
	s_xor_b64 s[28:29], exec, s[28:29]
	s_cbranch_execz .LBB6_22656
; %bb.22655:                            ;   in Loop: Header=BB6_20708 Depth=3
	v_ffbh_u32_e32 v39, v36
	v_min_u32_e32 v39, 32, v39
	v_subrev_u32_e32 v49, 29, v39
	v_lshlrev_b64 v[54:55], v49, v[0:1]
	v_bfe_u32 v3, v40, 2, 5
	v_sub_u32_e32 v1, 30, v39
	v_and_b32_e32 v39, 3, v54
	v_cmp_eq_u32_e32 vcc, 0, v3
	v_cndmask_b32_e32 v1, v3, v1, vcc
	v_cndmask_b32_e32 v3, v36, v39, vcc
	v_lshlrev_b32_e32 v36, 24, v40
	v_and_b32_e32 v36, 0x80000000, v36
	v_lshl_add_u32 v1, v1, 23, v36
	v_lshl_or_b32 v1, v3, 21, v1
	v_add_u32_e32 v3, 0x38000000, v1
                                        ; implicit-def: $vgpr36
                                        ; implicit-def: $vgpr40
.LBB6_22656:                            ;   in Loop: Header=BB6_20708 Depth=3
	s_andn2_saveexec_b64 s[36:37], s[28:29]
; %bb.22657:                            ;   in Loop: Header=BB6_20708 Depth=3
	v_and_b32_e32 v1, 0x80, v40
	v_cmp_eq_u32_e64 s[28:29], 0, v1
	v_mov_b32_e32 v1, 0xff800000
	v_mov_b32_e32 v3, 0x7f800000
	v_cmp_eq_u32_e32 vcc, 0, v36
	v_cndmask_b32_e64 v1, v1, v3, s[28:29]
	v_mov_b32_e32 v3, 0x7f800001
	v_cndmask_b32_e32 v3, v3, v1, vcc
; %bb.22658:                            ;   in Loop: Header=BB6_20708 Depth=3
	s_or_b64 exec, exec, s[36:37]
.LBB6_22659:                            ;   in Loop: Header=BB6_20708 Depth=3
	s_or_b64 exec, exec, s[34:35]
.LBB6_22660:                            ;   in Loop: Header=BB6_20708 Depth=3
	s_or_b64 exec, exec, s[30:31]
	v_cmp_ne_u16_sdwa s[62:63], v21, v33 src0_sel:BYTE_0 src1_sel:DWORD
	s_and_saveexec_b64 s[28:29], s[62:63]
	s_cbranch_execz .LBB6_22668
; %bb.22661:                            ;   in Loop: Header=BB6_20708 Depth=3
	v_cmp_ne_u16_sdwa s[62:63], v21, s97 src0_sel:BYTE_0 src1_sel:DWORD
	v_bfrev_b32_e32 v2, 1
	s_and_saveexec_b64 s[30:31], s[62:63]
	s_cbranch_execz .LBB6_22667
; %bb.22662:                            ;   in Loop: Header=BB6_20708 Depth=3
	v_and_b32_e32 v2, 0x7c, v21
	v_and_b32_e32 v1, 3, v21
	v_cmp_ne_u32_e32 vcc, s86, v2
                                        ; implicit-def: $vgpr2
	s_and_saveexec_b64 s[62:63], vcc
	s_xor_b64 s[34:35], exec, s[62:63]
	s_cbranch_execz .LBB6_22664
; %bb.22663:                            ;   in Loop: Header=BB6_20708 Depth=3
	v_ffbh_u32_e32 v36, v1
	v_min_u32_e32 v36, 32, v36
	v_mov_b32_e32 v54, v21
	v_mov_b32_e32 v55, v33
	v_bfe_u32 v2, v21, 2, 5
	v_subrev_u32_e32 v39, 29, v36
	v_lshlrev_b64 v[54:55], v39, v[54:55]
	v_sub_u32_e32 v36, 30, v36
	v_cmp_eq_u32_e32 vcc, 0, v2
	v_cndmask_b32_e32 v2, v2, v36, vcc
	v_lshlrev_b32_e32 v36, 24, v21
	v_and_b32_e32 v39, 3, v54
	v_and_b32_e32 v36, 0x80000000, v36
	v_cndmask_b32_e32 v1, v1, v39, vcc
	v_lshl_add_u32 v2, v2, 23, v36
	v_lshl_or_b32 v1, v1, 21, v2
	v_add_u32_e32 v2, 0x38000000, v1
                                        ; implicit-def: $vgpr1
.LBB6_22664:                            ;   in Loop: Header=BB6_20708 Depth=3
	s_andn2_saveexec_b64 s[34:35], s[34:35]
; %bb.22665:                            ;   in Loop: Header=BB6_20708 Depth=3
	v_mov_b32_e32 v2, -1
	v_cmp_gt_i16_sdwa vcc, sext(v21), v2 src0_sel:BYTE_0 src1_sel:DWORD
	v_mov_b32_e32 v2, 0xff800000
	v_mov_b32_e32 v36, 0x7f800000
	v_cndmask_b32_e32 v2, v2, v36, vcc
	v_cmp_eq_u32_e32 vcc, 0, v1
	v_mov_b32_e32 v1, 0x7f800001
	v_cndmask_b32_e32 v2, v1, v2, vcc
; %bb.22666:                            ;   in Loop: Header=BB6_20708 Depth=3
	s_or_b64 exec, exec, s[34:35]
.LBB6_22667:                            ;   in Loop: Header=BB6_20708 Depth=3
	s_or_b64 exec, exec, s[30:31]
.LBB6_22668:                            ;   in Loop: Header=BB6_20708 Depth=3
	s_or_b64 exec, exec, s[28:29]
	v_add_f32_e32 v3, v3, v2
	v_and_b32_e32 v54, 0x7f800000, v3
	v_mov_b32_e32 v55, v33
	v_cmp_ne_u64_e32 vcc, s[76:77], v[54:55]
	v_and_b32_e32 v1, 0x7fffff, v3
	v_mov_b32_e32 v2, v33
                                        ; implicit-def: $vgpr36
                                        ; kill: killed $vgpr36
	s_and_saveexec_b64 s[28:29], vcc
	s_xor_b64 s[30:31], exec, s[28:29]
	s_cbranch_execz .LBB6_22682
; %bb.22669:                            ;   in Loop: Header=BB6_20708 Depth=3
	v_and_b32_e32 v54, 0x7fffffff, v3
	v_mov_b32_e32 v55, v33
	v_cmp_gt_u64_e32 vcc, s[78:79], v[54:55]
	v_and_b32_sdwa v36, v3, s97 dst_sel:DWORD dst_unused:UNUSED_PAD src0_sel:BYTE_3 src1_sel:DWORD
                                        ; implicit-def: $vgpr39
                                        ; kill: killed $vgpr39
	s_and_saveexec_b64 s[28:29], vcc
	s_xor_b64 s[34:35], exec, s[28:29]
	s_cbranch_execz .LBB6_22679
; %bb.22670:                            ;   in Loop: Header=BB6_20708 Depth=3
	v_mov_b32_e32 v39, 0
	v_cmp_ne_u32_e32 vcc, 0, v3
	buffer_store_dword v39, off, s[0:3], s33 offset:188 ; 4-byte Folded Spill
	s_and_saveexec_b64 s[36:37], vcc
	s_cbranch_execz .LBB6_22678
; %bb.22671:                            ;   in Loop: Header=BB6_20708 Depth=3
	v_bfe_u32 v39, v3, 23, 8
	v_cmp_gt_u32_e64 s[28:29], s47, v39
	v_sub_u32_e32 v3, 0x71, v39
	v_cmp_eq_u32_e32 vcc, 0, v39
	v_cndmask_b32_e64 v3, 0, v3, s[28:29]
	v_mov_b32_e32 v49, 0x70
	v_cndmask_b32_e32 v49, v3, v49, vcc
	v_add_u32_e32 v3, 21, v49
	v_or_b32_e32 v52, 0x800000, v1
	v_lshlrev_b64 v[54:55], v3, -1
	v_cndmask_b32_e32 v1, v52, v1, vcc
	v_add_u32_e32 v3, 20, v49
	v_mov_b32_e32 v5, v44
	v_bfi_b32 v54, v54, 0, v1
	v_lshlrev_b64 v[43:44], v3, 1
	v_lshrrev_b64 v[1:2], v49, v[1:2]
	v_bfi_b32 v55, v55, 0, 0
	v_cmp_eq_u64_e64 s[28:29], v[54:55], v[43:44]
	v_mov_b32_e32 v3, v2
	v_mov_b32_e32 v2, v1
	s_and_saveexec_b64 s[38:39], s[28:29]
; %bb.22672:                            ;   in Loop: Header=BB6_20708 Depth=3
	v_bfe_u32 v2, v1, 21, 1
	v_add_co_u32_e64 v2, s[28:29], v1, v2
	v_add_co_u32_e64 v2, s[28:29], -1, v2
; %bb.22673:                            ;   in Loop: Header=BB6_20708 Depth=3
	s_or_b64 exec, exec, s[38:39]
	v_add_u32_e32 v3, 0xffffff81, v39
	v_mov_b32_e32 v39, 0xffffff82
	v_cndmask_b32_e32 v3, v3, v39, vcc
	v_lshrrev_b32_e32 v39, 23, v1
	v_add3_u32 v49, v49, v3, v39
	v_add_u32_e32 v39, 14, v49
	v_and_b32_e32 v2, 0x1fffff, v2
	v_add_u32_e32 v1, v2, v1
	v_mov_b32_e32 v2, v33
	v_cmp_ne_u32_e32 vcc, 0, v39
                                        ; implicit-def: $vgpr3
	s_and_saveexec_b64 s[28:29], vcc
	s_xor_b64 s[28:29], exec, s[28:29]
; %bb.22674:                            ;   in Loop: Header=BB6_20708 Depth=3
	v_cmp_lt_u64_e32 vcc, s[88:89], v[1:2]
	v_add_u32_e32 v3, 15, v49
	v_cndmask_b32_e32 v3, v39, v3, vcc
	v_cndmask_b32_e64 v39, 0, 1, vcc
	v_lshrrev_b64 v[1:2], v39, v[1:2]
; %bb.22675:                            ;   in Loop: Header=BB6_20708 Depth=3
	s_or_saveexec_b64 s[28:29], s[28:29]
	v_mov_b32_e32 v44, v5
	s_xor_b64 exec, exec, s[28:29]
; %bb.22676:                            ;   in Loop: Header=BB6_20708 Depth=3
	v_bfe_u32 v3, v1, 23, 1
; %bb.22677:                            ;   in Loop: Header=BB6_20708 Depth=3
	s_or_b64 exec, exec, s[28:29]
	v_lshrrev_b64 v[1:2], 21, v[1:2]
	v_cmp_gt_i32_e32 vcc, 32, v3
	v_cndmask_b32_e32 v2, 0, v2, vcc
	v_cndmask_b32_e32 v1, 3, v1, vcc
	v_cmp_eq_u64_e64 s[28:29], 0, v[1:2]
	v_min_i32_e32 v2, 31, v3
	v_lshlrev_b32_e32 v2, 2, v2
	v_cmp_eq_u32_e32 vcc, 0, v3
	v_and_b32_e32 v2, 0xfc, v2
	v_and_or_b32 v1, v1, 3, v2
	s_and_b64 s[28:29], vcc, s[28:29]
	v_cndmask_b32_e64 v1, v1, 0, s[28:29]
	v_or_b32_e32 v1, v1, v36
	buffer_store_dword v1, off, s[0:3], s33 offset:188 ; 4-byte Folded Spill
.LBB6_22678:                            ;   in Loop: Header=BB6_20708 Depth=3
	s_or_b64 exec, exec, s[36:37]
                                        ; implicit-def: $vgpr36
.LBB6_22679:                            ;   in Loop: Header=BB6_20708 Depth=3
	s_andn2_saveexec_b64 s[28:29], s[34:35]
	s_cbranch_execz .LBB6_22681
; %bb.22680:                            ;   in Loop: Header=BB6_20708 Depth=3
	v_or_b32_e32 v1, 0x7b, v36
	buffer_store_dword v1, off, s[0:3], s33 offset:188 ; 4-byte Folded Spill
.LBB6_22681:                            ;   in Loop: Header=BB6_20708 Depth=3
	s_or_b64 exec, exec, s[28:29]
                                        ; implicit-def: $vgpr3
                                        ; implicit-def: $vgpr1_vgpr2
.LBB6_22682:                            ;   in Loop: Header=BB6_20708 Depth=3
	s_andn2_saveexec_b64 s[28:29], s[30:31]
	s_cbranch_execz .LBB6_22688
; %bb.22683:                            ;   in Loop: Header=BB6_20708 Depth=3
	v_cmp_ne_u64_e32 vcc, 0, v[1:2]
                                        ; implicit-def: $vgpr1
                                        ; kill: killed $vgpr1
	s_and_saveexec_b64 s[62:63], vcc
	s_xor_b64 vcc, exec, s[62:63]
	s_cbranch_execz .LBB6_22685
; %bb.22684:                            ;   in Loop: Header=BB6_20708 Depth=3
	v_or_b32_sdwa v1, v3, s44 dst_sel:DWORD dst_unused:UNUSED_PAD src0_sel:BYTE_3 src1_sel:DWORD
	buffer_store_dword v1, off, s[0:3], s33 offset:188 ; 4-byte Folded Spill
                                        ; implicit-def: $vgpr3
.LBB6_22685:                            ;   in Loop: Header=BB6_20708 Depth=3
	s_andn2_saveexec_b64 s[30:31], vcc
	s_cbranch_execz .LBB6_22687
; %bb.22686:                            ;   in Loop: Header=BB6_20708 Depth=3
	v_cmp_lt_i32_e32 vcc, -1, v3
	v_bfrev_b32_e32 v1, 0.5
	v_mov_b32_e32 v2, 0x7c
	v_cndmask_b32_e32 v1, v1, v2, vcc
	buffer_store_dword v1, off, s[0:3], s33 offset:188 ; 4-byte Folded Spill
.LBB6_22687:                            ;   in Loop: Header=BB6_20708 Depth=3
	s_or_b64 exec, exec, s[30:31]
.LBB6_22688:                            ;   in Loop: Header=BB6_20708 Depth=3
	s_or_b64 exec, exec, s[28:29]
	v_lshrrev_b16_e32 v1, 8, v29
	v_cmp_ne_u16_e32 vcc, 0, v1
	v_mov_b32_e32 v3, 0
	v_mov_b32_e32 v36, 0
	s_and_saveexec_b64 s[28:29], vcc
	s_cbranch_execz .LBB6_22696
; %bb.22689:                            ;   in Loop: Header=BB6_20708 Depth=3
	v_cmp_ne_u16_e32 vcc, s97, v1
	v_bfrev_b32_e32 v36, 1
	s_and_saveexec_b64 s[30:31], vcc
	s_cbranch_execz .LBB6_22695
; %bb.22690:                            ;   in Loop: Header=BB6_20708 Depth=3
	v_and_b32_e32 v2, 0x7c, v1
	v_and_b32_e32 v39, 3, v1
	v_cmp_ne_u32_e32 vcc, s86, v2
                                        ; implicit-def: $vgpr36
	s_and_saveexec_b64 s[62:63], vcc
	s_xor_b64 s[34:35], exec, s[62:63]
	s_cbranch_execz .LBB6_22692
; %bb.22691:                            ;   in Loop: Header=BB6_20708 Depth=3
	v_ffbh_u32_e32 v49, v39
	v_min_u32_e32 v49, 32, v49
	v_mov_b32_e32 v2, v33
	v_subrev_u32_e32 v52, 29, v49
	v_bfe_u32 v36, v1, 2, 5
	v_lshlrev_b64 v[1:2], v52, v[1:2]
	v_sub_u32_e32 v2, 30, v49
	v_cmp_eq_u32_e32 vcc, 0, v36
	v_lshlrev_b32_e32 v29, 16, v29
	v_and_b32_e32 v1, 3, v1
	v_cndmask_b32_e32 v2, v36, v2, vcc
	v_and_b32_e32 v29, 0x80000000, v29
	v_cndmask_b32_e32 v1, v39, v1, vcc
	v_lshl_add_u32 v2, v2, 23, v29
	v_lshl_or_b32 v1, v1, 21, v2
	v_add_u32_e32 v36, 0x38000000, v1
                                        ; implicit-def: $vgpr39
                                        ; implicit-def: $vgpr29
.LBB6_22692:                            ;   in Loop: Header=BB6_20708 Depth=3
	s_andn2_saveexec_b64 s[34:35], s[34:35]
; %bb.22693:                            ;   in Loop: Header=BB6_20708 Depth=3
	v_cmp_lt_i16_e32 vcc, -1, v29
	v_mov_b32_e32 v1, 0xff800000
	v_mov_b32_e32 v2, 0x7f800000
	v_cndmask_b32_e32 v1, v1, v2, vcc
	v_cmp_eq_u32_e32 vcc, 0, v39
	v_mov_b32_e32 v2, 0x7f800001
	v_cndmask_b32_e32 v36, v2, v1, vcc
; %bb.22694:                            ;   in Loop: Header=BB6_20708 Depth=3
	s_or_b64 exec, exec, s[34:35]
.LBB6_22695:                            ;   in Loop: Header=BB6_20708 Depth=3
	s_or_b64 exec, exec, s[30:31]
.LBB6_22696:                            ;   in Loop: Header=BB6_20708 Depth=3
	s_or_b64 exec, exec, s[28:29]
	v_lshrrev_b16_e32 v1, 8, v21
	v_cmp_ne_u16_e32 vcc, 0, v1
	s_and_saveexec_b64 s[28:29], vcc
	s_cbranch_execz .LBB6_22704
; %bb.22697:                            ;   in Loop: Header=BB6_20708 Depth=3
	v_cmp_ne_u16_e32 vcc, s97, v1
	v_bfrev_b32_e32 v3, 1
	s_and_saveexec_b64 s[30:31], vcc
	s_cbranch_execz .LBB6_22703
; %bb.22698:                            ;   in Loop: Header=BB6_20708 Depth=3
	v_and_b32_e32 v2, 0x7c, v1
	v_and_b32_e32 v29, 3, v1
	v_cmp_ne_u32_e32 vcc, s86, v2
                                        ; implicit-def: $vgpr3
	s_and_saveexec_b64 s[62:63], vcc
	s_xor_b64 s[34:35], exec, s[62:63]
	s_cbranch_execz .LBB6_22700
; %bb.22699:                            ;   in Loop: Header=BB6_20708 Depth=3
	v_ffbh_u32_e32 v39, v29
	v_min_u32_e32 v39, 32, v39
	v_mov_b32_e32 v2, v33
	v_subrev_u32_e32 v49, 29, v39
	v_bfe_u32 v3, v1, 2, 5
	v_lshlrev_b64 v[1:2], v49, v[1:2]
	v_sub_u32_e32 v2, 30, v39
	v_cmp_eq_u32_e32 vcc, 0, v3
	v_cndmask_b32_e32 v2, v3, v2, vcc
	v_lshlrev_b32_e32 v3, 16, v21
	v_and_b32_e32 v1, 3, v1
	v_and_b32_e32 v3, 0x80000000, v3
	v_cndmask_b32_e32 v1, v29, v1, vcc
	v_lshl_add_u32 v2, v2, 23, v3
	v_lshl_or_b32 v1, v1, 21, v2
	v_add_u32_e32 v3, 0x38000000, v1
                                        ; implicit-def: $vgpr29
.LBB6_22700:                            ;   in Loop: Header=BB6_20708 Depth=3
	s_andn2_saveexec_b64 s[34:35], s[34:35]
; %bb.22701:                            ;   in Loop: Header=BB6_20708 Depth=3
	v_cmp_lt_i16_e32 vcc, -1, v21
	v_mov_b32_e32 v1, 0xff800000
	v_mov_b32_e32 v2, 0x7f800000
	v_cndmask_b32_e32 v1, v1, v2, vcc
	v_cmp_eq_u32_e32 vcc, 0, v29
	v_mov_b32_e32 v2, 0x7f800001
	v_cndmask_b32_e32 v3, v2, v1, vcc
; %bb.22702:                            ;   in Loop: Header=BB6_20708 Depth=3
	s_or_b64 exec, exec, s[34:35]
.LBB6_22703:                            ;   in Loop: Header=BB6_20708 Depth=3
	s_or_b64 exec, exec, s[30:31]
.LBB6_22704:                            ;   in Loop: Header=BB6_20708 Depth=3
	s_or_b64 exec, exec, s[28:29]
	v_add_f32_e32 v3, v36, v3
	v_and_b32_e32 v54, 0x7f800000, v3
	v_mov_b32_e32 v55, v33
	v_cmp_ne_u64_e32 vcc, s[76:77], v[54:55]
	v_and_b32_e32 v1, 0x7fffff, v3
	v_mov_b32_e32 v2, v33
                                        ; implicit-def: $vgpr29
                                        ; kill: killed $vgpr29
	s_and_saveexec_b64 s[28:29], vcc
	s_xor_b64 s[30:31], exec, s[28:29]
	s_cbranch_execz .LBB6_22718
; %bb.22705:                            ;   in Loop: Header=BB6_20708 Depth=3
	v_and_b32_e32 v54, 0x7fffffff, v3
	v_mov_b32_e32 v55, v33
	v_cmp_gt_u64_e32 vcc, s[78:79], v[54:55]
	v_and_b32_sdwa v29, v3, s97 dst_sel:DWORD dst_unused:UNUSED_PAD src0_sel:BYTE_3 src1_sel:DWORD
                                        ; implicit-def: $vgpr36
                                        ; kill: killed $vgpr36
	s_and_saveexec_b64 s[28:29], vcc
	s_xor_b64 s[34:35], exec, s[28:29]
	s_cbranch_execz .LBB6_22715
; %bb.22706:                            ;   in Loop: Header=BB6_20708 Depth=3
	v_mov_b32_e32 v36, 0
	v_cmp_ne_u32_e32 vcc, 0, v3
	buffer_store_dword v36, off, s[0:3], s33 offset:212 ; 4-byte Folded Spill
	s_and_saveexec_b64 s[36:37], vcc
	s_cbranch_execz .LBB6_22714
; %bb.22707:                            ;   in Loop: Header=BB6_20708 Depth=3
	v_bfe_u32 v36, v3, 23, 8
	v_cmp_gt_u32_e64 s[28:29], s47, v36
	v_sub_u32_e32 v3, 0x71, v36
	v_cmp_eq_u32_e32 vcc, 0, v36
	v_cndmask_b32_e64 v3, 0, v3, s[28:29]
	v_mov_b32_e32 v39, 0x70
	v_cndmask_b32_e32 v39, v3, v39, vcc
	v_add_u32_e32 v3, 21, v39
	v_or_b32_e32 v49, 0x800000, v1
	v_lshlrev_b64 v[54:55], v3, -1
	v_cndmask_b32_e32 v1, v49, v1, vcc
	v_add_u32_e32 v3, 20, v39
	v_mov_b32_e32 v5, v44
	v_bfi_b32 v54, v54, 0, v1
	v_lshlrev_b64 v[43:44], v3, 1
	v_lshrrev_b64 v[1:2], v39, v[1:2]
	v_bfi_b32 v55, v55, 0, 0
	v_cmp_eq_u64_e64 s[28:29], v[54:55], v[43:44]
	v_mov_b32_e32 v3, v2
	v_mov_b32_e32 v2, v1
	s_and_saveexec_b64 s[38:39], s[28:29]
; %bb.22708:                            ;   in Loop: Header=BB6_20708 Depth=3
	v_bfe_u32 v2, v1, 21, 1
	v_add_co_u32_e64 v2, s[28:29], v1, v2
	v_add_co_u32_e64 v2, s[28:29], -1, v2
; %bb.22709:                            ;   in Loop: Header=BB6_20708 Depth=3
	s_or_b64 exec, exec, s[38:39]
	v_add_u32_e32 v3, 0xffffff81, v36
	v_mov_b32_e32 v36, 0xffffff82
	v_cndmask_b32_e32 v3, v3, v36, vcc
	v_lshrrev_b32_e32 v36, 23, v1
	v_add3_u32 v39, v39, v3, v36
	v_add_u32_e32 v36, 14, v39
	v_and_b32_e32 v2, 0x1fffff, v2
	v_add_u32_e32 v1, v2, v1
	v_mov_b32_e32 v2, v33
	v_cmp_ne_u32_e32 vcc, 0, v36
                                        ; implicit-def: $vgpr3
	s_and_saveexec_b64 s[28:29], vcc
	s_xor_b64 s[28:29], exec, s[28:29]
; %bb.22710:                            ;   in Loop: Header=BB6_20708 Depth=3
	v_cmp_lt_u64_e32 vcc, s[88:89], v[1:2]
	v_add_u32_e32 v3, 15, v39
	v_cndmask_b32_e32 v3, v36, v3, vcc
	v_cndmask_b32_e64 v36, 0, 1, vcc
	v_lshrrev_b64 v[1:2], v36, v[1:2]
; %bb.22711:                            ;   in Loop: Header=BB6_20708 Depth=3
	s_or_saveexec_b64 s[28:29], s[28:29]
	v_mov_b32_e32 v44, v5
	s_xor_b64 exec, exec, s[28:29]
; %bb.22712:                            ;   in Loop: Header=BB6_20708 Depth=3
	v_bfe_u32 v3, v1, 23, 1
; %bb.22713:                            ;   in Loop: Header=BB6_20708 Depth=3
	s_or_b64 exec, exec, s[28:29]
	v_lshrrev_b64 v[1:2], 21, v[1:2]
	v_cmp_gt_i32_e32 vcc, 32, v3
	v_cndmask_b32_e32 v2, 0, v2, vcc
	v_cndmask_b32_e32 v1, 3, v1, vcc
	v_cmp_eq_u64_e64 s[28:29], 0, v[1:2]
	v_min_i32_e32 v2, 31, v3
	v_lshlrev_b32_e32 v2, 2, v2
	v_cmp_eq_u32_e32 vcc, 0, v3
	v_and_b32_e32 v2, 0xfc, v2
	v_and_or_b32 v1, v1, 3, v2
	s_and_b64 s[28:29], vcc, s[28:29]
	v_cndmask_b32_e64 v1, v1, 0, s[28:29]
	v_or_b32_e32 v1, v1, v29
	buffer_store_dword v1, off, s[0:3], s33 offset:212 ; 4-byte Folded Spill
.LBB6_22714:                            ;   in Loop: Header=BB6_20708 Depth=3
	s_or_b64 exec, exec, s[36:37]
                                        ; implicit-def: $vgpr29
.LBB6_22715:                            ;   in Loop: Header=BB6_20708 Depth=3
	s_andn2_saveexec_b64 s[28:29], s[34:35]
	s_cbranch_execz .LBB6_22717
; %bb.22716:                            ;   in Loop: Header=BB6_20708 Depth=3
	v_or_b32_e32 v1, 0x7b, v29
	buffer_store_dword v1, off, s[0:3], s33 offset:212 ; 4-byte Folded Spill
.LBB6_22717:                            ;   in Loop: Header=BB6_20708 Depth=3
	s_or_b64 exec, exec, s[28:29]
                                        ; implicit-def: $vgpr3
                                        ; implicit-def: $vgpr1_vgpr2
.LBB6_22718:                            ;   in Loop: Header=BB6_20708 Depth=3
	s_andn2_saveexec_b64 s[28:29], s[30:31]
	s_cbranch_execz .LBB6_22724
; %bb.22719:                            ;   in Loop: Header=BB6_20708 Depth=3
	v_cmp_ne_u64_e32 vcc, 0, v[1:2]
                                        ; implicit-def: $vgpr1
                                        ; kill: killed $vgpr1
	s_and_saveexec_b64 s[62:63], vcc
	s_xor_b64 vcc, exec, s[62:63]
	s_cbranch_execz .LBB6_22721
; %bb.22720:                            ;   in Loop: Header=BB6_20708 Depth=3
	v_or_b32_sdwa v1, v3, s44 dst_sel:DWORD dst_unused:UNUSED_PAD src0_sel:BYTE_3 src1_sel:DWORD
	buffer_store_dword v1, off, s[0:3], s33 offset:212 ; 4-byte Folded Spill
                                        ; implicit-def: $vgpr3
.LBB6_22721:                            ;   in Loop: Header=BB6_20708 Depth=3
	s_andn2_saveexec_b64 s[30:31], vcc
	s_cbranch_execz .LBB6_22723
; %bb.22722:                            ;   in Loop: Header=BB6_20708 Depth=3
	v_cmp_lt_i32_e32 vcc, -1, v3
	v_bfrev_b32_e32 v1, 0.5
	v_mov_b32_e32 v2, 0x7c
	v_cndmask_b32_e32 v1, v1, v2, vcc
	buffer_store_dword v1, off, s[0:3], s33 offset:212 ; 4-byte Folded Spill
.LBB6_22723:                            ;   in Loop: Header=BB6_20708 Depth=3
	s_or_b64 exec, exec, s[30:31]
.LBB6_22724:                            ;   in Loop: Header=BB6_20708 Depth=3
	s_or_b64 exec, exec, s[28:29]
	v_and_b32_sdwa v29, v0, s96 dst_sel:DWORD dst_unused:UNUSED_PAD src0_sel:WORD_1 src1_sel:DWORD
	v_lshrrev_b32_e32 v1, 16, v0
	v_cmp_ne_u16_e32 vcc, 0, v29
	v_mov_b32_e32 v2, 0
	v_mov_b32_e32 v3, 0
	s_and_saveexec_b64 s[28:29], vcc
	s_cbranch_execz .LBB6_22732
; %bb.22725:                            ;   in Loop: Header=BB6_20708 Depth=3
	v_cmp_ne_u16_e32 vcc, s97, v29
	v_bfrev_b32_e32 v3, 1
	s_and_saveexec_b64 s[30:31], vcc
	s_cbranch_execz .LBB6_22731
; %bb.22726:                            ;   in Loop: Header=BB6_20708 Depth=3
	v_and_b32_e32 v3, 0x7c0000, v0
	v_bfe_u32 v29, v0, 16, 2
	v_cmp_ne_u32_e32 vcc, s45, v3
                                        ; implicit-def: $vgpr3
	s_and_saveexec_b64 s[62:63], vcc
	s_xor_b64 s[34:35], exec, s[62:63]
	s_cbranch_execz .LBB6_22728
; %bb.22727:                            ;   in Loop: Header=BB6_20708 Depth=3
	v_ffbh_u32_e32 v36, v29
	v_min_u32_e32 v36, 32, v36
	v_subrev_u32_e32 v39, 29, v36
	v_lshlrev_b64 v[54:55], v39, v[1:2]
	v_bfe_u32 v3, v0, 18, 5
	v_sub_u32_e32 v1, 30, v36
	v_and_b32_e32 v36, 3, v54
	v_cmp_eq_u32_e32 vcc, 0, v3
	v_cndmask_b32_e32 v1, v3, v1, vcc
	v_cndmask_b32_e32 v3, v29, v36, vcc
	v_lshlrev_b32_e32 v29, 8, v0
	v_and_b32_e32 v29, 0x80000000, v29
	v_lshl_add_u32 v1, v1, 23, v29
	v_lshl_or_b32 v1, v3, 21, v1
	v_add_u32_e32 v3, 0x38000000, v1
                                        ; implicit-def: $vgpr29
                                        ; implicit-def: $vgpr1
.LBB6_22728:                            ;   in Loop: Header=BB6_20708 Depth=3
	s_andn2_saveexec_b64 s[34:35], s[34:35]
; %bb.22729:                            ;   in Loop: Header=BB6_20708 Depth=3
	v_mov_b32_e32 v3, -1
	v_cmp_gt_i16_sdwa vcc, sext(v1), v3 src0_sel:BYTE_0 src1_sel:DWORD
	v_mov_b32_e32 v1, 0xff800000
	v_mov_b32_e32 v3, 0x7f800000
	v_cndmask_b32_e32 v1, v1, v3, vcc
	v_cmp_eq_u32_e32 vcc, 0, v29
	v_mov_b32_e32 v3, 0x7f800001
	v_cndmask_b32_e32 v3, v3, v1, vcc
; %bb.22730:                            ;   in Loop: Header=BB6_20708 Depth=3
	s_or_b64 exec, exec, s[34:35]
.LBB6_22731:                            ;   in Loop: Header=BB6_20708 Depth=3
	s_or_b64 exec, exec, s[30:31]
.LBB6_22732:                            ;   in Loop: Header=BB6_20708 Depth=3
	s_or_b64 exec, exec, s[28:29]
	v_lshrrev_b32_e32 v1, 16, v21
	v_cmp_ne_u16_sdwa s[62:63], v1, v33 src0_sel:BYTE_0 src1_sel:DWORD
	s_and_saveexec_b64 s[28:29], s[62:63]
	s_cbranch_execz .LBB6_22740
; %bb.22733:                            ;   in Loop: Header=BB6_20708 Depth=3
	v_cmp_ne_u16_sdwa s[62:63], v1, s97 src0_sel:BYTE_0 src1_sel:DWORD
	v_bfrev_b32_e32 v2, 1
	s_and_saveexec_b64 s[30:31], s[62:63]
	s_cbranch_execz .LBB6_22739
; %bb.22734:                            ;   in Loop: Header=BB6_20708 Depth=3
	v_and_b32_e32 v2, 0x7c0000, v21
	v_bfe_u32 v29, v21, 16, 2
	v_cmp_ne_u32_e32 vcc, s45, v2
                                        ; implicit-def: $vgpr2
	s_and_saveexec_b64 s[62:63], vcc
	s_xor_b64 s[34:35], exec, s[62:63]
	s_cbranch_execz .LBB6_22736
; %bb.22735:                            ;   in Loop: Header=BB6_20708 Depth=3
	v_ffbh_u32_e32 v2, v29
	v_min_u32_e32 v39, 32, v2
	v_subrev_u32_e32 v2, 29, v39
	v_lshlrev_b64 v[1:2], v2, v[1:2]
	v_bfe_u32 v36, v21, 18, 5
	v_and_b32_e32 v1, 3, v1
	v_cmp_eq_u32_e32 vcc, 0, v36
	v_sub_u32_e32 v2, 30, v39
	v_cndmask_b32_e32 v1, v29, v1, vcc
	v_lshlrev_b32_e32 v29, 8, v21
	v_cndmask_b32_e32 v2, v36, v2, vcc
	v_and_b32_e32 v29, 0x80000000, v29
	v_lshl_add_u32 v2, v2, 23, v29
	v_lshl_or_b32 v1, v1, 21, v2
	v_add_u32_e32 v2, 0x38000000, v1
                                        ; implicit-def: $vgpr29
                                        ; implicit-def: $vgpr1
.LBB6_22736:                            ;   in Loop: Header=BB6_20708 Depth=3
	s_andn2_saveexec_b64 s[34:35], s[34:35]
; %bb.22737:                            ;   in Loop: Header=BB6_20708 Depth=3
	v_mov_b32_e32 v2, -1
	v_cmp_gt_i16_sdwa vcc, sext(v1), v2 src0_sel:BYTE_0 src1_sel:DWORD
	v_mov_b32_e32 v1, 0xff800000
	v_mov_b32_e32 v2, 0x7f800000
	v_cndmask_b32_e32 v1, v1, v2, vcc
	v_cmp_eq_u32_e32 vcc, 0, v29
	v_mov_b32_e32 v2, 0x7f800001
	v_cndmask_b32_e32 v2, v2, v1, vcc
; %bb.22738:                            ;   in Loop: Header=BB6_20708 Depth=3
	s_or_b64 exec, exec, s[34:35]
.LBB6_22739:                            ;   in Loop: Header=BB6_20708 Depth=3
	s_or_b64 exec, exec, s[30:31]
.LBB6_22740:                            ;   in Loop: Header=BB6_20708 Depth=3
	s_or_b64 exec, exec, s[28:29]
	v_add_f32_e32 v3, v3, v2
	v_and_b32_e32 v54, 0x7f800000, v3
	v_mov_b32_e32 v55, v33
	v_cmp_ne_u64_e32 vcc, s[76:77], v[54:55]
	v_and_b32_e32 v1, 0x7fffff, v3
	v_mov_b32_e32 v2, v33
                                        ; implicit-def: $vgpr5
                                        ; kill: killed $vgpr5
	s_and_saveexec_b64 s[28:29], vcc
	s_xor_b64 s[30:31], exec, s[28:29]
	s_cbranch_execz .LBB6_22754
; %bb.22741:                            ;   in Loop: Header=BB6_20708 Depth=3
	v_and_b32_e32 v54, 0x7fffffff, v3
	v_mov_b32_e32 v55, v33
	v_cmp_gt_u64_e32 vcc, s[78:79], v[54:55]
	v_and_b32_sdwa v29, v3, s97 dst_sel:DWORD dst_unused:UNUSED_PAD src0_sel:BYTE_3 src1_sel:DWORD
                                        ; implicit-def: $vgpr5
                                        ; kill: killed $vgpr5
	s_and_saveexec_b64 s[28:29], vcc
	s_xor_b64 s[34:35], exec, s[28:29]
	s_cbranch_execz .LBB6_22751
; %bb.22742:                            ;   in Loop: Header=BB6_20708 Depth=3
	v_mov_b32_e32 v5, 0
	v_cmp_ne_u32_e32 vcc, 0, v3
	buffer_store_dword v5, off, s[0:3], s33 offset:236 ; 4-byte Folded Spill
	s_and_saveexec_b64 s[36:37], vcc
	s_cbranch_execz .LBB6_22750
; %bb.22743:                            ;   in Loop: Header=BB6_20708 Depth=3
	v_bfe_u32 v36, v3, 23, 8
	v_cmp_gt_u32_e64 s[28:29], s47, v36
	v_sub_u32_e32 v3, 0x71, v36
	v_cmp_eq_u32_e32 vcc, 0, v36
	v_cndmask_b32_e64 v3, 0, v3, s[28:29]
	v_mov_b32_e32 v39, 0x70
	v_cndmask_b32_e32 v39, v3, v39, vcc
	v_add_u32_e32 v3, 21, v39
	v_or_b32_e32 v49, 0x800000, v1
	v_lshlrev_b64 v[54:55], v3, -1
	v_cndmask_b32_e32 v1, v49, v1, vcc
	v_add_u32_e32 v3, 20, v39
	v_mov_b32_e32 v5, v44
	v_bfi_b32 v54, v54, 0, v1
	v_lshlrev_b64 v[43:44], v3, 1
	v_lshrrev_b64 v[1:2], v39, v[1:2]
	v_bfi_b32 v55, v55, 0, 0
	v_cmp_eq_u64_e64 s[28:29], v[54:55], v[43:44]
	v_mov_b32_e32 v3, v2
	v_mov_b32_e32 v2, v1
	s_and_saveexec_b64 s[38:39], s[28:29]
; %bb.22744:                            ;   in Loop: Header=BB6_20708 Depth=3
	v_bfe_u32 v2, v1, 21, 1
	v_add_co_u32_e64 v2, s[28:29], v1, v2
	v_add_co_u32_e64 v2, s[28:29], -1, v2
; %bb.22745:                            ;   in Loop: Header=BB6_20708 Depth=3
	s_or_b64 exec, exec, s[38:39]
	v_add_u32_e32 v3, 0xffffff81, v36
	v_mov_b32_e32 v36, 0xffffff82
	v_cndmask_b32_e32 v3, v3, v36, vcc
	v_lshrrev_b32_e32 v36, 23, v1
	v_add3_u32 v39, v39, v3, v36
	v_add_u32_e32 v36, 14, v39
	v_and_b32_e32 v2, 0x1fffff, v2
	v_add_u32_e32 v1, v2, v1
	v_mov_b32_e32 v2, v33
	v_cmp_ne_u32_e32 vcc, 0, v36
                                        ; implicit-def: $vgpr3
	s_and_saveexec_b64 s[28:29], vcc
	s_xor_b64 s[28:29], exec, s[28:29]
; %bb.22746:                            ;   in Loop: Header=BB6_20708 Depth=3
	v_cmp_lt_u64_e32 vcc, s[88:89], v[1:2]
	v_add_u32_e32 v3, 15, v39
	v_cndmask_b32_e32 v3, v36, v3, vcc
	v_cndmask_b32_e64 v36, 0, 1, vcc
	v_lshrrev_b64 v[1:2], v36, v[1:2]
; %bb.22747:                            ;   in Loop: Header=BB6_20708 Depth=3
	s_or_saveexec_b64 s[28:29], s[28:29]
	v_mov_b32_e32 v44, v5
	s_xor_b64 exec, exec, s[28:29]
; %bb.22748:                            ;   in Loop: Header=BB6_20708 Depth=3
	v_bfe_u32 v3, v1, 23, 1
; %bb.22749:                            ;   in Loop: Header=BB6_20708 Depth=3
	s_or_b64 exec, exec, s[28:29]
	v_lshrrev_b64 v[1:2], 21, v[1:2]
	v_cmp_gt_i32_e32 vcc, 32, v3
	v_cndmask_b32_e32 v2, 0, v2, vcc
	v_cndmask_b32_e32 v1, 3, v1, vcc
	v_cmp_eq_u64_e64 s[28:29], 0, v[1:2]
	v_min_i32_e32 v2, 31, v3
	v_lshlrev_b32_e32 v2, 2, v2
	v_cmp_eq_u32_e32 vcc, 0, v3
	v_and_b32_e32 v2, 0xfc, v2
	v_and_or_b32 v1, v1, 3, v2
	s_and_b64 s[28:29], vcc, s[28:29]
	v_cndmask_b32_e64 v1, v1, 0, s[28:29]
	v_or_b32_e32 v1, v1, v29
	buffer_store_dword v1, off, s[0:3], s33 offset:236 ; 4-byte Folded Spill
.LBB6_22750:                            ;   in Loop: Header=BB6_20708 Depth=3
	s_or_b64 exec, exec, s[36:37]
                                        ; implicit-def: $vgpr29
.LBB6_22751:                            ;   in Loop: Header=BB6_20708 Depth=3
	s_andn2_saveexec_b64 s[28:29], s[34:35]
	s_cbranch_execz .LBB6_22753
; %bb.22752:                            ;   in Loop: Header=BB6_20708 Depth=3
	v_or_b32_e32 v1, 0x7b, v29
	buffer_store_dword v1, off, s[0:3], s33 offset:236 ; 4-byte Folded Spill
.LBB6_22753:                            ;   in Loop: Header=BB6_20708 Depth=3
	s_or_b64 exec, exec, s[28:29]
                                        ; implicit-def: $vgpr3
                                        ; implicit-def: $vgpr1_vgpr2
.LBB6_22754:                            ;   in Loop: Header=BB6_20708 Depth=3
	s_andn2_saveexec_b64 s[28:29], s[30:31]
	s_cbranch_execz .LBB6_22760
; %bb.22755:                            ;   in Loop: Header=BB6_20708 Depth=3
	v_cmp_ne_u64_e32 vcc, 0, v[1:2]
                                        ; implicit-def: $vgpr1
                                        ; kill: killed $vgpr1
	s_and_saveexec_b64 s[62:63], vcc
	s_xor_b64 vcc, exec, s[62:63]
	s_cbranch_execz .LBB6_22757
; %bb.22756:                            ;   in Loop: Header=BB6_20708 Depth=3
	v_or_b32_sdwa v1, v3, s44 dst_sel:DWORD dst_unused:UNUSED_PAD src0_sel:BYTE_3 src1_sel:DWORD
	buffer_store_dword v1, off, s[0:3], s33 offset:236 ; 4-byte Folded Spill
                                        ; implicit-def: $vgpr3
.LBB6_22757:                            ;   in Loop: Header=BB6_20708 Depth=3
	s_andn2_saveexec_b64 s[30:31], vcc
	s_cbranch_execz .LBB6_22759
; %bb.22758:                            ;   in Loop: Header=BB6_20708 Depth=3
	v_cmp_lt_i32_e32 vcc, -1, v3
	v_bfrev_b32_e32 v1, 0.5
	v_mov_b32_e32 v2, 0x7c
	v_cndmask_b32_e32 v1, v1, v2, vcc
	buffer_store_dword v1, off, s[0:3], s33 offset:236 ; 4-byte Folded Spill
.LBB6_22759:                            ;   in Loop: Header=BB6_20708 Depth=3
	s_or_b64 exec, exec, s[30:31]
.LBB6_22760:                            ;   in Loop: Header=BB6_20708 Depth=3
	s_or_b64 exec, exec, s[28:29]
	v_cmp_lt_u32_e32 vcc, s57, v0
	v_mov_b32_e32 v2, 0
	v_mov_b32_e32 v3, 0
	s_and_saveexec_b64 s[28:29], vcc
	s_cbranch_execz .LBB6_22768
; %bb.22761:                            ;   in Loop: Header=BB6_20708 Depth=3
	v_lshrrev_b32_e32 v1, 24, v0
	v_cmp_ne_u32_e32 vcc, s97, v1
	v_bfrev_b32_e32 v3, 1
	s_and_saveexec_b64 s[30:31], vcc
	s_cbranch_execz .LBB6_22767
; %bb.22762:                            ;   in Loop: Header=BB6_20708 Depth=3
	v_and_b32_e32 v3, 0x7c000000, v0
	v_bfe_u32 v29, v0, 24, 2
	v_cmp_ne_u32_e32 vcc, s68, v3
                                        ; implicit-def: $vgpr3
	s_and_saveexec_b64 s[62:63], vcc
	s_xor_b64 s[34:35], exec, s[62:63]
	s_cbranch_execz .LBB6_22764
; %bb.22763:                            ;   in Loop: Header=BB6_20708 Depth=3
	v_ffbh_u32_e32 v36, v29
	v_min_u32_e32 v36, 32, v36
	v_subrev_u32_e32 v39, 29, v36
	v_bfe_u32 v3, v0, 26, 5
	v_lshlrev_b64 v[54:55], v39, v[1:2]
	v_sub_u32_e32 v1, 30, v36
	v_cmp_eq_u32_e32 vcc, 0, v3
	v_and_b32_e32 v36, 3, v54
	v_cndmask_b32_e32 v1, v3, v1, vcc
	v_and_b32_e32 v0, 0x80000000, v0
	v_cndmask_b32_e32 v3, v29, v36, vcc
	v_lshl_add_u32 v0, v1, 23, v0
	v_lshl_or_b32 v0, v3, 21, v0
	v_add_u32_e32 v3, 0x38000000, v0
                                        ; implicit-def: $vgpr29
                                        ; implicit-def: $vgpr0_vgpr1
.LBB6_22764:                            ;   in Loop: Header=BB6_20708 Depth=3
	s_andn2_saveexec_b64 s[34:35], s[34:35]
; %bb.22765:                            ;   in Loop: Header=BB6_20708 Depth=3
	v_cmp_lt_i32_e32 vcc, -1, v0
	v_mov_b32_e32 v0, 0xff800000
	v_mov_b32_e32 v1, 0x7f800000
	v_cndmask_b32_e32 v0, v0, v1, vcc
	v_cmp_eq_u32_e32 vcc, 0, v29
	v_mov_b32_e32 v1, 0x7f800001
	v_cndmask_b32_e32 v3, v1, v0, vcc
; %bb.22766:                            ;   in Loop: Header=BB6_20708 Depth=3
	s_or_b64 exec, exec, s[34:35]
.LBB6_22767:                            ;   in Loop: Header=BB6_20708 Depth=3
	s_or_b64 exec, exec, s[30:31]
.LBB6_22768:                            ;   in Loop: Header=BB6_20708 Depth=3
	s_or_b64 exec, exec, s[28:29]
	v_cmp_lt_u64_e32 vcc, s[56:57], v[20:21]
	s_and_saveexec_b64 s[28:29], vcc
	s_cbranch_execz .LBB6_22776
; %bb.22769:                            ;   in Loop: Header=BB6_20708 Depth=3
	v_lshrrev_b32_e32 v0, 24, v21
	v_cmp_ne_u32_e32 vcc, s97, v0
	v_bfrev_b32_e32 v2, 1
	s_and_saveexec_b64 s[30:31], vcc
	s_cbranch_execz .LBB6_22775
; %bb.22770:                            ;   in Loop: Header=BB6_20708 Depth=3
	v_and_b32_e32 v2, 0x7c000000, v21
	v_bfe_u32 v1, v21, 24, 2
	v_cmp_ne_u32_e32 vcc, s68, v2
                                        ; implicit-def: $vgpr2
	s_and_saveexec_b64 s[62:63], vcc
	s_xor_b64 s[34:35], exec, s[62:63]
	s_cbranch_execz .LBB6_22772
; %bb.22771:                            ;   in Loop: Header=BB6_20708 Depth=3
	v_ffbh_u32_e32 v29, v1
	v_min_u32_e32 v29, 32, v29
	v_subrev_u32_e32 v36, 29, v29
	v_bfe_u32 v2, v21, 26, 5
	v_lshlrev_b64 v[54:55], v36, v[0:1]
	v_sub_u32_e32 v0, 30, v29
	v_cmp_eq_u32_e32 vcc, 0, v2
	v_and_b32_e32 v29, 3, v54
	v_cndmask_b32_e32 v0, v2, v0, vcc
	v_and_b32_e32 v2, 0x80000000, v21
	v_cndmask_b32_e32 v1, v1, v29, vcc
	v_lshl_add_u32 v0, v0, 23, v2
	v_lshl_or_b32 v0, v1, 21, v0
	v_add_u32_e32 v2, 0x38000000, v0
                                        ; implicit-def: $vgpr1
.LBB6_22772:                            ;   in Loop: Header=BB6_20708 Depth=3
	s_andn2_saveexec_b64 s[34:35], s[34:35]
; %bb.22773:                            ;   in Loop: Header=BB6_20708 Depth=3
	v_cmp_lt_i64_e32 vcc, -1, v[20:21]
	v_mov_b32_e32 v0, 0xff800000
	v_mov_b32_e32 v2, 0x7f800000
	v_cndmask_b32_e32 v0, v0, v2, vcc
	v_cmp_eq_u32_e32 vcc, 0, v1
	v_mov_b32_e32 v1, 0x7f800001
	v_cndmask_b32_e32 v2, v1, v0, vcc
; %bb.22774:                            ;   in Loop: Header=BB6_20708 Depth=3
	s_or_b64 exec, exec, s[34:35]
.LBB6_22775:                            ;   in Loop: Header=BB6_20708 Depth=3
	s_or_b64 exec, exec, s[30:31]
.LBB6_22776:                            ;   in Loop: Header=BB6_20708 Depth=3
	s_or_b64 exec, exec, s[28:29]
	v_add_f32_e32 v2, v3, v2
	v_and_b32_e32 v20, 0x7f800000, v2
	v_mov_b32_e32 v21, v33
	v_cmp_ne_u64_e32 vcc, s[76:77], v[20:21]
	v_and_b32_e32 v0, 0x7fffff, v2
	v_mov_b32_e32 v1, v33
                                        ; implicit-def: $vgpr3
                                        ; kill: killed $vgpr3
	s_and_saveexec_b64 s[28:29], vcc
	s_xor_b64 s[30:31], exec, s[28:29]
	s_cbranch_execz .LBB6_22790
; %bb.22777:                            ;   in Loop: Header=BB6_20708 Depth=3
	v_and_b32_e32 v20, 0x7fffffff, v2
	v_mov_b32_e32 v21, v33
	v_cmp_gt_u64_e32 vcc, s[78:79], v[20:21]
	v_and_b32_sdwa v3, v2, s97 dst_sel:DWORD dst_unused:UNUSED_PAD src0_sel:BYTE_3 src1_sel:DWORD
                                        ; implicit-def: $vgpr5
                                        ; kill: killed $vgpr5
	s_and_saveexec_b64 s[28:29], vcc
	s_xor_b64 s[34:35], exec, s[28:29]
	s_cbranch_execz .LBB6_22787
; %bb.22778:                            ;   in Loop: Header=BB6_20708 Depth=3
	v_mov_b32_e32 v5, 0
	v_cmp_ne_u32_e32 vcc, 0, v2
	buffer_store_dword v5, off, s[0:3], s33 offset:288 ; 4-byte Folded Spill
	s_and_saveexec_b64 s[36:37], vcc
	s_cbranch_execz .LBB6_22786
; %bb.22779:                            ;   in Loop: Header=BB6_20708 Depth=3
	v_bfe_u32 v20, v2, 23, 8
	v_cmp_gt_u32_e64 s[28:29], s47, v20
	v_sub_u32_e32 v2, 0x71, v20
	v_cmp_eq_u32_e32 vcc, 0, v20
	v_cndmask_b32_e64 v2, 0, v2, s[28:29]
	v_mov_b32_e32 v21, 0x70
	v_cndmask_b32_e32 v21, v2, v21, vcc
	v_add_u32_e32 v2, 21, v21
	v_or_b32_e32 v29, 0x800000, v0
	v_lshlrev_b64 v[54:55], v2, -1
	v_cndmask_b32_e32 v0, v29, v0, vcc
	v_add_u32_e32 v2, 20, v21
	v_bfi_b32 v54, v54, 0, v0
	v_lshlrev_b64 v[39:40], v2, 1
	v_lshrrev_b64 v[0:1], v21, v[0:1]
	v_bfi_b32 v55, v55, 0, 0
	v_cmp_eq_u64_e64 s[28:29], v[54:55], v[39:40]
	v_mov_b32_e32 v2, v1
	v_mov_b32_e32 v1, v0
	s_and_saveexec_b64 s[38:39], s[28:29]
; %bb.22780:                            ;   in Loop: Header=BB6_20708 Depth=3
	v_bfe_u32 v1, v0, 21, 1
	v_add_co_u32_e64 v1, s[28:29], v0, v1
	v_add_co_u32_e64 v1, s[28:29], -1, v1
; %bb.22781:                            ;   in Loop: Header=BB6_20708 Depth=3
	s_or_b64 exec, exec, s[38:39]
	v_add_u32_e32 v2, 0xffffff81, v20
	v_mov_b32_e32 v20, 0xffffff82
	v_cndmask_b32_e32 v2, v2, v20, vcc
	v_lshrrev_b32_e32 v20, 23, v0
	v_add3_u32 v21, v21, v2, v20
	v_add_u32_e32 v20, 14, v21
	v_and_b32_e32 v1, 0x1fffff, v1
	v_add_u32_e32 v0, v1, v0
	v_mov_b32_e32 v1, v33
	v_cmp_ne_u32_e32 vcc, 0, v20
                                        ; implicit-def: $vgpr2
	s_and_saveexec_b64 s[28:29], vcc
	s_xor_b64 s[28:29], exec, s[28:29]
; %bb.22782:                            ;   in Loop: Header=BB6_20708 Depth=3
	v_cmp_lt_u64_e32 vcc, s[88:89], v[0:1]
	v_add_u32_e32 v2, 15, v21
	v_cndmask_b32_e32 v2, v20, v2, vcc
	v_cndmask_b32_e64 v20, 0, 1, vcc
	v_lshrrev_b64 v[0:1], v20, v[0:1]
; %bb.22783:                            ;   in Loop: Header=BB6_20708 Depth=3
	s_andn2_saveexec_b64 s[28:29], s[28:29]
; %bb.22784:                            ;   in Loop: Header=BB6_20708 Depth=3
	v_bfe_u32 v2, v0, 23, 1
; %bb.22785:                            ;   in Loop: Header=BB6_20708 Depth=3
	s_or_b64 exec, exec, s[28:29]
	v_lshrrev_b64 v[0:1], 21, v[0:1]
	v_cmp_gt_i32_e32 vcc, 32, v2
	v_cndmask_b32_e32 v1, 0, v1, vcc
	v_cndmask_b32_e32 v0, 3, v0, vcc
	v_cmp_eq_u64_e64 s[28:29], 0, v[0:1]
	v_min_i32_e32 v1, 31, v2
	v_lshlrev_b32_e32 v1, 2, v1
	v_cmp_eq_u32_e32 vcc, 0, v2
	v_and_b32_e32 v1, 0xfc, v1
	v_and_or_b32 v0, v0, 3, v1
	s_and_b64 s[28:29], vcc, s[28:29]
	v_cndmask_b32_e64 v0, v0, 0, s[28:29]
	v_or_b32_e32 v0, v0, v3
	buffer_store_dword v0, off, s[0:3], s33 offset:288 ; 4-byte Folded Spill
.LBB6_22786:                            ;   in Loop: Header=BB6_20708 Depth=3
	s_or_b64 exec, exec, s[36:37]
                                        ; implicit-def: $vgpr3
.LBB6_22787:                            ;   in Loop: Header=BB6_20708 Depth=3
	s_andn2_saveexec_b64 s[28:29], s[34:35]
	s_cbranch_execz .LBB6_22789
; %bb.22788:                            ;   in Loop: Header=BB6_20708 Depth=3
	v_or_b32_e32 v0, 0x7b, v3
	buffer_store_dword v0, off, s[0:3], s33 offset:288 ; 4-byte Folded Spill
.LBB6_22789:                            ;   in Loop: Header=BB6_20708 Depth=3
	s_or_b64 exec, exec, s[28:29]
                                        ; implicit-def: $vgpr2
                                        ; implicit-def: $vgpr0_vgpr1
.LBB6_22790:                            ;   in Loop: Header=BB6_20708 Depth=3
	s_andn2_saveexec_b64 s[28:29], s[30:31]
	s_cbranch_execz .LBB6_22796
; %bb.22791:                            ;   in Loop: Header=BB6_20708 Depth=3
	v_cmp_ne_u64_e32 vcc, 0, v[0:1]
                                        ; implicit-def: $vgpr0
                                        ; kill: killed $vgpr0
	s_and_saveexec_b64 s[62:63], vcc
	s_xor_b64 vcc, exec, s[62:63]
	s_cbranch_execz .LBB6_22793
; %bb.22792:                            ;   in Loop: Header=BB6_20708 Depth=3
	v_or_b32_sdwa v0, v2, s44 dst_sel:DWORD dst_unused:UNUSED_PAD src0_sel:BYTE_3 src1_sel:DWORD
	buffer_store_dword v0, off, s[0:3], s33 offset:288 ; 4-byte Folded Spill
                                        ; implicit-def: $vgpr2
.LBB6_22793:                            ;   in Loop: Header=BB6_20708 Depth=3
	s_andn2_saveexec_b64 s[30:31], vcc
	s_cbranch_execz .LBB6_22795
; %bb.22794:                            ;   in Loop: Header=BB6_20708 Depth=3
	v_cmp_lt_i32_e32 vcc, -1, v2
	v_bfrev_b32_e32 v0, 0.5
	v_mov_b32_e32 v1, 0x7c
	v_cndmask_b32_e32 v0, v0, v1, vcc
	buffer_store_dword v0, off, s[0:3], s33 offset:288 ; 4-byte Folded Spill
.LBB6_22795:                            ;   in Loop: Header=BB6_20708 Depth=3
	s_or_b64 exec, exec, s[30:31]
.LBB6_22796:                            ;   in Loop: Header=BB6_20708 Depth=3
	s_or_b64 exec, exec, s[28:29]
	v_lshl_or_b32 v20, v46, 8, v50
	v_lshlrev_b32_e32 v0, 16, v34
	v_lshlrev_b32_e32 v1, 24, v38
	v_or3_b32 v0, v0, v1, v20
	v_mov_b32_e32 v1, v33
	v_cmp_ne_u32_e32 vcc, 0, v50
	v_mov_b32_e32 v2, 0
	v_mov_b32_e32 v3, 0
	s_and_saveexec_b64 s[30:31], vcc
	s_cbranch_execz .LBB6_22804
; %bb.22797:                            ;   in Loop: Header=BB6_20708 Depth=3
	v_cmp_ne_u32_e32 vcc, s97, v50
	v_bfrev_b32_e32 v3, 1
	s_and_saveexec_b64 s[34:35], vcc
	s_cbranch_execz .LBB6_22803
; %bb.22798:                            ;   in Loop: Header=BB6_20708 Depth=3
	v_and_b32_e32 v3, 0x7c, v50
	v_and_b32_e32 v21, 3, v50
	v_cmp_ne_u32_e32 vcc, s86, v3
                                        ; implicit-def: $vgpr3
	s_and_saveexec_b64 s[28:29], vcc
	s_xor_b64 s[28:29], exec, s[28:29]
	s_cbranch_execz .LBB6_22800
; %bb.22799:                            ;   in Loop: Header=BB6_20708 Depth=3
	v_ffbh_u32_e32 v29, v21
	v_min_u32_e32 v29, 32, v29
	v_subrev_u32_e32 v34, 29, v29
	v_lshlrev_b64 v[38:39], v34, v[0:1]
	v_bfe_u32 v3, v50, 2, 5
	v_sub_u32_e32 v1, 30, v29
	v_and_b32_e32 v29, 3, v38
	v_cmp_eq_u32_e32 vcc, 0, v3
	v_cndmask_b32_e32 v1, v3, v1, vcc
	v_cndmask_b32_e32 v3, v21, v29, vcc
	v_lshlrev_b32_e32 v21, 24, v50
	v_and_b32_e32 v21, 0x80000000, v21
	v_lshl_add_u32 v1, v1, 23, v21
	v_lshl_or_b32 v1, v3, 21, v1
	v_add_u32_e32 v3, 0x38000000, v1
                                        ; implicit-def: $vgpr21
                                        ; implicit-def: $vgpr50
.LBB6_22800:                            ;   in Loop: Header=BB6_20708 Depth=3
	s_andn2_saveexec_b64 s[36:37], s[28:29]
; %bb.22801:                            ;   in Loop: Header=BB6_20708 Depth=3
	v_and_b32_e32 v1, 0x80, v50
	v_cmp_eq_u32_e64 s[28:29], 0, v1
	v_mov_b32_e32 v1, 0xff800000
	v_mov_b32_e32 v3, 0x7f800000
	v_cmp_eq_u32_e32 vcc, 0, v21
	v_cndmask_b32_e64 v1, v1, v3, s[28:29]
	v_mov_b32_e32 v3, 0x7f800001
	v_cndmask_b32_e32 v3, v3, v1, vcc
; %bb.22802:                            ;   in Loop: Header=BB6_20708 Depth=3
	s_or_b64 exec, exec, s[36:37]
.LBB6_22803:                            ;   in Loop: Header=BB6_20708 Depth=3
	s_or_b64 exec, exec, s[34:35]
.LBB6_22804:                            ;   in Loop: Header=BB6_20708 Depth=3
	s_or_b64 exec, exec, s[30:31]
	v_cmp_ne_u16_sdwa s[62:63], v22, v33 src0_sel:BYTE_0 src1_sel:DWORD
	s_and_saveexec_b64 s[28:29], s[62:63]
	s_cbranch_execz .LBB6_22812
; %bb.22805:                            ;   in Loop: Header=BB6_20708 Depth=3
	v_cmp_ne_u16_sdwa s[62:63], sext(v22), s46 src0_sel:BYTE_0 src1_sel:DWORD
	v_bfrev_b32_e32 v2, 1
	s_and_saveexec_b64 s[30:31], s[62:63]
	s_cbranch_execz .LBB6_22811
; %bb.22806:                            ;   in Loop: Header=BB6_20708 Depth=3
	v_and_b32_e32 v2, 0x7c, v22
	v_and_b32_e32 v1, 3, v22
	v_cmp_ne_u32_e32 vcc, s86, v2
                                        ; implicit-def: $vgpr2
	s_and_saveexec_b64 s[62:63], vcc
	s_xor_b64 s[34:35], exec, s[62:63]
	s_cbranch_execz .LBB6_22808
; %bb.22807:                            ;   in Loop: Header=BB6_20708 Depth=3
	v_ffbh_u32_e32 v21, v1
	v_min_u32_e32 v21, 32, v21
	v_bfe_u32 v2, v22, 2, 5
	v_subrev_u32_e32 v29, 29, v21
	v_lshlrev_b64 v[38:39], v29, v[22:23]
	v_sub_u32_e32 v21, 30, v21
	v_cmp_eq_u32_e32 vcc, 0, v2
	v_cndmask_b32_e32 v2, v2, v21, vcc
	v_lshlrev_b32_e32 v21, 24, v22
	v_and_b32_e32 v29, 3, v38
	v_and_b32_e32 v21, 0x80000000, v21
	v_cndmask_b32_e32 v1, v1, v29, vcc
	v_lshl_add_u32 v2, v2, 23, v21
	v_lshl_or_b32 v1, v1, 21, v2
	v_add_u32_e32 v2, 0x38000000, v1
                                        ; implicit-def: $vgpr1
.LBB6_22808:                            ;   in Loop: Header=BB6_20708 Depth=3
	s_andn2_saveexec_b64 s[34:35], s[34:35]
; %bb.22809:                            ;   in Loop: Header=BB6_20708 Depth=3
	v_mov_b32_e32 v2, -1
	v_cmp_gt_i16_sdwa vcc, sext(v22), v2 src0_sel:BYTE_0 src1_sel:DWORD
	v_mov_b32_e32 v2, 0xff800000
	v_mov_b32_e32 v21, 0x7f800000
	v_cndmask_b32_e32 v2, v2, v21, vcc
	v_cmp_eq_u32_e32 vcc, 0, v1
	v_mov_b32_e32 v1, 0x7f800001
	v_cndmask_b32_e32 v2, v1, v2, vcc
; %bb.22810:                            ;   in Loop: Header=BB6_20708 Depth=3
	s_or_b64 exec, exec, s[34:35]
.LBB6_22811:                            ;   in Loop: Header=BB6_20708 Depth=3
	s_or_b64 exec, exec, s[30:31]
.LBB6_22812:                            ;   in Loop: Header=BB6_20708 Depth=3
	s_or_b64 exec, exec, s[28:29]
	v_add_f32_e32 v3, v3, v2
	v_and_b32_e32 v38, 0x7f800000, v3
	v_mov_b32_e32 v39, v33
	v_cmp_ne_u64_e32 vcc, s[76:77], v[38:39]
	v_and_b32_e32 v1, 0x7fffff, v3
	v_mov_b32_e32 v2, v33
                                        ; implicit-def: $vgpr5
                                        ; kill: killed $vgpr5
	s_and_saveexec_b64 s[28:29], vcc
	s_xor_b64 s[30:31], exec, s[28:29]
	s_cbranch_execz .LBB6_22826
; %bb.22813:                            ;   in Loop: Header=BB6_20708 Depth=3
	v_and_b32_e32 v38, 0x7fffffff, v3
	v_mov_b32_e32 v39, v33
	v_cmp_gt_u64_e32 vcc, s[78:79], v[38:39]
	v_and_b32_sdwa v21, v3, s97 dst_sel:DWORD dst_unused:UNUSED_PAD src0_sel:BYTE_3 src1_sel:DWORD
                                        ; implicit-def: $vgpr5
                                        ; kill: killed $vgpr5
	s_and_saveexec_b64 s[28:29], vcc
	s_xor_b64 s[34:35], exec, s[28:29]
	s_cbranch_execz .LBB6_22823
; %bb.22814:                            ;   in Loop: Header=BB6_20708 Depth=3
	v_mov_b32_e32 v5, 0
	v_cmp_ne_u32_e32 vcc, 0, v3
	buffer_store_dword v5, off, s[0:3], s33 offset:312 ; 4-byte Folded Spill
	s_and_saveexec_b64 s[36:37], vcc
	s_cbranch_execz .LBB6_22822
; %bb.22815:                            ;   in Loop: Header=BB6_20708 Depth=3
	v_bfe_u32 v29, v3, 23, 8
	v_cmp_gt_u32_e64 s[28:29], s47, v29
	v_sub_u32_e32 v3, 0x71, v29
	v_cmp_eq_u32_e32 vcc, 0, v29
	v_cndmask_b32_e64 v3, 0, v3, s[28:29]
	v_mov_b32_e32 v34, 0x70
	v_cndmask_b32_e32 v34, v3, v34, vcc
	v_add_u32_e32 v3, 21, v34
	v_or_b32_e32 v36, 0x800000, v1
	v_lshlrev_b64 v[38:39], v3, -1
	v_cndmask_b32_e32 v1, v36, v1, vcc
	v_add_u32_e32 v3, 20, v34
	v_bfi_b32 v38, v38, 0, v1
	v_lshlrev_b64 v[49:50], v3, 1
	v_lshrrev_b64 v[1:2], v34, v[1:2]
	v_bfi_b32 v39, v39, 0, 0
	v_cmp_eq_u64_e64 s[28:29], v[38:39], v[49:50]
	v_mov_b32_e32 v3, v2
	v_mov_b32_e32 v2, v1
	s_and_saveexec_b64 s[38:39], s[28:29]
; %bb.22816:                            ;   in Loop: Header=BB6_20708 Depth=3
	v_bfe_u32 v2, v1, 21, 1
	v_add_co_u32_e64 v2, s[28:29], v1, v2
	v_add_co_u32_e64 v2, s[28:29], -1, v2
; %bb.22817:                            ;   in Loop: Header=BB6_20708 Depth=3
	s_or_b64 exec, exec, s[38:39]
	v_add_u32_e32 v3, 0xffffff81, v29
	v_mov_b32_e32 v29, 0xffffff82
	v_cndmask_b32_e32 v3, v3, v29, vcc
	v_lshrrev_b32_e32 v29, 23, v1
	v_add3_u32 v34, v34, v3, v29
	v_add_u32_e32 v29, 14, v34
	v_and_b32_e32 v2, 0x1fffff, v2
	v_add_u32_e32 v1, v2, v1
	v_mov_b32_e32 v2, v33
	v_cmp_ne_u32_e32 vcc, 0, v29
                                        ; implicit-def: $vgpr3
	s_and_saveexec_b64 s[28:29], vcc
	s_xor_b64 s[28:29], exec, s[28:29]
; %bb.22818:                            ;   in Loop: Header=BB6_20708 Depth=3
	v_cmp_lt_u64_e32 vcc, s[88:89], v[1:2]
	v_add_u32_e32 v3, 15, v34
	v_cndmask_b32_e32 v3, v29, v3, vcc
	v_cndmask_b32_e64 v29, 0, 1, vcc
	v_lshrrev_b64 v[1:2], v29, v[1:2]
; %bb.22819:                            ;   in Loop: Header=BB6_20708 Depth=3
	s_andn2_saveexec_b64 s[28:29], s[28:29]
; %bb.22820:                            ;   in Loop: Header=BB6_20708 Depth=3
	v_bfe_u32 v3, v1, 23, 1
; %bb.22821:                            ;   in Loop: Header=BB6_20708 Depth=3
	s_or_b64 exec, exec, s[28:29]
	v_lshrrev_b64 v[1:2], 21, v[1:2]
	v_cmp_gt_i32_e32 vcc, 32, v3
	v_cndmask_b32_e32 v2, 0, v2, vcc
	v_cndmask_b32_e32 v1, 3, v1, vcc
	v_cmp_eq_u64_e64 s[28:29], 0, v[1:2]
	v_min_i32_e32 v2, 31, v3
	v_lshlrev_b32_e32 v2, 2, v2
	v_cmp_eq_u32_e32 vcc, 0, v3
	v_and_b32_e32 v2, 0xfc, v2
	v_and_or_b32 v1, v1, 3, v2
	s_and_b64 s[28:29], vcc, s[28:29]
	v_cndmask_b32_e64 v1, v1, 0, s[28:29]
	v_or_b32_e32 v1, v1, v21
	buffer_store_dword v1, off, s[0:3], s33 offset:312 ; 4-byte Folded Spill
.LBB6_22822:                            ;   in Loop: Header=BB6_20708 Depth=3
	s_or_b64 exec, exec, s[36:37]
                                        ; implicit-def: $vgpr21
.LBB6_22823:                            ;   in Loop: Header=BB6_20708 Depth=3
	s_andn2_saveexec_b64 s[28:29], s[34:35]
	s_cbranch_execz .LBB6_22825
; %bb.22824:                            ;   in Loop: Header=BB6_20708 Depth=3
	v_or_b32_e32 v1, 0x7b, v21
	buffer_store_dword v1, off, s[0:3], s33 offset:312 ; 4-byte Folded Spill
.LBB6_22825:                            ;   in Loop: Header=BB6_20708 Depth=3
	s_or_b64 exec, exec, s[28:29]
                                        ; implicit-def: $vgpr3
                                        ; implicit-def: $vgpr1_vgpr2
.LBB6_22826:                            ;   in Loop: Header=BB6_20708 Depth=3
	s_andn2_saveexec_b64 s[28:29], s[30:31]
	s_cbranch_execz .LBB6_22832
; %bb.22827:                            ;   in Loop: Header=BB6_20708 Depth=3
	v_cmp_ne_u64_e32 vcc, 0, v[1:2]
                                        ; implicit-def: $vgpr1
                                        ; kill: killed $vgpr1
	s_and_saveexec_b64 s[62:63], vcc
	s_xor_b64 vcc, exec, s[62:63]
	s_cbranch_execz .LBB6_22829
; %bb.22828:                            ;   in Loop: Header=BB6_20708 Depth=3
	v_or_b32_sdwa v1, v3, s44 dst_sel:DWORD dst_unused:UNUSED_PAD src0_sel:BYTE_3 src1_sel:DWORD
	buffer_store_dword v1, off, s[0:3], s33 offset:312 ; 4-byte Folded Spill
                                        ; implicit-def: $vgpr3
.LBB6_22829:                            ;   in Loop: Header=BB6_20708 Depth=3
	s_andn2_saveexec_b64 s[30:31], vcc
	s_cbranch_execz .LBB6_22831
; %bb.22830:                            ;   in Loop: Header=BB6_20708 Depth=3
	v_cmp_lt_i32_e32 vcc, -1, v3
	v_bfrev_b32_e32 v1, 0.5
	v_mov_b32_e32 v2, 0x7c
	v_cndmask_b32_e32 v1, v1, v2, vcc
	buffer_store_dword v1, off, s[0:3], s33 offset:312 ; 4-byte Folded Spill
.LBB6_22831:                            ;   in Loop: Header=BB6_20708 Depth=3
	s_or_b64 exec, exec, s[30:31]
.LBB6_22832:                            ;   in Loop: Header=BB6_20708 Depth=3
	s_or_b64 exec, exec, s[28:29]
	v_lshrrev_b16_e32 v1, 8, v20
	v_cmp_ne_u16_e32 vcc, 0, v1
	v_mov_b32_e32 v3, 0
	v_mov_b32_e32 v21, 0
	s_and_saveexec_b64 s[28:29], vcc
	s_cbranch_execz .LBB6_22840
; %bb.22833:                            ;   in Loop: Header=BB6_20708 Depth=3
	v_cmp_ne_u16_e32 vcc, s97, v1
	v_bfrev_b32_e32 v21, 1
	s_and_saveexec_b64 s[30:31], vcc
	s_cbranch_execz .LBB6_22839
; %bb.22834:                            ;   in Loop: Header=BB6_20708 Depth=3
	v_and_b32_e32 v2, 0x7c, v1
	v_and_b32_e32 v29, 3, v1
	v_cmp_ne_u32_e32 vcc, s86, v2
                                        ; implicit-def: $vgpr21
	s_and_saveexec_b64 s[62:63], vcc
	s_xor_b64 s[34:35], exec, s[62:63]
	s_cbranch_execz .LBB6_22836
; %bb.22835:                            ;   in Loop: Header=BB6_20708 Depth=3
	v_ffbh_u32_e32 v34, v29
	v_min_u32_e32 v34, 32, v34
	v_mov_b32_e32 v2, v33
	v_subrev_u32_e32 v36, 29, v34
	v_bfe_u32 v21, v1, 2, 5
	v_lshlrev_b64 v[1:2], v36, v[1:2]
	v_sub_u32_e32 v2, 30, v34
	v_cmp_eq_u32_e32 vcc, 0, v21
	v_lshlrev_b32_e32 v20, 16, v20
	v_and_b32_e32 v1, 3, v1
	v_cndmask_b32_e32 v2, v21, v2, vcc
	v_and_b32_e32 v20, 0x80000000, v20
	v_cndmask_b32_e32 v1, v29, v1, vcc
	v_lshl_add_u32 v2, v2, 23, v20
	v_lshl_or_b32 v1, v1, 21, v2
	v_add_u32_e32 v21, 0x38000000, v1
                                        ; implicit-def: $vgpr29
                                        ; implicit-def: $vgpr20
.LBB6_22836:                            ;   in Loop: Header=BB6_20708 Depth=3
	s_andn2_saveexec_b64 s[34:35], s[34:35]
; %bb.22837:                            ;   in Loop: Header=BB6_20708 Depth=3
	v_cmp_lt_i16_e32 vcc, -1, v20
	v_mov_b32_e32 v1, 0xff800000
	v_mov_b32_e32 v2, 0x7f800000
	v_cndmask_b32_e32 v1, v1, v2, vcc
	v_cmp_eq_u32_e32 vcc, 0, v29
	v_mov_b32_e32 v2, 0x7f800001
	v_cndmask_b32_e32 v21, v2, v1, vcc
; %bb.22838:                            ;   in Loop: Header=BB6_20708 Depth=3
	s_or_b64 exec, exec, s[34:35]
.LBB6_22839:                            ;   in Loop: Header=BB6_20708 Depth=3
	s_or_b64 exec, exec, s[30:31]
.LBB6_22840:                            ;   in Loop: Header=BB6_20708 Depth=3
	s_or_b64 exec, exec, s[28:29]
	v_lshrrev_b16_e32 v1, 8, v22
	v_cmp_ne_u16_e32 vcc, 0, v1
	s_and_saveexec_b64 s[28:29], vcc
	s_cbranch_execz .LBB6_22848
; %bb.22841:                            ;   in Loop: Header=BB6_20708 Depth=3
	v_cmp_ne_u16_e32 vcc, s97, v1
	v_bfrev_b32_e32 v3, 1
	s_and_saveexec_b64 s[30:31], vcc
	s_cbranch_execz .LBB6_22847
; %bb.22842:                            ;   in Loop: Header=BB6_20708 Depth=3
	v_and_b32_e32 v2, 0x7c, v1
	v_and_b32_e32 v20, 3, v1
	v_cmp_ne_u32_e32 vcc, s86, v2
                                        ; implicit-def: $vgpr3
	s_and_saveexec_b64 s[62:63], vcc
	s_xor_b64 s[34:35], exec, s[62:63]
	s_cbranch_execz .LBB6_22844
; %bb.22843:                            ;   in Loop: Header=BB6_20708 Depth=3
	v_ffbh_u32_e32 v29, v20
	v_min_u32_e32 v29, 32, v29
	v_mov_b32_e32 v2, v33
	v_subrev_u32_e32 v34, 29, v29
	v_bfe_u32 v3, v1, 2, 5
	v_lshlrev_b64 v[1:2], v34, v[1:2]
	v_sub_u32_e32 v2, 30, v29
	v_cmp_eq_u32_e32 vcc, 0, v3
	v_cndmask_b32_e32 v2, v3, v2, vcc
	v_lshlrev_b32_e32 v3, 16, v22
	v_and_b32_e32 v1, 3, v1
	v_and_b32_e32 v3, 0x80000000, v3
	v_cndmask_b32_e32 v1, v20, v1, vcc
	v_lshl_add_u32 v2, v2, 23, v3
	v_lshl_or_b32 v1, v1, 21, v2
	v_add_u32_e32 v3, 0x38000000, v1
                                        ; implicit-def: $vgpr20
.LBB6_22844:                            ;   in Loop: Header=BB6_20708 Depth=3
	s_andn2_saveexec_b64 s[34:35], s[34:35]
; %bb.22845:                            ;   in Loop: Header=BB6_20708 Depth=3
	v_cmp_lt_i16_e32 vcc, -1, v22
	v_mov_b32_e32 v1, 0xff800000
	v_mov_b32_e32 v2, 0x7f800000
	v_cndmask_b32_e32 v1, v1, v2, vcc
	v_cmp_eq_u32_e32 vcc, 0, v20
	v_mov_b32_e32 v2, 0x7f800001
	v_cndmask_b32_e32 v3, v2, v1, vcc
; %bb.22846:                            ;   in Loop: Header=BB6_20708 Depth=3
	s_or_b64 exec, exec, s[34:35]
.LBB6_22847:                            ;   in Loop: Header=BB6_20708 Depth=3
	s_or_b64 exec, exec, s[30:31]
.LBB6_22848:                            ;   in Loop: Header=BB6_20708 Depth=3
	s_or_b64 exec, exec, s[28:29]
	v_add_f32_e32 v3, v21, v3
	v_and_b32_e32 v20, 0x7f800000, v3
	v_mov_b32_e32 v21, v33
	v_cmp_ne_u64_e32 vcc, s[76:77], v[20:21]
	v_and_b32_e32 v1, 0x7fffff, v3
	v_mov_b32_e32 v2, v33
                                        ; implicit-def: $vgpr5
                                        ; kill: killed $vgpr5
	s_and_saveexec_b64 s[28:29], vcc
	s_xor_b64 s[30:31], exec, s[28:29]
	s_cbranch_execz .LBB6_22862
; %bb.22849:                            ;   in Loop: Header=BB6_20708 Depth=3
	v_and_b32_e32 v20, 0x7fffffff, v3
	v_mov_b32_e32 v21, v33
	v_cmp_gt_u64_e32 vcc, s[78:79], v[20:21]
	v_and_b32_sdwa v20, v3, s97 dst_sel:DWORD dst_unused:UNUSED_PAD src0_sel:BYTE_3 src1_sel:DWORD
                                        ; implicit-def: $vgpr5
                                        ; kill: killed $vgpr5
	s_and_saveexec_b64 s[28:29], vcc
	s_xor_b64 s[34:35], exec, s[28:29]
	s_cbranch_execz .LBB6_22859
; %bb.22850:                            ;   in Loop: Header=BB6_20708 Depth=3
	v_mov_b32_e32 v5, 0
	v_cmp_ne_u32_e32 vcc, 0, v3
	buffer_store_dword v5, off, s[0:3], s33 offset:328 ; 4-byte Folded Spill
	s_and_saveexec_b64 s[36:37], vcc
	s_cbranch_execz .LBB6_22858
; %bb.22851:                            ;   in Loop: Header=BB6_20708 Depth=3
	v_bfe_u32 v21, v3, 23, 8
	v_cmp_gt_u32_e64 s[28:29], s47, v21
	v_sub_u32_e32 v3, 0x71, v21
	v_cmp_eq_u32_e32 vcc, 0, v21
	v_cndmask_b32_e64 v3, 0, v3, s[28:29]
	v_mov_b32_e32 v29, 0x70
	v_cndmask_b32_e32 v29, v3, v29, vcc
	v_add_u32_e32 v3, 21, v29
	v_or_b32_e32 v34, 0x800000, v1
	v_lshlrev_b64 v[38:39], v3, -1
	v_cndmask_b32_e32 v1, v34, v1, vcc
	v_add_u32_e32 v3, 20, v29
	v_bfi_b32 v38, v38, 0, v1
	v_lshlrev_b64 v[49:50], v3, 1
	v_lshrrev_b64 v[1:2], v29, v[1:2]
	v_bfi_b32 v39, v39, 0, 0
	v_cmp_eq_u64_e64 s[28:29], v[38:39], v[49:50]
	v_mov_b32_e32 v3, v2
	v_mov_b32_e32 v2, v1
	s_and_saveexec_b64 s[38:39], s[28:29]
; %bb.22852:                            ;   in Loop: Header=BB6_20708 Depth=3
	v_bfe_u32 v2, v1, 21, 1
	v_add_co_u32_e64 v2, s[28:29], v1, v2
	v_add_co_u32_e64 v2, s[28:29], -1, v2
; %bb.22853:                            ;   in Loop: Header=BB6_20708 Depth=3
	s_or_b64 exec, exec, s[38:39]
	v_add_u32_e32 v3, 0xffffff81, v21
	v_mov_b32_e32 v21, 0xffffff82
	v_cndmask_b32_e32 v3, v3, v21, vcc
	v_lshrrev_b32_e32 v21, 23, v1
	v_add3_u32 v29, v29, v3, v21
	v_add_u32_e32 v21, 14, v29
	v_and_b32_e32 v2, 0x1fffff, v2
	v_add_u32_e32 v1, v2, v1
	v_mov_b32_e32 v2, v33
	v_cmp_ne_u32_e32 vcc, 0, v21
                                        ; implicit-def: $vgpr3
	s_and_saveexec_b64 s[28:29], vcc
	s_xor_b64 s[28:29], exec, s[28:29]
; %bb.22854:                            ;   in Loop: Header=BB6_20708 Depth=3
	v_cmp_lt_u64_e32 vcc, s[88:89], v[1:2]
	v_add_u32_e32 v3, 15, v29
	v_cndmask_b32_e32 v3, v21, v3, vcc
	v_cndmask_b32_e64 v21, 0, 1, vcc
	v_lshrrev_b64 v[1:2], v21, v[1:2]
; %bb.22855:                            ;   in Loop: Header=BB6_20708 Depth=3
	s_andn2_saveexec_b64 s[28:29], s[28:29]
; %bb.22856:                            ;   in Loop: Header=BB6_20708 Depth=3
	v_bfe_u32 v3, v1, 23, 1
; %bb.22857:                            ;   in Loop: Header=BB6_20708 Depth=3
	s_or_b64 exec, exec, s[28:29]
	v_lshrrev_b64 v[1:2], 21, v[1:2]
	v_cmp_gt_i32_e32 vcc, 32, v3
	v_cndmask_b32_e32 v2, 0, v2, vcc
	v_cndmask_b32_e32 v1, 3, v1, vcc
	v_cmp_eq_u64_e64 s[28:29], 0, v[1:2]
	v_min_i32_e32 v2, 31, v3
	v_lshlrev_b32_e32 v2, 2, v2
	v_cmp_eq_u32_e32 vcc, 0, v3
	v_and_b32_e32 v2, 0xfc, v2
	v_and_or_b32 v1, v1, 3, v2
	s_and_b64 s[28:29], vcc, s[28:29]
	v_cndmask_b32_e64 v1, v1, 0, s[28:29]
	v_or_b32_e32 v1, v1, v20
	buffer_store_dword v1, off, s[0:3], s33 offset:328 ; 4-byte Folded Spill
.LBB6_22858:                            ;   in Loop: Header=BB6_20708 Depth=3
	s_or_b64 exec, exec, s[36:37]
                                        ; implicit-def: $vgpr20
.LBB6_22859:                            ;   in Loop: Header=BB6_20708 Depth=3
	s_andn2_saveexec_b64 s[28:29], s[34:35]
	s_cbranch_execz .LBB6_22861
; %bb.22860:                            ;   in Loop: Header=BB6_20708 Depth=3
	v_or_b32_e32 v1, 0x7b, v20
	buffer_store_dword v1, off, s[0:3], s33 offset:328 ; 4-byte Folded Spill
.LBB6_22861:                            ;   in Loop: Header=BB6_20708 Depth=3
	s_or_b64 exec, exec, s[28:29]
                                        ; implicit-def: $vgpr3
                                        ; implicit-def: $vgpr1_vgpr2
.LBB6_22862:                            ;   in Loop: Header=BB6_20708 Depth=3
	s_andn2_saveexec_b64 s[28:29], s[30:31]
	s_cbranch_execz .LBB6_22868
; %bb.22863:                            ;   in Loop: Header=BB6_20708 Depth=3
	v_cmp_ne_u64_e32 vcc, 0, v[1:2]
                                        ; implicit-def: $vgpr1
                                        ; kill: killed $vgpr1
	s_and_saveexec_b64 s[62:63], vcc
	s_xor_b64 vcc, exec, s[62:63]
	s_cbranch_execz .LBB6_22865
; %bb.22864:                            ;   in Loop: Header=BB6_20708 Depth=3
	v_or_b32_sdwa v1, v3, s44 dst_sel:DWORD dst_unused:UNUSED_PAD src0_sel:BYTE_3 src1_sel:DWORD
	buffer_store_dword v1, off, s[0:3], s33 offset:328 ; 4-byte Folded Spill
                                        ; implicit-def: $vgpr3
.LBB6_22865:                            ;   in Loop: Header=BB6_20708 Depth=3
	s_andn2_saveexec_b64 s[30:31], vcc
	s_cbranch_execz .LBB6_22867
; %bb.22866:                            ;   in Loop: Header=BB6_20708 Depth=3
	v_cmp_lt_i32_e32 vcc, -1, v3
	v_bfrev_b32_e32 v1, 0.5
	v_mov_b32_e32 v2, 0x7c
	v_cndmask_b32_e32 v1, v1, v2, vcc
	buffer_store_dword v1, off, s[0:3], s33 offset:328 ; 4-byte Folded Spill
.LBB6_22867:                            ;   in Loop: Header=BB6_20708 Depth=3
	s_or_b64 exec, exec, s[30:31]
.LBB6_22868:                            ;   in Loop: Header=BB6_20708 Depth=3
	s_or_b64 exec, exec, s[28:29]
	v_and_b32_sdwa v20, v0, s96 dst_sel:DWORD dst_unused:UNUSED_PAD src0_sel:WORD_1 src1_sel:DWORD
	v_lshrrev_b32_e32 v1, 16, v0
	v_cmp_ne_u16_e32 vcc, 0, v20
	v_mov_b32_e32 v2, 0
	v_mov_b32_e32 v3, 0
	s_and_saveexec_b64 s[28:29], vcc
	s_cbranch_execz .LBB6_22876
; %bb.22869:                            ;   in Loop: Header=BB6_20708 Depth=3
	v_cmp_ne_u16_e32 vcc, s97, v20
	v_bfrev_b32_e32 v3, 1
	s_and_saveexec_b64 s[30:31], vcc
	s_cbranch_execz .LBB6_22875
; %bb.22870:                            ;   in Loop: Header=BB6_20708 Depth=3
	v_and_b32_e32 v3, 0x7c0000, v0
	v_bfe_u32 v20, v0, 16, 2
	v_cmp_ne_u32_e32 vcc, s45, v3
                                        ; implicit-def: $vgpr3
	s_and_saveexec_b64 s[62:63], vcc
	s_xor_b64 s[34:35], exec, s[62:63]
	s_cbranch_execz .LBB6_22872
; %bb.22871:                            ;   in Loop: Header=BB6_20708 Depth=3
	v_ffbh_u32_e32 v21, v20
	v_min_u32_e32 v21, 32, v21
	v_subrev_u32_e32 v29, 29, v21
	v_lshlrev_b64 v[38:39], v29, v[1:2]
	v_bfe_u32 v3, v0, 18, 5
	v_sub_u32_e32 v1, 30, v21
	v_and_b32_e32 v21, 3, v38
	v_cmp_eq_u32_e32 vcc, 0, v3
	v_cndmask_b32_e32 v1, v3, v1, vcc
	v_cndmask_b32_e32 v3, v20, v21, vcc
	v_lshlrev_b32_e32 v20, 8, v0
	v_and_b32_e32 v20, 0x80000000, v20
	v_lshl_add_u32 v1, v1, 23, v20
	v_lshl_or_b32 v1, v3, 21, v1
	v_add_u32_e32 v3, 0x38000000, v1
                                        ; implicit-def: $vgpr20
                                        ; implicit-def: $vgpr1
.LBB6_22872:                            ;   in Loop: Header=BB6_20708 Depth=3
	s_andn2_saveexec_b64 s[34:35], s[34:35]
; %bb.22873:                            ;   in Loop: Header=BB6_20708 Depth=3
	v_mov_b32_e32 v3, -1
	v_cmp_gt_i16_sdwa vcc, sext(v1), v3 src0_sel:BYTE_0 src1_sel:DWORD
	v_mov_b32_e32 v1, 0xff800000
	v_mov_b32_e32 v3, 0x7f800000
	v_cndmask_b32_e32 v1, v1, v3, vcc
	v_cmp_eq_u32_e32 vcc, 0, v20
	v_mov_b32_e32 v3, 0x7f800001
	v_cndmask_b32_e32 v3, v3, v1, vcc
; %bb.22874:                            ;   in Loop: Header=BB6_20708 Depth=3
	s_or_b64 exec, exec, s[34:35]
.LBB6_22875:                            ;   in Loop: Header=BB6_20708 Depth=3
	s_or_b64 exec, exec, s[30:31]
.LBB6_22876:                            ;   in Loop: Header=BB6_20708 Depth=3
	s_or_b64 exec, exec, s[28:29]
	v_lshrrev_b32_e32 v1, 16, v22
	v_cmp_ne_u16_sdwa s[62:63], v1, v33 src0_sel:BYTE_0 src1_sel:DWORD
	s_and_saveexec_b64 s[28:29], s[62:63]
	s_cbranch_execz .LBB6_22884
; %bb.22877:                            ;   in Loop: Header=BB6_20708 Depth=3
	v_cmp_ne_u16_sdwa s[62:63], v1, s97 src0_sel:BYTE_0 src1_sel:DWORD
	v_bfrev_b32_e32 v2, 1
	s_and_saveexec_b64 s[30:31], s[62:63]
	s_cbranch_execz .LBB6_22883
; %bb.22878:                            ;   in Loop: Header=BB6_20708 Depth=3
	v_and_b32_e32 v2, 0x7c0000, v22
	v_bfe_u32 v20, v22, 16, 2
	v_cmp_ne_u32_e32 vcc, s45, v2
                                        ; implicit-def: $vgpr2
	s_and_saveexec_b64 s[62:63], vcc
	s_xor_b64 s[34:35], exec, s[62:63]
	s_cbranch_execz .LBB6_22880
; %bb.22879:                            ;   in Loop: Header=BB6_20708 Depth=3
	v_ffbh_u32_e32 v2, v20
	v_min_u32_e32 v29, 32, v2
	v_subrev_u32_e32 v2, 29, v29
	v_lshlrev_b64 v[1:2], v2, v[1:2]
	v_bfe_u32 v21, v22, 18, 5
	v_and_b32_e32 v1, 3, v1
	v_cmp_eq_u32_e32 vcc, 0, v21
	v_sub_u32_e32 v2, 30, v29
	v_cndmask_b32_e32 v1, v20, v1, vcc
	v_lshlrev_b32_e32 v20, 8, v22
	v_cndmask_b32_e32 v2, v21, v2, vcc
	v_and_b32_e32 v20, 0x80000000, v20
	v_lshl_add_u32 v2, v2, 23, v20
	v_lshl_or_b32 v1, v1, 21, v2
	v_add_u32_e32 v2, 0x38000000, v1
                                        ; implicit-def: $vgpr20
                                        ; implicit-def: $vgpr1
.LBB6_22880:                            ;   in Loop: Header=BB6_20708 Depth=3
	s_andn2_saveexec_b64 s[34:35], s[34:35]
; %bb.22881:                            ;   in Loop: Header=BB6_20708 Depth=3
	v_mov_b32_e32 v2, -1
	v_cmp_gt_i16_sdwa vcc, sext(v1), v2 src0_sel:BYTE_0 src1_sel:DWORD
	v_mov_b32_e32 v1, 0xff800000
	v_mov_b32_e32 v2, 0x7f800000
	v_cndmask_b32_e32 v1, v1, v2, vcc
	v_cmp_eq_u32_e32 vcc, 0, v20
	v_mov_b32_e32 v2, 0x7f800001
	v_cndmask_b32_e32 v2, v2, v1, vcc
; %bb.22882:                            ;   in Loop: Header=BB6_20708 Depth=3
	s_or_b64 exec, exec, s[34:35]
.LBB6_22883:                            ;   in Loop: Header=BB6_20708 Depth=3
	s_or_b64 exec, exec, s[30:31]
.LBB6_22884:                            ;   in Loop: Header=BB6_20708 Depth=3
	s_or_b64 exec, exec, s[28:29]
	v_add_f32_e32 v3, v3, v2
	v_and_b32_e32 v20, 0x7f800000, v3
	v_mov_b32_e32 v21, v33
	v_cmp_ne_u64_e32 vcc, s[76:77], v[20:21]
	v_and_b32_e32 v1, 0x7fffff, v3
	v_mov_b32_e32 v2, v33
                                        ; implicit-def: $vgpr5
                                        ; kill: killed $vgpr5
	s_and_saveexec_b64 s[28:29], vcc
	s_xor_b64 s[30:31], exec, s[28:29]
	s_cbranch_execz .LBB6_22898
; %bb.22885:                            ;   in Loop: Header=BB6_20708 Depth=3
	v_and_b32_e32 v20, 0x7fffffff, v3
	v_mov_b32_e32 v21, v33
	v_cmp_gt_u64_e32 vcc, s[78:79], v[20:21]
	v_and_b32_sdwa v20, v3, s97 dst_sel:DWORD dst_unused:UNUSED_PAD src0_sel:BYTE_3 src1_sel:DWORD
                                        ; implicit-def: $vgpr5
                                        ; kill: killed $vgpr5
	s_and_saveexec_b64 s[28:29], vcc
	s_xor_b64 s[34:35], exec, s[28:29]
	s_cbranch_execz .LBB6_22895
; %bb.22886:                            ;   in Loop: Header=BB6_20708 Depth=3
	v_mov_b32_e32 v5, 0
	v_cmp_ne_u32_e32 vcc, 0, v3
	buffer_store_dword v5, off, s[0:3], s33 offset:344 ; 4-byte Folded Spill
	s_and_saveexec_b64 s[36:37], vcc
	s_cbranch_execz .LBB6_22894
; %bb.22887:                            ;   in Loop: Header=BB6_20708 Depth=3
	v_bfe_u32 v21, v3, 23, 8
	v_cmp_gt_u32_e64 s[28:29], s47, v21
	v_sub_u32_e32 v3, 0x71, v21
	v_cmp_eq_u32_e32 vcc, 0, v21
	v_cndmask_b32_e64 v3, 0, v3, s[28:29]
	v_mov_b32_e32 v29, 0x70
	v_cndmask_b32_e32 v29, v3, v29, vcc
	v_add_u32_e32 v3, 21, v29
	v_or_b32_e32 v34, 0x800000, v1
	v_lshlrev_b64 v[38:39], v3, -1
	v_cndmask_b32_e32 v1, v34, v1, vcc
	v_add_u32_e32 v3, 20, v29
	v_bfi_b32 v38, v38, 0, v1
	v_lshlrev_b64 v[49:50], v3, 1
	v_lshrrev_b64 v[1:2], v29, v[1:2]
	v_bfi_b32 v39, v39, 0, 0
	v_cmp_eq_u64_e64 s[28:29], v[38:39], v[49:50]
	v_mov_b32_e32 v3, v2
	v_mov_b32_e32 v2, v1
	s_and_saveexec_b64 s[38:39], s[28:29]
; %bb.22888:                            ;   in Loop: Header=BB6_20708 Depth=3
	v_bfe_u32 v2, v1, 21, 1
	v_add_co_u32_e64 v2, s[28:29], v1, v2
	v_add_co_u32_e64 v2, s[28:29], -1, v2
; %bb.22889:                            ;   in Loop: Header=BB6_20708 Depth=3
	s_or_b64 exec, exec, s[38:39]
	v_add_u32_e32 v3, 0xffffff81, v21
	v_mov_b32_e32 v21, 0xffffff82
	v_cndmask_b32_e32 v3, v3, v21, vcc
	v_lshrrev_b32_e32 v21, 23, v1
	v_add3_u32 v29, v29, v3, v21
	v_add_u32_e32 v21, 14, v29
	v_and_b32_e32 v2, 0x1fffff, v2
	v_add_u32_e32 v1, v2, v1
	v_mov_b32_e32 v2, v33
	v_cmp_ne_u32_e32 vcc, 0, v21
                                        ; implicit-def: $vgpr3
	s_and_saveexec_b64 s[28:29], vcc
	s_xor_b64 s[28:29], exec, s[28:29]
; %bb.22890:                            ;   in Loop: Header=BB6_20708 Depth=3
	v_cmp_lt_u64_e32 vcc, s[88:89], v[1:2]
	v_add_u32_e32 v3, 15, v29
	v_cndmask_b32_e32 v3, v21, v3, vcc
	v_cndmask_b32_e64 v21, 0, 1, vcc
	v_lshrrev_b64 v[1:2], v21, v[1:2]
; %bb.22891:                            ;   in Loop: Header=BB6_20708 Depth=3
	s_andn2_saveexec_b64 s[28:29], s[28:29]
; %bb.22892:                            ;   in Loop: Header=BB6_20708 Depth=3
	v_bfe_u32 v3, v1, 23, 1
; %bb.22893:                            ;   in Loop: Header=BB6_20708 Depth=3
	s_or_b64 exec, exec, s[28:29]
	v_lshrrev_b64 v[1:2], 21, v[1:2]
	v_cmp_gt_i32_e32 vcc, 32, v3
	v_cndmask_b32_e32 v2, 0, v2, vcc
	v_cndmask_b32_e32 v1, 3, v1, vcc
	v_cmp_eq_u64_e64 s[28:29], 0, v[1:2]
	v_min_i32_e32 v2, 31, v3
	v_lshlrev_b32_e32 v2, 2, v2
	v_cmp_eq_u32_e32 vcc, 0, v3
	v_and_b32_e32 v2, 0xfc, v2
	v_and_or_b32 v1, v1, 3, v2
	s_and_b64 s[28:29], vcc, s[28:29]
	v_cndmask_b32_e64 v1, v1, 0, s[28:29]
	v_or_b32_e32 v1, v1, v20
	buffer_store_dword v1, off, s[0:3], s33 offset:344 ; 4-byte Folded Spill
.LBB6_22894:                            ;   in Loop: Header=BB6_20708 Depth=3
	s_or_b64 exec, exec, s[36:37]
                                        ; implicit-def: $vgpr20
.LBB6_22895:                            ;   in Loop: Header=BB6_20708 Depth=3
	s_andn2_saveexec_b64 s[28:29], s[34:35]
	s_cbranch_execz .LBB6_22897
; %bb.22896:                            ;   in Loop: Header=BB6_20708 Depth=3
	v_or_b32_e32 v1, 0x7b, v20
	buffer_store_dword v1, off, s[0:3], s33 offset:344 ; 4-byte Folded Spill
.LBB6_22897:                            ;   in Loop: Header=BB6_20708 Depth=3
	s_or_b64 exec, exec, s[28:29]
                                        ; implicit-def: $vgpr3
                                        ; implicit-def: $vgpr1_vgpr2
.LBB6_22898:                            ;   in Loop: Header=BB6_20708 Depth=3
	s_andn2_saveexec_b64 s[28:29], s[30:31]
	s_cbranch_execz .LBB6_22904
; %bb.22899:                            ;   in Loop: Header=BB6_20708 Depth=3
	v_cmp_ne_u64_e32 vcc, 0, v[1:2]
                                        ; implicit-def: $vgpr1
                                        ; kill: killed $vgpr1
	s_and_saveexec_b64 s[62:63], vcc
	s_xor_b64 vcc, exec, s[62:63]
	s_cbranch_execz .LBB6_22901
; %bb.22900:                            ;   in Loop: Header=BB6_20708 Depth=3
	v_or_b32_sdwa v1, v3, s44 dst_sel:DWORD dst_unused:UNUSED_PAD src0_sel:BYTE_3 src1_sel:DWORD
	buffer_store_dword v1, off, s[0:3], s33 offset:344 ; 4-byte Folded Spill
                                        ; implicit-def: $vgpr3
.LBB6_22901:                            ;   in Loop: Header=BB6_20708 Depth=3
	s_andn2_saveexec_b64 s[30:31], vcc
	s_cbranch_execz .LBB6_22903
; %bb.22902:                            ;   in Loop: Header=BB6_20708 Depth=3
	v_cmp_lt_i32_e32 vcc, -1, v3
	v_bfrev_b32_e32 v1, 0.5
	v_mov_b32_e32 v2, 0x7c
	v_cndmask_b32_e32 v1, v1, v2, vcc
	buffer_store_dword v1, off, s[0:3], s33 offset:344 ; 4-byte Folded Spill
.LBB6_22903:                            ;   in Loop: Header=BB6_20708 Depth=3
	s_or_b64 exec, exec, s[30:31]
.LBB6_22904:                            ;   in Loop: Header=BB6_20708 Depth=3
	s_or_b64 exec, exec, s[28:29]
	v_cmp_lt_u32_e32 vcc, s57, v0
	v_mov_b32_e32 v2, 0
	v_mov_b32_e32 v3, 0
	s_and_saveexec_b64 s[28:29], vcc
	s_cbranch_execz .LBB6_22912
; %bb.22905:                            ;   in Loop: Header=BB6_20708 Depth=3
	v_lshrrev_b32_e32 v1, 24, v0
	v_cmp_ne_u32_e32 vcc, s97, v1
	v_bfrev_b32_e32 v3, 1
	s_and_saveexec_b64 s[30:31], vcc
	s_cbranch_execz .LBB6_22911
; %bb.22906:                            ;   in Loop: Header=BB6_20708 Depth=3
	v_and_b32_e32 v3, 0x7c000000, v0
	v_bfe_u32 v20, v0, 24, 2
	v_cmp_ne_u32_e32 vcc, s68, v3
                                        ; implicit-def: $vgpr3
	s_and_saveexec_b64 s[62:63], vcc
	s_xor_b64 s[34:35], exec, s[62:63]
	s_cbranch_execz .LBB6_22908
; %bb.22907:                            ;   in Loop: Header=BB6_20708 Depth=3
	v_ffbh_u32_e32 v21, v20
	v_min_u32_e32 v21, 32, v21
	v_subrev_u32_e32 v29, 29, v21
	v_bfe_u32 v3, v0, 26, 5
	v_lshlrev_b64 v[38:39], v29, v[1:2]
	v_sub_u32_e32 v1, 30, v21
	v_cmp_eq_u32_e32 vcc, 0, v3
	v_and_b32_e32 v21, 3, v38
	v_cndmask_b32_e32 v1, v3, v1, vcc
	v_and_b32_e32 v0, 0x80000000, v0
	v_cndmask_b32_e32 v3, v20, v21, vcc
	v_lshl_add_u32 v0, v1, 23, v0
	v_lshl_or_b32 v0, v3, 21, v0
	v_add_u32_e32 v3, 0x38000000, v0
                                        ; implicit-def: $vgpr20
                                        ; implicit-def: $vgpr0_vgpr1
.LBB6_22908:                            ;   in Loop: Header=BB6_20708 Depth=3
	s_andn2_saveexec_b64 s[34:35], s[34:35]
; %bb.22909:                            ;   in Loop: Header=BB6_20708 Depth=3
	v_cmp_lt_i32_e32 vcc, -1, v0
	v_mov_b32_e32 v0, 0xff800000
	v_mov_b32_e32 v1, 0x7f800000
	v_cndmask_b32_e32 v0, v0, v1, vcc
	v_cmp_eq_u32_e32 vcc, 0, v20
	v_mov_b32_e32 v1, 0x7f800001
	v_cndmask_b32_e32 v3, v1, v0, vcc
; %bb.22910:                            ;   in Loop: Header=BB6_20708 Depth=3
	s_or_b64 exec, exec, s[34:35]
.LBB6_22911:                            ;   in Loop: Header=BB6_20708 Depth=3
	s_or_b64 exec, exec, s[30:31]
.LBB6_22912:                            ;   in Loop: Header=BB6_20708 Depth=3
	s_or_b64 exec, exec, s[28:29]
	v_cmp_lt_u32_e32 vcc, s57, v22
	s_and_saveexec_b64 s[28:29], vcc
	s_cbranch_execz .LBB6_22920
; %bb.22913:                            ;   in Loop: Header=BB6_20708 Depth=3
	v_lshrrev_b32_e32 v0, 24, v22
	v_cmp_ne_u32_e32 vcc, s97, v0
	v_bfrev_b32_e32 v2, 1
	s_and_saveexec_b64 s[30:31], vcc
	s_cbranch_execz .LBB6_22919
; %bb.22914:                            ;   in Loop: Header=BB6_20708 Depth=3
	v_and_b32_e32 v2, 0x7c000000, v22
	v_bfe_u32 v1, v22, 24, 2
	v_cmp_ne_u32_e32 vcc, s68, v2
                                        ; implicit-def: $vgpr2
	s_and_saveexec_b64 s[62:63], vcc
	s_xor_b64 s[34:35], exec, s[62:63]
	s_cbranch_execz .LBB6_22916
; %bb.22915:                            ;   in Loop: Header=BB6_20708 Depth=3
	v_ffbh_u32_e32 v20, v1
	v_min_u32_e32 v29, 32, v20
	v_subrev_u32_e32 v20, 29, v29
	v_bfe_u32 v2, v22, 26, 5
	v_lshlrev_b64 v[20:21], v20, v[0:1]
	v_sub_u32_e32 v0, 30, v29
	v_cmp_eq_u32_e32 vcc, 0, v2
	v_and_b32_e32 v20, 3, v20
	v_cndmask_b32_e32 v0, v2, v0, vcc
	v_and_b32_e32 v2, 0x80000000, v22
	v_cndmask_b32_e32 v1, v1, v20, vcc
	v_lshl_add_u32 v0, v0, 23, v2
	v_lshl_or_b32 v0, v1, 21, v0
	v_add_u32_e32 v2, 0x38000000, v0
                                        ; implicit-def: $vgpr1
.LBB6_22916:                            ;   in Loop: Header=BB6_20708 Depth=3
	s_andn2_saveexec_b64 s[34:35], s[34:35]
; %bb.22917:                            ;   in Loop: Header=BB6_20708 Depth=3
	v_cmp_lt_i32_e32 vcc, -1, v22
	v_mov_b32_e32 v0, 0xff800000
	v_mov_b32_e32 v2, 0x7f800000
	v_cndmask_b32_e32 v0, v0, v2, vcc
	v_cmp_eq_u32_e32 vcc, 0, v1
	v_mov_b32_e32 v1, 0x7f800001
	v_cndmask_b32_e32 v2, v1, v0, vcc
; %bb.22918:                            ;   in Loop: Header=BB6_20708 Depth=3
	s_or_b64 exec, exec, s[34:35]
.LBB6_22919:                            ;   in Loop: Header=BB6_20708 Depth=3
	s_or_b64 exec, exec, s[30:31]
.LBB6_22920:                            ;   in Loop: Header=BB6_20708 Depth=3
	s_or_b64 exec, exec, s[28:29]
	v_add_f32_e32 v2, v3, v2
	v_and_b32_e32 v20, 0x7f800000, v2
	v_mov_b32_e32 v21, v33
	v_cmp_ne_u64_e32 vcc, s[76:77], v[20:21]
	v_and_b32_e32 v0, 0x7fffff, v2
	v_mov_b32_e32 v1, v33
                                        ; implicit-def: $vgpr3
                                        ; kill: killed $vgpr3
	s_and_saveexec_b64 s[28:29], vcc
	s_xor_b64 s[30:31], exec, s[28:29]
	s_cbranch_execz .LBB6_22934
; %bb.22921:                            ;   in Loop: Header=BB6_20708 Depth=3
	v_and_b32_e32 v20, 0x7fffffff, v2
	v_mov_b32_e32 v21, v33
	v_cmp_gt_u64_e32 vcc, s[78:79], v[20:21]
	v_and_b32_sdwa v3, v2, s97 dst_sel:DWORD dst_unused:UNUSED_PAD src0_sel:BYTE_3 src1_sel:DWORD
                                        ; implicit-def: $vgpr5
                                        ; kill: killed $vgpr5
	s_and_saveexec_b64 s[28:29], vcc
	s_xor_b64 s[34:35], exec, s[28:29]
	s_cbranch_execz .LBB6_22931
; %bb.22922:                            ;   in Loop: Header=BB6_20708 Depth=3
	v_mov_b32_e32 v5, 0
	v_cmp_ne_u32_e32 vcc, 0, v2
	buffer_store_dword v5, off, s[0:3], s33 offset:360 ; 4-byte Folded Spill
	s_and_saveexec_b64 s[36:37], vcc
	s_cbranch_execz .LBB6_22930
; %bb.22923:                            ;   in Loop: Header=BB6_20708 Depth=3
	v_bfe_u32 v20, v2, 23, 8
	v_cmp_gt_u32_e64 s[28:29], s47, v20
	v_sub_u32_e32 v2, 0x71, v20
	v_cmp_eq_u32_e32 vcc, 0, v20
	v_cndmask_b32_e64 v2, 0, v2, s[28:29]
	v_mov_b32_e32 v21, 0x70
	v_cndmask_b32_e32 v21, v2, v21, vcc
	v_add_u32_e32 v2, 21, v21
	v_or_b32_e32 v29, 0x800000, v0
	v_lshlrev_b64 v[38:39], v2, -1
	v_cndmask_b32_e32 v0, v29, v0, vcc
	v_add_u32_e32 v2, 20, v21
	v_bfi_b32 v38, v38, 0, v0
	v_lshlrev_b64 v[49:50], v2, 1
	v_lshrrev_b64 v[0:1], v21, v[0:1]
	v_bfi_b32 v39, v39, 0, 0
	v_cmp_eq_u64_e64 s[28:29], v[38:39], v[49:50]
	v_mov_b32_e32 v2, v1
	v_mov_b32_e32 v1, v0
	s_and_saveexec_b64 s[38:39], s[28:29]
; %bb.22924:                            ;   in Loop: Header=BB6_20708 Depth=3
	v_bfe_u32 v1, v0, 21, 1
	v_add_co_u32_e64 v1, s[28:29], v0, v1
	v_add_co_u32_e64 v1, s[28:29], -1, v1
; %bb.22925:                            ;   in Loop: Header=BB6_20708 Depth=3
	s_or_b64 exec, exec, s[38:39]
	v_add_u32_e32 v2, 0xffffff81, v20
	v_mov_b32_e32 v20, 0xffffff82
	v_cndmask_b32_e32 v2, v2, v20, vcc
	v_lshrrev_b32_e32 v20, 23, v0
	v_add3_u32 v21, v21, v2, v20
	v_add_u32_e32 v20, 14, v21
	v_and_b32_e32 v1, 0x1fffff, v1
	v_add_u32_e32 v0, v1, v0
	v_mov_b32_e32 v1, v33
	v_cmp_ne_u32_e32 vcc, 0, v20
                                        ; implicit-def: $vgpr2
	s_and_saveexec_b64 s[28:29], vcc
	s_xor_b64 s[28:29], exec, s[28:29]
; %bb.22926:                            ;   in Loop: Header=BB6_20708 Depth=3
	v_cmp_lt_u64_e32 vcc, s[88:89], v[0:1]
	v_add_u32_e32 v2, 15, v21
	v_cndmask_b32_e32 v2, v20, v2, vcc
	v_cndmask_b32_e64 v20, 0, 1, vcc
	v_lshrrev_b64 v[0:1], v20, v[0:1]
; %bb.22927:                            ;   in Loop: Header=BB6_20708 Depth=3
	s_andn2_saveexec_b64 s[28:29], s[28:29]
; %bb.22928:                            ;   in Loop: Header=BB6_20708 Depth=3
	v_bfe_u32 v2, v0, 23, 1
; %bb.22929:                            ;   in Loop: Header=BB6_20708 Depth=3
	s_or_b64 exec, exec, s[28:29]
	v_lshrrev_b64 v[0:1], 21, v[0:1]
	v_cmp_gt_i32_e32 vcc, 32, v2
	v_cndmask_b32_e32 v1, 0, v1, vcc
	v_cndmask_b32_e32 v0, 3, v0, vcc
	v_cmp_eq_u64_e64 s[28:29], 0, v[0:1]
	v_min_i32_e32 v1, 31, v2
	v_lshlrev_b32_e32 v1, 2, v1
	v_cmp_eq_u32_e32 vcc, 0, v2
	v_and_b32_e32 v1, 0xfc, v1
	v_and_or_b32 v0, v0, 3, v1
	s_and_b64 s[28:29], vcc, s[28:29]
	v_cndmask_b32_e64 v0, v0, 0, s[28:29]
	v_or_b32_e32 v0, v0, v3
	buffer_store_dword v0, off, s[0:3], s33 offset:360 ; 4-byte Folded Spill
.LBB6_22930:                            ;   in Loop: Header=BB6_20708 Depth=3
	s_or_b64 exec, exec, s[36:37]
                                        ; implicit-def: $vgpr3
.LBB6_22931:                            ;   in Loop: Header=BB6_20708 Depth=3
	s_andn2_saveexec_b64 s[28:29], s[34:35]
	s_cbranch_execz .LBB6_22933
; %bb.22932:                            ;   in Loop: Header=BB6_20708 Depth=3
	v_or_b32_e32 v0, 0x7b, v3
	buffer_store_dword v0, off, s[0:3], s33 offset:360 ; 4-byte Folded Spill
.LBB6_22933:                            ;   in Loop: Header=BB6_20708 Depth=3
	s_or_b64 exec, exec, s[28:29]
                                        ; implicit-def: $vgpr2
                                        ; implicit-def: $vgpr0_vgpr1
.LBB6_22934:                            ;   in Loop: Header=BB6_20708 Depth=3
	s_andn2_saveexec_b64 s[28:29], s[30:31]
	s_cbranch_execz .LBB6_22940
; %bb.22935:                            ;   in Loop: Header=BB6_20708 Depth=3
	v_cmp_ne_u64_e32 vcc, 0, v[0:1]
                                        ; implicit-def: $vgpr0
                                        ; kill: killed $vgpr0
	s_and_saveexec_b64 s[62:63], vcc
	s_xor_b64 vcc, exec, s[62:63]
	s_cbranch_execz .LBB6_22937
; %bb.22936:                            ;   in Loop: Header=BB6_20708 Depth=3
	v_or_b32_sdwa v0, v2, s44 dst_sel:DWORD dst_unused:UNUSED_PAD src0_sel:BYTE_3 src1_sel:DWORD
	buffer_store_dword v0, off, s[0:3], s33 offset:360 ; 4-byte Folded Spill
                                        ; implicit-def: $vgpr2
.LBB6_22937:                            ;   in Loop: Header=BB6_20708 Depth=3
	s_andn2_saveexec_b64 s[30:31], vcc
	s_cbranch_execz .LBB6_22939
; %bb.22938:                            ;   in Loop: Header=BB6_20708 Depth=3
	v_cmp_lt_i32_e32 vcc, -1, v2
	v_bfrev_b32_e32 v0, 0.5
	v_mov_b32_e32 v1, 0x7c
	v_cndmask_b32_e32 v0, v0, v1, vcc
	buffer_store_dword v0, off, s[0:3], s33 offset:360 ; 4-byte Folded Spill
.LBB6_22939:                            ;   in Loop: Header=BB6_20708 Depth=3
	s_or_b64 exec, exec, s[30:31]
.LBB6_22940:                            ;   in Loop: Header=BB6_20708 Depth=3
	s_or_b64 exec, exec, s[28:29]
	buffer_load_dword v2, off, s[0:3], s33 offset:372 ; 4-byte Folded Reload
	v_lshlrev_b32_e32 v0, 24, v32
	v_lshlrev_b32_e32 v1, 16, v25
	v_cmp_ne_u32_e32 vcc, 0, v41
	v_mov_b32_e32 v3, 0
	s_waitcnt vmcnt(0)
	v_lshl_or_b32 v5, v2, 8, v41
	v_or3_b32 v0, v1, v0, v5
	v_mov_b32_e32 v1, v33
	v_mov_b32_e32 v2, 0
	s_and_saveexec_b64 s[30:31], vcc
	s_cbranch_execz .LBB6_22948
; %bb.22941:                            ;   in Loop: Header=BB6_20708 Depth=3
	v_cmp_ne_u32_e32 vcc, s97, v41
	v_bfrev_b32_e32 v3, 1
	s_and_saveexec_b64 s[34:35], vcc
	s_cbranch_execz .LBB6_22947
; %bb.22942:                            ;   in Loop: Header=BB6_20708 Depth=3
	v_and_b32_e32 v3, 0x7c, v41
	v_and_b32_e32 v20, 3, v41
	v_cmp_ne_u32_e32 vcc, s86, v3
                                        ; implicit-def: $vgpr3
	s_and_saveexec_b64 s[28:29], vcc
	s_xor_b64 s[28:29], exec, s[28:29]
	s_cbranch_execz .LBB6_22944
; %bb.22943:                            ;   in Loop: Header=BB6_20708 Depth=3
	v_ffbh_u32_e32 v21, v20
	v_min_u32_e32 v21, 32, v21
	v_subrev_u32_e32 v25, 29, v21
	v_lshlrev_b64 v[38:39], v25, v[0:1]
	v_bfe_u32 v3, v41, 2, 5
	v_sub_u32_e32 v1, 30, v21
	v_and_b32_e32 v21, 3, v38
	v_cmp_eq_u32_e32 vcc, 0, v3
	v_cndmask_b32_e32 v1, v3, v1, vcc
	v_cndmask_b32_e32 v3, v20, v21, vcc
	v_lshlrev_b32_e32 v20, 24, v41
	v_and_b32_e32 v20, 0x80000000, v20
	v_lshl_add_u32 v1, v1, 23, v20
	v_lshl_or_b32 v1, v3, 21, v1
	v_add_u32_e32 v3, 0x38000000, v1
                                        ; implicit-def: $vgpr20
                                        ; implicit-def: $vgpr41
.LBB6_22944:                            ;   in Loop: Header=BB6_20708 Depth=3
	s_andn2_saveexec_b64 s[36:37], s[28:29]
; %bb.22945:                            ;   in Loop: Header=BB6_20708 Depth=3
	v_and_b32_e32 v1, 0x80, v41
	v_cmp_eq_u32_e64 s[28:29], 0, v1
	v_mov_b32_e32 v1, 0xff800000
	v_mov_b32_e32 v3, 0x7f800000
	v_cmp_eq_u32_e32 vcc, 0, v20
	v_cndmask_b32_e64 v1, v1, v3, s[28:29]
	v_mov_b32_e32 v3, 0x7f800001
	v_cndmask_b32_e32 v3, v3, v1, vcc
; %bb.22946:                            ;   in Loop: Header=BB6_20708 Depth=3
	s_or_b64 exec, exec, s[36:37]
.LBB6_22947:                            ;   in Loop: Header=BB6_20708 Depth=3
	s_or_b64 exec, exec, s[34:35]
.LBB6_22948:                            ;   in Loop: Header=BB6_20708 Depth=3
	s_or_b64 exec, exec, s[30:31]
	v_cmp_ne_u16_sdwa s[62:63], v23, v33 src0_sel:BYTE_0 src1_sel:DWORD
	s_and_saveexec_b64 s[28:29], s[62:63]
	s_cbranch_execz .LBB6_22956
; %bb.22949:                            ;   in Loop: Header=BB6_20708 Depth=3
	v_cmp_ne_u16_sdwa s[62:63], v23, s97 src0_sel:BYTE_0 src1_sel:DWORD
	v_bfrev_b32_e32 v2, 1
	s_and_saveexec_b64 s[30:31], s[62:63]
	s_cbranch_execz .LBB6_22955
; %bb.22950:                            ;   in Loop: Header=BB6_20708 Depth=3
	v_and_b32_e32 v2, 0x7c, v23
	v_and_b32_e32 v1, 3, v23
	v_cmp_ne_u32_e32 vcc, s86, v2
                                        ; implicit-def: $vgpr2
	s_and_saveexec_b64 s[62:63], vcc
	s_xor_b64 s[34:35], exec, s[62:63]
	s_cbranch_execz .LBB6_22952
; %bb.22951:                            ;   in Loop: Header=BB6_20708 Depth=3
	v_ffbh_u32_e32 v25, v1
	v_min_u32_e32 v25, 32, v25
	v_mov_b32_e32 v20, v23
	v_mov_b32_e32 v21, v33
	v_subrev_u32_e32 v29, 29, v25
	v_lshlrev_b64 v[20:21], v29, v[20:21]
	v_bfe_u32 v2, v23, 2, 5
	v_and_b32_e32 v20, 3, v20
	v_cmp_eq_u32_e32 vcc, 0, v2
	v_sub_u32_e32 v21, 30, v25
	v_cndmask_b32_e32 v1, v1, v20, vcc
	v_lshlrev_b32_e32 v20, 24, v23
	v_cndmask_b32_e32 v2, v2, v21, vcc
	v_and_b32_e32 v20, 0x80000000, v20
	v_lshl_add_u32 v2, v2, 23, v20
	v_lshl_or_b32 v1, v1, 21, v2
	v_add_u32_e32 v2, 0x38000000, v1
                                        ; implicit-def: $vgpr1
.LBB6_22952:                            ;   in Loop: Header=BB6_20708 Depth=3
	s_andn2_saveexec_b64 s[34:35], s[34:35]
; %bb.22953:                            ;   in Loop: Header=BB6_20708 Depth=3
	v_mov_b32_e32 v2, -1
	v_cmp_gt_i16_sdwa vcc, sext(v23), v2 src0_sel:BYTE_0 src1_sel:DWORD
	v_mov_b32_e32 v2, 0xff800000
	v_mov_b32_e32 v20, 0x7f800000
	v_cndmask_b32_e32 v2, v2, v20, vcc
	v_cmp_eq_u32_e32 vcc, 0, v1
	v_mov_b32_e32 v1, 0x7f800001
	v_cndmask_b32_e32 v2, v1, v2, vcc
; %bb.22954:                            ;   in Loop: Header=BB6_20708 Depth=3
	s_or_b64 exec, exec, s[34:35]
.LBB6_22955:                            ;   in Loop: Header=BB6_20708 Depth=3
	s_or_b64 exec, exec, s[30:31]
.LBB6_22956:                            ;   in Loop: Header=BB6_20708 Depth=3
	s_or_b64 exec, exec, s[28:29]
	v_add_f32_e32 v3, v3, v2
	v_and_b32_e32 v20, 0x7f800000, v3
	v_mov_b32_e32 v21, v33
	v_cmp_ne_u64_e32 vcc, s[76:77], v[20:21]
	v_and_b32_e32 v1, 0x7fffff, v3
	v_mov_b32_e32 v2, v33
                                        ; implicit-def: $vgpr32
	s_and_saveexec_b64 s[28:29], vcc
	s_xor_b64 s[30:31], exec, s[28:29]
	s_cbranch_execz .LBB6_22970
; %bb.22957:                            ;   in Loop: Header=BB6_20708 Depth=3
	v_and_b32_e32 v20, 0x7fffffff, v3
	v_mov_b32_e32 v21, v33
	v_cmp_gt_u64_e32 vcc, s[78:79], v[20:21]
	v_and_b32_sdwa v20, v3, s97 dst_sel:DWORD dst_unused:UNUSED_PAD src0_sel:BYTE_3 src1_sel:DWORD
                                        ; implicit-def: $vgpr32
	s_and_saveexec_b64 s[28:29], vcc
	s_xor_b64 s[34:35], exec, s[28:29]
	s_cbranch_execz .LBB6_22967
; %bb.22958:                            ;   in Loop: Header=BB6_20708 Depth=3
	v_mov_b32_e32 v32, 0
	v_cmp_ne_u32_e32 vcc, 0, v3
	s_and_saveexec_b64 s[36:37], vcc
	s_cbranch_execz .LBB6_22966
; %bb.22959:                            ;   in Loop: Header=BB6_20708 Depth=3
	v_bfe_u32 v21, v3, 23, 8
	v_cmp_gt_u32_e64 s[28:29], s47, v21
	v_sub_u32_e32 v3, 0x71, v21
	v_cmp_eq_u32_e32 vcc, 0, v21
	v_cndmask_b32_e64 v3, 0, v3, s[28:29]
	v_mov_b32_e32 v25, 0x70
	v_cndmask_b32_e32 v25, v3, v25, vcc
	v_add_u32_e32 v3, 21, v25
	v_or_b32_e32 v29, 0x800000, v1
	v_lshlrev_b64 v[38:39], v3, -1
	v_cndmask_b32_e32 v1, v29, v1, vcc
	v_add_u32_e32 v3, 20, v25
	v_bfi_b32 v38, v38, 0, v1
	v_lshlrev_b64 v[49:50], v3, 1
	v_lshrrev_b64 v[1:2], v25, v[1:2]
	v_bfi_b32 v39, v39, 0, 0
	v_cmp_eq_u64_e64 s[28:29], v[38:39], v[49:50]
	v_mov_b32_e32 v3, v2
	v_mov_b32_e32 v2, v1
	s_and_saveexec_b64 s[38:39], s[28:29]
; %bb.22960:                            ;   in Loop: Header=BB6_20708 Depth=3
	v_bfe_u32 v2, v1, 21, 1
	v_add_co_u32_e64 v2, s[28:29], v1, v2
	v_add_co_u32_e64 v2, s[28:29], -1, v2
; %bb.22961:                            ;   in Loop: Header=BB6_20708 Depth=3
	s_or_b64 exec, exec, s[38:39]
	v_add_u32_e32 v3, 0xffffff81, v21
	v_mov_b32_e32 v21, 0xffffff82
	v_cndmask_b32_e32 v3, v3, v21, vcc
	v_lshrrev_b32_e32 v21, 23, v1
	v_add3_u32 v25, v25, v3, v21
	v_add_u32_e32 v21, 14, v25
	v_and_b32_e32 v2, 0x1fffff, v2
	v_add_u32_e32 v1, v2, v1
	v_mov_b32_e32 v2, v33
	v_cmp_ne_u32_e32 vcc, 0, v21
                                        ; implicit-def: $vgpr3
	s_and_saveexec_b64 s[28:29], vcc
	s_xor_b64 s[28:29], exec, s[28:29]
; %bb.22962:                            ;   in Loop: Header=BB6_20708 Depth=3
	v_cmp_lt_u64_e32 vcc, s[88:89], v[1:2]
	v_add_u32_e32 v3, 15, v25
	v_cndmask_b32_e32 v3, v21, v3, vcc
	v_cndmask_b32_e64 v21, 0, 1, vcc
	v_lshrrev_b64 v[1:2], v21, v[1:2]
; %bb.22963:                            ;   in Loop: Header=BB6_20708 Depth=3
	s_andn2_saveexec_b64 s[28:29], s[28:29]
; %bb.22964:                            ;   in Loop: Header=BB6_20708 Depth=3
	v_bfe_u32 v3, v1, 23, 1
; %bb.22965:                            ;   in Loop: Header=BB6_20708 Depth=3
	s_or_b64 exec, exec, s[28:29]
	v_lshrrev_b64 v[1:2], 21, v[1:2]
	v_cmp_gt_i32_e32 vcc, 32, v3
	v_cndmask_b32_e32 v2, 0, v2, vcc
	v_cndmask_b32_e32 v1, 3, v1, vcc
	v_cmp_eq_u64_e64 s[28:29], 0, v[1:2]
	v_min_i32_e32 v2, 31, v3
	v_lshlrev_b32_e32 v2, 2, v2
	v_cmp_eq_u32_e32 vcc, 0, v3
	v_and_b32_e32 v2, 0xfc, v2
	v_and_or_b32 v1, v1, 3, v2
	s_and_b64 s[28:29], vcc, s[28:29]
	v_cndmask_b32_e64 v1, v1, 0, s[28:29]
	v_or_b32_e32 v32, v1, v20
.LBB6_22966:                            ;   in Loop: Header=BB6_20708 Depth=3
	s_or_b64 exec, exec, s[36:37]
                                        ; implicit-def: $vgpr20
.LBB6_22967:                            ;   in Loop: Header=BB6_20708 Depth=3
	s_andn2_saveexec_b64 s[28:29], s[34:35]
; %bb.22968:                            ;   in Loop: Header=BB6_20708 Depth=3
	v_or_b32_e32 v32, 0x7b, v20
; %bb.22969:                            ;   in Loop: Header=BB6_20708 Depth=3
	s_or_b64 exec, exec, s[28:29]
                                        ; implicit-def: $vgpr3
                                        ; implicit-def: $vgpr1_vgpr2
.LBB6_22970:                            ;   in Loop: Header=BB6_20708 Depth=3
	s_andn2_saveexec_b64 s[28:29], s[30:31]
	s_cbranch_execz .LBB6_22976
; %bb.22971:                            ;   in Loop: Header=BB6_20708 Depth=3
	v_cmp_ne_u64_e32 vcc, 0, v[1:2]
                                        ; implicit-def: $vgpr32
	s_and_saveexec_b64 s[62:63], vcc
	s_xor_b64 vcc, exec, s[62:63]
; %bb.22972:                            ;   in Loop: Header=BB6_20708 Depth=3
	v_or_b32_sdwa v32, v3, s44 dst_sel:DWORD dst_unused:UNUSED_PAD src0_sel:BYTE_3 src1_sel:DWORD
                                        ; implicit-def: $vgpr3
; %bb.22973:                            ;   in Loop: Header=BB6_20708 Depth=3
	s_andn2_saveexec_b64 s[30:31], vcc
; %bb.22974:                            ;   in Loop: Header=BB6_20708 Depth=3
	v_cmp_lt_i32_e32 vcc, -1, v3
	v_bfrev_b32_e32 v1, 0.5
	v_mov_b32_e32 v2, 0x7c
	v_cndmask_b32_e32 v32, v1, v2, vcc
; %bb.22975:                            ;   in Loop: Header=BB6_20708 Depth=3
	s_or_b64 exec, exec, s[30:31]
.LBB6_22976:                            ;   in Loop: Header=BB6_20708 Depth=3
	s_or_b64 exec, exec, s[28:29]
	v_lshrrev_b16_e32 v1, 8, v5
	v_cmp_ne_u16_e32 vcc, 0, v1
	v_mov_b32_e32 v3, 0
	v_mov_b32_e32 v20, 0
	s_and_saveexec_b64 s[28:29], vcc
	s_cbranch_execz .LBB6_22984
; %bb.22977:                            ;   in Loop: Header=BB6_20708 Depth=3
	v_cmp_ne_u16_e32 vcc, s97, v1
	v_bfrev_b32_e32 v20, 1
	s_and_saveexec_b64 s[30:31], vcc
	s_cbranch_execz .LBB6_22983
; %bb.22978:                            ;   in Loop: Header=BB6_20708 Depth=3
	v_and_b32_e32 v2, 0x7c, v1
	v_and_b32_e32 v21, 3, v1
	v_cmp_ne_u32_e32 vcc, s86, v2
                                        ; implicit-def: $vgpr20
	s_and_saveexec_b64 s[62:63], vcc
	s_xor_b64 s[34:35], exec, s[62:63]
	s_cbranch_execz .LBB6_22980
; %bb.22979:                            ;   in Loop: Header=BB6_20708 Depth=3
	v_ffbh_u32_e32 v25, v21
	v_min_u32_e32 v25, 32, v25
	v_mov_b32_e32 v2, v33
	v_subrev_u32_e32 v29, 29, v25
	v_bfe_u32 v20, v1, 2, 5
	v_lshlrev_b64 v[1:2], v29, v[1:2]
	v_sub_u32_e32 v2, 30, v25
	v_cmp_eq_u32_e32 vcc, 0, v20
	v_lshlrev_b32_e32 v5, 16, v5
	v_and_b32_e32 v1, 3, v1
	v_cndmask_b32_e32 v2, v20, v2, vcc
	v_and_b32_e32 v5, 0x80000000, v5
	v_cndmask_b32_e32 v1, v21, v1, vcc
	v_lshl_add_u32 v2, v2, 23, v5
	v_lshl_or_b32 v1, v1, 21, v2
	v_add_u32_e32 v20, 0x38000000, v1
                                        ; implicit-def: $vgpr21
                                        ; implicit-def: $vgpr5
.LBB6_22980:                            ;   in Loop: Header=BB6_20708 Depth=3
	s_andn2_saveexec_b64 s[34:35], s[34:35]
; %bb.22981:                            ;   in Loop: Header=BB6_20708 Depth=3
	v_cmp_lt_i16_e32 vcc, -1, v5
	v_mov_b32_e32 v1, 0xff800000
	v_mov_b32_e32 v2, 0x7f800000
	v_cndmask_b32_e32 v1, v1, v2, vcc
	v_cmp_eq_u32_e32 vcc, 0, v21
	v_mov_b32_e32 v2, 0x7f800001
	v_cndmask_b32_e32 v20, v2, v1, vcc
; %bb.22982:                            ;   in Loop: Header=BB6_20708 Depth=3
	s_or_b64 exec, exec, s[34:35]
.LBB6_22983:                            ;   in Loop: Header=BB6_20708 Depth=3
	s_or_b64 exec, exec, s[30:31]
.LBB6_22984:                            ;   in Loop: Header=BB6_20708 Depth=3
	s_or_b64 exec, exec, s[28:29]
	v_lshrrev_b16_e32 v1, 8, v23
	v_cmp_ne_u16_e32 vcc, 0, v1
	s_and_saveexec_b64 s[28:29], vcc
	s_cbranch_execz .LBB6_22992
; %bb.22985:                            ;   in Loop: Header=BB6_20708 Depth=3
	v_cmp_ne_u16_e32 vcc, s97, v1
	v_bfrev_b32_e32 v3, 1
	s_and_saveexec_b64 s[30:31], vcc
	s_cbranch_execz .LBB6_22991
; %bb.22986:                            ;   in Loop: Header=BB6_20708 Depth=3
	v_and_b32_e32 v2, 0x7c, v1
	v_and_b32_e32 v5, 3, v1
	v_cmp_ne_u32_e32 vcc, s86, v2
                                        ; implicit-def: $vgpr3
	s_and_saveexec_b64 s[62:63], vcc
	s_xor_b64 s[34:35], exec, s[62:63]
	s_cbranch_execz .LBB6_22988
; %bb.22987:                            ;   in Loop: Header=BB6_20708 Depth=3
	v_ffbh_u32_e32 v21, v5
	v_min_u32_e32 v21, 32, v21
	v_mov_b32_e32 v2, v33
	v_subrev_u32_e32 v25, 29, v21
	v_bfe_u32 v3, v1, 2, 5
	v_lshlrev_b64 v[1:2], v25, v[1:2]
	v_sub_u32_e32 v2, 30, v21
	v_cmp_eq_u32_e32 vcc, 0, v3
	v_cndmask_b32_e32 v2, v3, v2, vcc
	v_lshlrev_b32_e32 v3, 16, v23
	v_and_b32_e32 v1, 3, v1
	v_and_b32_e32 v3, 0x80000000, v3
	v_cndmask_b32_e32 v1, v5, v1, vcc
	v_lshl_add_u32 v2, v2, 23, v3
	v_lshl_or_b32 v1, v1, 21, v2
	v_add_u32_e32 v3, 0x38000000, v1
                                        ; implicit-def: $vgpr5
.LBB6_22988:                            ;   in Loop: Header=BB6_20708 Depth=3
	s_andn2_saveexec_b64 s[34:35], s[34:35]
; %bb.22989:                            ;   in Loop: Header=BB6_20708 Depth=3
	v_cmp_lt_i16_e32 vcc, -1, v23
	v_mov_b32_e32 v1, 0xff800000
	v_mov_b32_e32 v2, 0x7f800000
	v_cndmask_b32_e32 v1, v1, v2, vcc
	v_cmp_eq_u32_e32 vcc, 0, v5
	v_mov_b32_e32 v2, 0x7f800001
	v_cndmask_b32_e32 v3, v2, v1, vcc
; %bb.22990:                            ;   in Loop: Header=BB6_20708 Depth=3
	s_or_b64 exec, exec, s[34:35]
.LBB6_22991:                            ;   in Loop: Header=BB6_20708 Depth=3
	s_or_b64 exec, exec, s[30:31]
.LBB6_22992:                            ;   in Loop: Header=BB6_20708 Depth=3
	s_or_b64 exec, exec, s[28:29]
	v_add_f32_e32 v3, v20, v3
	v_and_b32_e32 v20, 0x7f800000, v3
	v_mov_b32_e32 v21, v33
	v_cmp_ne_u64_e32 vcc, s[76:77], v[20:21]
	v_and_b32_e32 v1, 0x7fffff, v3
	v_mov_b32_e32 v2, v33
                                        ; implicit-def: $vgpr5
                                        ; kill: killed $vgpr5
	s_and_saveexec_b64 s[28:29], vcc
	s_xor_b64 s[30:31], exec, s[28:29]
	s_cbranch_execz .LBB6_23006
; %bb.22993:                            ;   in Loop: Header=BB6_20708 Depth=3
	v_and_b32_e32 v20, 0x7fffffff, v3
	v_mov_b32_e32 v21, v33
	v_cmp_gt_u64_e32 vcc, s[78:79], v[20:21]
	v_and_b32_sdwa v5, v3, s97 dst_sel:DWORD dst_unused:UNUSED_PAD src0_sel:BYTE_3 src1_sel:DWORD
                                        ; implicit-def: $vgpr7
                                        ; kill: killed $vgpr7
	s_and_saveexec_b64 s[28:29], vcc
	s_xor_b64 s[34:35], exec, s[28:29]
	s_cbranch_execz .LBB6_23003
; %bb.22994:                            ;   in Loop: Header=BB6_20708 Depth=3
	v_mov_b32_e32 v7, 0
	v_cmp_ne_u32_e32 vcc, 0, v3
	buffer_store_dword v7, off, s[0:3], s33 offset:372 ; 4-byte Folded Spill
	s_and_saveexec_b64 s[36:37], vcc
	s_cbranch_execz .LBB6_23002
; %bb.22995:                            ;   in Loop: Header=BB6_20708 Depth=3
	v_bfe_u32 v20, v3, 23, 8
	v_cmp_gt_u32_e64 s[28:29], s47, v20
	v_sub_u32_e32 v3, 0x71, v20
	v_cmp_eq_u32_e32 vcc, 0, v20
	v_cndmask_b32_e64 v3, 0, v3, s[28:29]
	v_mov_b32_e32 v21, 0x70
	v_cndmask_b32_e32 v21, v3, v21, vcc
	v_add_u32_e32 v3, 21, v21
	v_or_b32_e32 v25, 0x800000, v1
	v_lshlrev_b64 v[38:39], v3, -1
	v_cndmask_b32_e32 v1, v25, v1, vcc
	v_add_u32_e32 v3, 20, v21
	v_bfi_b32 v38, v38, 0, v1
	v_lshlrev_b64 v[49:50], v3, 1
	v_lshrrev_b64 v[1:2], v21, v[1:2]
	v_bfi_b32 v39, v39, 0, 0
	v_cmp_eq_u64_e64 s[28:29], v[38:39], v[49:50]
	v_mov_b32_e32 v3, v2
	v_mov_b32_e32 v2, v1
	s_and_saveexec_b64 s[38:39], s[28:29]
; %bb.22996:                            ;   in Loop: Header=BB6_20708 Depth=3
	v_bfe_u32 v2, v1, 21, 1
	v_add_co_u32_e64 v2, s[28:29], v1, v2
	v_add_co_u32_e64 v2, s[28:29], -1, v2
; %bb.22997:                            ;   in Loop: Header=BB6_20708 Depth=3
	s_or_b64 exec, exec, s[38:39]
	v_add_u32_e32 v3, 0xffffff81, v20
	v_mov_b32_e32 v20, 0xffffff82
	v_cndmask_b32_e32 v3, v3, v20, vcc
	v_lshrrev_b32_e32 v20, 23, v1
	v_add3_u32 v21, v21, v3, v20
	v_add_u32_e32 v20, 14, v21
	v_and_b32_e32 v2, 0x1fffff, v2
	v_add_u32_e32 v1, v2, v1
	v_mov_b32_e32 v2, v33
	v_cmp_ne_u32_e32 vcc, 0, v20
                                        ; implicit-def: $vgpr3
	s_and_saveexec_b64 s[28:29], vcc
	s_xor_b64 s[28:29], exec, s[28:29]
; %bb.22998:                            ;   in Loop: Header=BB6_20708 Depth=3
	v_cmp_lt_u64_e32 vcc, s[88:89], v[1:2]
	v_add_u32_e32 v3, 15, v21
	v_cndmask_b32_e32 v3, v20, v3, vcc
	v_cndmask_b32_e64 v20, 0, 1, vcc
	v_lshrrev_b64 v[1:2], v20, v[1:2]
; %bb.22999:                            ;   in Loop: Header=BB6_20708 Depth=3
	s_andn2_saveexec_b64 s[28:29], s[28:29]
; %bb.23000:                            ;   in Loop: Header=BB6_20708 Depth=3
	v_bfe_u32 v3, v1, 23, 1
; %bb.23001:                            ;   in Loop: Header=BB6_20708 Depth=3
	s_or_b64 exec, exec, s[28:29]
	v_lshrrev_b64 v[1:2], 21, v[1:2]
	v_cmp_gt_i32_e32 vcc, 32, v3
	v_cndmask_b32_e32 v2, 0, v2, vcc
	v_cndmask_b32_e32 v1, 3, v1, vcc
	v_cmp_eq_u64_e64 s[28:29], 0, v[1:2]
	v_min_i32_e32 v2, 31, v3
	v_lshlrev_b32_e32 v2, 2, v2
	v_cmp_eq_u32_e32 vcc, 0, v3
	v_and_b32_e32 v2, 0xfc, v2
	v_and_or_b32 v1, v1, 3, v2
	s_and_b64 s[28:29], vcc, s[28:29]
	v_cndmask_b32_e64 v1, v1, 0, s[28:29]
	v_or_b32_e32 v1, v1, v5
	buffer_store_dword v1, off, s[0:3], s33 offset:372 ; 4-byte Folded Spill
.LBB6_23002:                            ;   in Loop: Header=BB6_20708 Depth=3
	s_or_b64 exec, exec, s[36:37]
                                        ; implicit-def: $vgpr5
.LBB6_23003:                            ;   in Loop: Header=BB6_20708 Depth=3
	s_andn2_saveexec_b64 s[28:29], s[34:35]
	s_cbranch_execz .LBB6_23005
; %bb.23004:                            ;   in Loop: Header=BB6_20708 Depth=3
	v_or_b32_e32 v1, 0x7b, v5
	buffer_store_dword v1, off, s[0:3], s33 offset:372 ; 4-byte Folded Spill
.LBB6_23005:                            ;   in Loop: Header=BB6_20708 Depth=3
	s_or_b64 exec, exec, s[28:29]
                                        ; implicit-def: $vgpr3
                                        ; implicit-def: $vgpr1_vgpr2
.LBB6_23006:                            ;   in Loop: Header=BB6_20708 Depth=3
	s_andn2_saveexec_b64 s[28:29], s[30:31]
	s_cbranch_execz .LBB6_23012
; %bb.23007:                            ;   in Loop: Header=BB6_20708 Depth=3
	v_cmp_ne_u64_e32 vcc, 0, v[1:2]
                                        ; implicit-def: $vgpr1
                                        ; kill: killed $vgpr1
	s_and_saveexec_b64 s[62:63], vcc
	s_xor_b64 vcc, exec, s[62:63]
	s_cbranch_execz .LBB6_23009
; %bb.23008:                            ;   in Loop: Header=BB6_20708 Depth=3
	v_or_b32_sdwa v1, v3, s44 dst_sel:DWORD dst_unused:UNUSED_PAD src0_sel:BYTE_3 src1_sel:DWORD
	buffer_store_dword v1, off, s[0:3], s33 offset:372 ; 4-byte Folded Spill
                                        ; implicit-def: $vgpr3
.LBB6_23009:                            ;   in Loop: Header=BB6_20708 Depth=3
	s_andn2_saveexec_b64 s[30:31], vcc
	s_cbranch_execz .LBB6_23011
; %bb.23010:                            ;   in Loop: Header=BB6_20708 Depth=3
	v_cmp_lt_i32_e32 vcc, -1, v3
	v_bfrev_b32_e32 v1, 0.5
	v_mov_b32_e32 v2, 0x7c
	v_cndmask_b32_e32 v1, v1, v2, vcc
	buffer_store_dword v1, off, s[0:3], s33 offset:372 ; 4-byte Folded Spill
.LBB6_23011:                            ;   in Loop: Header=BB6_20708 Depth=3
	s_or_b64 exec, exec, s[30:31]
.LBB6_23012:                            ;   in Loop: Header=BB6_20708 Depth=3
	s_or_b64 exec, exec, s[28:29]
	v_and_b32_sdwa v5, v0, s96 dst_sel:DWORD dst_unused:UNUSED_PAD src0_sel:WORD_1 src1_sel:DWORD
	v_lshrrev_b32_e32 v1, 16, v0
	v_cmp_ne_u16_e32 vcc, 0, v5
	v_mov_b32_e32 v2, 0
	v_mov_b32_e32 v3, 0
	s_and_saveexec_b64 s[28:29], vcc
	s_cbranch_execz .LBB6_23020
; %bb.23013:                            ;   in Loop: Header=BB6_20708 Depth=3
	v_cmp_ne_u16_e32 vcc, s97, v5
	v_bfrev_b32_e32 v3, 1
	s_and_saveexec_b64 s[30:31], vcc
	s_cbranch_execz .LBB6_23019
; %bb.23014:                            ;   in Loop: Header=BB6_20708 Depth=3
	v_and_b32_e32 v3, 0x7c0000, v0
	v_bfe_u32 v5, v0, 16, 2
	v_cmp_ne_u32_e32 vcc, s45, v3
                                        ; implicit-def: $vgpr3
	s_and_saveexec_b64 s[62:63], vcc
	s_xor_b64 s[34:35], exec, s[62:63]
	s_cbranch_execz .LBB6_23016
; %bb.23015:                            ;   in Loop: Header=BB6_20708 Depth=3
	v_ffbh_u32_e32 v20, v5
	v_min_u32_e32 v25, 32, v20
	v_subrev_u32_e32 v20, 29, v25
	v_lshlrev_b64 v[20:21], v20, v[1:2]
	v_bfe_u32 v3, v0, 18, 5
	v_sub_u32_e32 v1, 30, v25
	v_and_b32_e32 v20, 3, v20
	v_cmp_eq_u32_e32 vcc, 0, v3
	v_cndmask_b32_e32 v1, v3, v1, vcc
	v_cndmask_b32_e32 v3, v5, v20, vcc
	v_lshlrev_b32_e32 v5, 8, v0
	v_and_b32_e32 v5, 0x80000000, v5
	v_lshl_add_u32 v1, v1, 23, v5
	v_lshl_or_b32 v1, v3, 21, v1
	v_add_u32_e32 v3, 0x38000000, v1
                                        ; implicit-def: $vgpr5
                                        ; implicit-def: $vgpr1
.LBB6_23016:                            ;   in Loop: Header=BB6_20708 Depth=3
	s_andn2_saveexec_b64 s[34:35], s[34:35]
; %bb.23017:                            ;   in Loop: Header=BB6_20708 Depth=3
	v_mov_b32_e32 v3, -1
	v_cmp_gt_i16_sdwa vcc, sext(v1), v3 src0_sel:BYTE_0 src1_sel:DWORD
	v_mov_b32_e32 v1, 0xff800000
	v_mov_b32_e32 v3, 0x7f800000
	v_cndmask_b32_e32 v1, v1, v3, vcc
	v_cmp_eq_u32_e32 vcc, 0, v5
	v_mov_b32_e32 v3, 0x7f800001
	v_cndmask_b32_e32 v3, v3, v1, vcc
; %bb.23018:                            ;   in Loop: Header=BB6_20708 Depth=3
	s_or_b64 exec, exec, s[34:35]
.LBB6_23019:                            ;   in Loop: Header=BB6_20708 Depth=3
	s_or_b64 exec, exec, s[30:31]
.LBB6_23020:                            ;   in Loop: Header=BB6_20708 Depth=3
	s_or_b64 exec, exec, s[28:29]
	v_lshrrev_b32_e32 v1, 16, v23
	v_cmp_ne_u16_sdwa s[62:63], v1, v33 src0_sel:BYTE_0 src1_sel:DWORD
	s_and_saveexec_b64 s[28:29], s[62:63]
	s_cbranch_execz .LBB6_23028
; %bb.23021:                            ;   in Loop: Header=BB6_20708 Depth=3
	v_cmp_ne_u16_sdwa s[62:63], v1, s97 src0_sel:BYTE_0 src1_sel:DWORD
	v_bfrev_b32_e32 v2, 1
	s_and_saveexec_b64 s[30:31], s[62:63]
	s_cbranch_execz .LBB6_23027
; %bb.23022:                            ;   in Loop: Header=BB6_20708 Depth=3
	v_and_b32_e32 v2, 0x7c0000, v23
	v_bfe_u32 v5, v23, 16, 2
	v_cmp_ne_u32_e32 vcc, s45, v2
                                        ; implicit-def: $vgpr2
	s_and_saveexec_b64 s[62:63], vcc
	s_xor_b64 s[34:35], exec, s[62:63]
	s_cbranch_execz .LBB6_23024
; %bb.23023:                            ;   in Loop: Header=BB6_20708 Depth=3
	v_ffbh_u32_e32 v2, v5
	v_min_u32_e32 v21, 32, v2
	v_subrev_u32_e32 v2, 29, v21
	v_lshlrev_b64 v[1:2], v2, v[1:2]
	v_bfe_u32 v20, v23, 18, 5
	v_and_b32_e32 v1, 3, v1
	v_cmp_eq_u32_e32 vcc, 0, v20
	v_sub_u32_e32 v2, 30, v21
	v_cndmask_b32_e32 v1, v5, v1, vcc
	v_lshlrev_b32_e32 v5, 8, v23
	v_cndmask_b32_e32 v2, v20, v2, vcc
	v_and_b32_e32 v5, 0x80000000, v5
	v_lshl_add_u32 v2, v2, 23, v5
	v_lshl_or_b32 v1, v1, 21, v2
	v_add_u32_e32 v2, 0x38000000, v1
                                        ; implicit-def: $vgpr5
                                        ; implicit-def: $vgpr1
.LBB6_23024:                            ;   in Loop: Header=BB6_20708 Depth=3
	s_andn2_saveexec_b64 s[34:35], s[34:35]
; %bb.23025:                            ;   in Loop: Header=BB6_20708 Depth=3
	v_mov_b32_e32 v2, -1
	v_cmp_gt_i16_sdwa vcc, sext(v1), v2 src0_sel:BYTE_0 src1_sel:DWORD
	v_mov_b32_e32 v1, 0xff800000
	v_mov_b32_e32 v2, 0x7f800000
	v_cndmask_b32_e32 v1, v1, v2, vcc
	v_cmp_eq_u32_e32 vcc, 0, v5
	v_mov_b32_e32 v2, 0x7f800001
	v_cndmask_b32_e32 v2, v2, v1, vcc
; %bb.23026:                            ;   in Loop: Header=BB6_20708 Depth=3
	s_or_b64 exec, exec, s[34:35]
.LBB6_23027:                            ;   in Loop: Header=BB6_20708 Depth=3
	s_or_b64 exec, exec, s[30:31]
.LBB6_23028:                            ;   in Loop: Header=BB6_20708 Depth=3
	s_or_b64 exec, exec, s[28:29]
	v_add_f32_e32 v3, v3, v2
	v_and_b32_e32 v20, 0x7f800000, v3
	v_mov_b32_e32 v21, v33
	v_cmp_ne_u64_e32 vcc, s[76:77], v[20:21]
	v_and_b32_e32 v1, 0x7fffff, v3
	v_mov_b32_e32 v2, v33
                                        ; implicit-def: $vgpr5
                                        ; kill: killed $vgpr5
	s_and_saveexec_b64 s[28:29], vcc
	s_xor_b64 s[30:31], exec, s[28:29]
	s_cbranch_execz .LBB6_23042
; %bb.23029:                            ;   in Loop: Header=BB6_20708 Depth=3
	v_and_b32_e32 v20, 0x7fffffff, v3
	v_mov_b32_e32 v21, v33
	v_cmp_gt_u64_e32 vcc, s[78:79], v[20:21]
	v_and_b32_sdwa v5, v3, s97 dst_sel:DWORD dst_unused:UNUSED_PAD src0_sel:BYTE_3 src1_sel:DWORD
                                        ; implicit-def: $vgpr7
                                        ; kill: killed $vgpr7
	s_and_saveexec_b64 s[28:29], vcc
	s_xor_b64 s[34:35], exec, s[28:29]
	s_cbranch_execz .LBB6_23039
; %bb.23030:                            ;   in Loop: Header=BB6_20708 Depth=3
	v_mov_b32_e32 v7, 0
	v_cmp_ne_u32_e32 vcc, 0, v3
	buffer_store_dword v7, off, s[0:3], s33 offset:380 ; 4-byte Folded Spill
	s_and_saveexec_b64 s[36:37], vcc
	s_cbranch_execz .LBB6_23038
; %bb.23031:                            ;   in Loop: Header=BB6_20708 Depth=3
	v_bfe_u32 v20, v3, 23, 8
	v_cmp_gt_u32_e64 s[28:29], s47, v20
	v_sub_u32_e32 v3, 0x71, v20
	v_cmp_eq_u32_e32 vcc, 0, v20
	v_cndmask_b32_e64 v3, 0, v3, s[28:29]
	v_mov_b32_e32 v21, 0x70
	v_cndmask_b32_e32 v21, v3, v21, vcc
	v_add_u32_e32 v3, 21, v21
	v_or_b32_e32 v25, 0x800000, v1
	v_lshlrev_b64 v[38:39], v3, -1
	v_cndmask_b32_e32 v1, v25, v1, vcc
	v_add_u32_e32 v3, 20, v21
	v_bfi_b32 v38, v38, 0, v1
	v_lshlrev_b64 v[49:50], v3, 1
	v_lshrrev_b64 v[1:2], v21, v[1:2]
	v_bfi_b32 v39, v39, 0, 0
	v_cmp_eq_u64_e64 s[28:29], v[38:39], v[49:50]
	v_mov_b32_e32 v3, v2
	v_mov_b32_e32 v2, v1
	s_and_saveexec_b64 s[38:39], s[28:29]
; %bb.23032:                            ;   in Loop: Header=BB6_20708 Depth=3
	v_bfe_u32 v2, v1, 21, 1
	v_add_co_u32_e64 v2, s[28:29], v1, v2
	v_add_co_u32_e64 v2, s[28:29], -1, v2
; %bb.23033:                            ;   in Loop: Header=BB6_20708 Depth=3
	s_or_b64 exec, exec, s[38:39]
	v_add_u32_e32 v3, 0xffffff81, v20
	v_mov_b32_e32 v20, 0xffffff82
	v_cndmask_b32_e32 v3, v3, v20, vcc
	v_lshrrev_b32_e32 v20, 23, v1
	v_add3_u32 v21, v21, v3, v20
	v_add_u32_e32 v20, 14, v21
	v_and_b32_e32 v2, 0x1fffff, v2
	v_add_u32_e32 v1, v2, v1
	v_mov_b32_e32 v2, v33
	v_cmp_ne_u32_e32 vcc, 0, v20
                                        ; implicit-def: $vgpr3
	s_and_saveexec_b64 s[28:29], vcc
	s_xor_b64 s[28:29], exec, s[28:29]
; %bb.23034:                            ;   in Loop: Header=BB6_20708 Depth=3
	v_cmp_lt_u64_e32 vcc, s[88:89], v[1:2]
	v_add_u32_e32 v3, 15, v21
	v_cndmask_b32_e32 v3, v20, v3, vcc
	v_cndmask_b32_e64 v20, 0, 1, vcc
	v_lshrrev_b64 v[1:2], v20, v[1:2]
; %bb.23035:                            ;   in Loop: Header=BB6_20708 Depth=3
	s_andn2_saveexec_b64 s[28:29], s[28:29]
; %bb.23036:                            ;   in Loop: Header=BB6_20708 Depth=3
	v_bfe_u32 v3, v1, 23, 1
; %bb.23037:                            ;   in Loop: Header=BB6_20708 Depth=3
	s_or_b64 exec, exec, s[28:29]
	v_lshrrev_b64 v[1:2], 21, v[1:2]
	v_cmp_gt_i32_e32 vcc, 32, v3
	v_cndmask_b32_e32 v2, 0, v2, vcc
	v_cndmask_b32_e32 v1, 3, v1, vcc
	v_cmp_eq_u64_e64 s[28:29], 0, v[1:2]
	v_min_i32_e32 v2, 31, v3
	v_lshlrev_b32_e32 v2, 2, v2
	v_cmp_eq_u32_e32 vcc, 0, v3
	v_and_b32_e32 v2, 0xfc, v2
	v_and_or_b32 v1, v1, 3, v2
	s_and_b64 s[28:29], vcc, s[28:29]
	v_cndmask_b32_e64 v1, v1, 0, s[28:29]
	v_or_b32_e32 v1, v1, v5
	buffer_store_dword v1, off, s[0:3], s33 offset:380 ; 4-byte Folded Spill
.LBB6_23038:                            ;   in Loop: Header=BB6_20708 Depth=3
	s_or_b64 exec, exec, s[36:37]
                                        ; implicit-def: $vgpr5
.LBB6_23039:                            ;   in Loop: Header=BB6_20708 Depth=3
	s_andn2_saveexec_b64 s[28:29], s[34:35]
	s_cbranch_execz .LBB6_23041
; %bb.23040:                            ;   in Loop: Header=BB6_20708 Depth=3
	v_or_b32_e32 v1, 0x7b, v5
	buffer_store_dword v1, off, s[0:3], s33 offset:380 ; 4-byte Folded Spill
.LBB6_23041:                            ;   in Loop: Header=BB6_20708 Depth=3
	s_or_b64 exec, exec, s[28:29]
                                        ; implicit-def: $vgpr3
                                        ; implicit-def: $vgpr1_vgpr2
.LBB6_23042:                            ;   in Loop: Header=BB6_20708 Depth=3
	s_andn2_saveexec_b64 s[28:29], s[30:31]
	s_cbranch_execz .LBB6_23048
; %bb.23043:                            ;   in Loop: Header=BB6_20708 Depth=3
	v_cmp_ne_u64_e32 vcc, 0, v[1:2]
                                        ; implicit-def: $vgpr1
                                        ; kill: killed $vgpr1
	s_and_saveexec_b64 s[62:63], vcc
	s_xor_b64 vcc, exec, s[62:63]
	s_cbranch_execz .LBB6_23045
; %bb.23044:                            ;   in Loop: Header=BB6_20708 Depth=3
	v_or_b32_sdwa v1, v3, s44 dst_sel:DWORD dst_unused:UNUSED_PAD src0_sel:BYTE_3 src1_sel:DWORD
	buffer_store_dword v1, off, s[0:3], s33 offset:380 ; 4-byte Folded Spill
                                        ; implicit-def: $vgpr3
.LBB6_23045:                            ;   in Loop: Header=BB6_20708 Depth=3
	s_andn2_saveexec_b64 s[30:31], vcc
	s_cbranch_execz .LBB6_23047
; %bb.23046:                            ;   in Loop: Header=BB6_20708 Depth=3
	v_cmp_lt_i32_e32 vcc, -1, v3
	v_bfrev_b32_e32 v1, 0.5
	v_mov_b32_e32 v2, 0x7c
	v_cndmask_b32_e32 v1, v1, v2, vcc
	buffer_store_dword v1, off, s[0:3], s33 offset:380 ; 4-byte Folded Spill
.LBB6_23047:                            ;   in Loop: Header=BB6_20708 Depth=3
	s_or_b64 exec, exec, s[30:31]
.LBB6_23048:                            ;   in Loop: Header=BB6_20708 Depth=3
	s_or_b64 exec, exec, s[28:29]
	v_cmp_lt_u32_e32 vcc, s57, v0
	v_mov_b32_e32 v2, 0
	v_mov_b32_e32 v3, 0
	s_and_saveexec_b64 s[28:29], vcc
	s_cbranch_execz .LBB6_23056
; %bb.23049:                            ;   in Loop: Header=BB6_20708 Depth=3
	v_lshrrev_b32_e32 v1, 24, v0
	v_cmp_ne_u32_e32 vcc, s97, v1
	v_bfrev_b32_e32 v3, 1
	s_and_saveexec_b64 s[30:31], vcc
	s_cbranch_execz .LBB6_23055
; %bb.23050:                            ;   in Loop: Header=BB6_20708 Depth=3
	v_and_b32_e32 v3, 0x7c000000, v0
	v_bfe_u32 v5, v0, 24, 2
	v_cmp_ne_u32_e32 vcc, s68, v3
                                        ; implicit-def: $vgpr3
	s_and_saveexec_b64 s[62:63], vcc
	s_xor_b64 s[34:35], exec, s[62:63]
	s_cbranch_execz .LBB6_23052
; %bb.23051:                            ;   in Loop: Header=BB6_20708 Depth=3
	v_ffbh_u32_e32 v20, v5
	v_min_u32_e32 v25, 32, v20
	v_subrev_u32_e32 v20, 29, v25
	v_bfe_u32 v3, v0, 26, 5
	v_lshlrev_b64 v[20:21], v20, v[1:2]
	v_sub_u32_e32 v1, 30, v25
	v_cmp_eq_u32_e32 vcc, 0, v3
	v_and_b32_e32 v20, 3, v20
	v_cndmask_b32_e32 v1, v3, v1, vcc
	v_and_b32_e32 v0, 0x80000000, v0
	v_cndmask_b32_e32 v3, v5, v20, vcc
	v_lshl_add_u32 v0, v1, 23, v0
	v_lshl_or_b32 v0, v3, 21, v0
	v_add_u32_e32 v3, 0x38000000, v0
                                        ; implicit-def: $vgpr5
                                        ; implicit-def: $vgpr0_vgpr1
.LBB6_23052:                            ;   in Loop: Header=BB6_20708 Depth=3
	s_andn2_saveexec_b64 s[34:35], s[34:35]
; %bb.23053:                            ;   in Loop: Header=BB6_20708 Depth=3
	v_cmp_lt_i32_e32 vcc, -1, v0
	v_mov_b32_e32 v0, 0xff800000
	v_mov_b32_e32 v1, 0x7f800000
	v_cndmask_b32_e32 v0, v0, v1, vcc
	v_cmp_eq_u32_e32 vcc, 0, v5
	v_mov_b32_e32 v1, 0x7f800001
	v_cndmask_b32_e32 v3, v1, v0, vcc
; %bb.23054:                            ;   in Loop: Header=BB6_20708 Depth=3
	s_or_b64 exec, exec, s[34:35]
.LBB6_23055:                            ;   in Loop: Header=BB6_20708 Depth=3
	s_or_b64 exec, exec, s[30:31]
.LBB6_23056:                            ;   in Loop: Header=BB6_20708 Depth=3
	s_or_b64 exec, exec, s[28:29]
	v_cmp_lt_u64_e32 vcc, s[56:57], v[22:23]
	s_and_saveexec_b64 s[28:29], vcc
	s_cbranch_execz .LBB6_23064
; %bb.23057:                            ;   in Loop: Header=BB6_20708 Depth=3
	v_lshrrev_b32_e32 v0, 24, v23
	v_cmp_ne_u32_e32 vcc, s97, v0
	v_bfrev_b32_e32 v2, 1
	s_and_saveexec_b64 s[30:31], vcc
	s_cbranch_execz .LBB6_23063
; %bb.23058:                            ;   in Loop: Header=BB6_20708 Depth=3
	v_and_b32_e32 v2, 0x7c000000, v23
	v_bfe_u32 v1, v23, 24, 2
	v_cmp_ne_u32_e32 vcc, s68, v2
                                        ; implicit-def: $vgpr2
	s_and_saveexec_b64 s[62:63], vcc
	s_xor_b64 s[34:35], exec, s[62:63]
	s_cbranch_execz .LBB6_23060
; %bb.23059:                            ;   in Loop: Header=BB6_20708 Depth=3
	v_ffbh_u32_e32 v5, v1
	v_min_u32_e32 v5, 32, v5
	v_subrev_u32_e32 v20, 29, v5
	v_bfe_u32 v2, v23, 26, 5
	v_lshlrev_b64 v[20:21], v20, v[0:1]
	v_sub_u32_e32 v0, 30, v5
	v_cmp_eq_u32_e32 vcc, 0, v2
	v_and_b32_e32 v5, 3, v20
	v_cndmask_b32_e32 v0, v2, v0, vcc
	v_and_b32_e32 v2, 0x80000000, v23
	v_cndmask_b32_e32 v1, v1, v5, vcc
	v_lshl_add_u32 v0, v0, 23, v2
	v_lshl_or_b32 v0, v1, 21, v0
	v_add_u32_e32 v2, 0x38000000, v0
                                        ; implicit-def: $vgpr1
                                        ; implicit-def: $vgpr22_vgpr23
.LBB6_23060:                            ;   in Loop: Header=BB6_20708 Depth=3
	s_andn2_saveexec_b64 s[34:35], s[34:35]
; %bb.23061:                            ;   in Loop: Header=BB6_20708 Depth=3
	v_cmp_lt_i64_e32 vcc, -1, v[22:23]
	v_mov_b32_e32 v0, 0xff800000
	v_mov_b32_e32 v2, 0x7f800000
	v_cndmask_b32_e32 v0, v0, v2, vcc
	v_cmp_eq_u32_e32 vcc, 0, v1
	v_mov_b32_e32 v1, 0x7f800001
	v_cndmask_b32_e32 v2, v1, v0, vcc
; %bb.23062:                            ;   in Loop: Header=BB6_20708 Depth=3
	s_or_b64 exec, exec, s[34:35]
.LBB6_23063:                            ;   in Loop: Header=BB6_20708 Depth=3
	s_or_b64 exec, exec, s[30:31]
.LBB6_23064:                            ;   in Loop: Header=BB6_20708 Depth=3
	s_or_b64 exec, exec, s[28:29]
	v_add_f32_e32 v2, v3, v2
	v_and_b32_e32 v20, 0x7f800000, v2
	v_mov_b32_e32 v21, v33
	v_cmp_ne_u64_e32 vcc, s[76:77], v[20:21]
	v_and_b32_e32 v0, 0x7fffff, v2
	v_mov_b32_e32 v1, v33
                                        ; implicit-def: $vgpr3
                                        ; kill: killed $vgpr3
	s_and_saveexec_b64 s[28:29], vcc
	s_xor_b64 s[30:31], exec, s[28:29]
	s_cbranch_execz .LBB6_23078
; %bb.23065:                            ;   in Loop: Header=BB6_20708 Depth=3
	v_and_b32_e32 v20, 0x7fffffff, v2
	v_mov_b32_e32 v21, v33
	v_cmp_gt_u64_e32 vcc, s[78:79], v[20:21]
	v_and_b32_sdwa v3, v2, s97 dst_sel:DWORD dst_unused:UNUSED_PAD src0_sel:BYTE_3 src1_sel:DWORD
                                        ; implicit-def: $vgpr5
                                        ; kill: killed $vgpr5
	s_and_saveexec_b64 s[28:29], vcc
	s_xor_b64 s[34:35], exec, s[28:29]
	s_cbranch_execz .LBB6_23075
; %bb.23066:                            ;   in Loop: Header=BB6_20708 Depth=3
	v_mov_b32_e32 v5, 0
	v_cmp_ne_u32_e32 vcc, 0, v2
	buffer_store_dword v5, off, s[0:3], s33 offset:384 ; 4-byte Folded Spill
	s_and_saveexec_b64 s[36:37], vcc
	s_cbranch_execz .LBB6_23074
; %bb.23067:                            ;   in Loop: Header=BB6_20708 Depth=3
	v_bfe_u32 v5, v2, 23, 8
	v_cmp_gt_u32_e64 s[28:29], s47, v5
	v_sub_u32_e32 v2, 0x71, v5
	v_cmp_eq_u32_e32 vcc, 0, v5
	v_cndmask_b32_e64 v2, 0, v2, s[28:29]
	v_mov_b32_e32 v20, 0x70
	v_cndmask_b32_e32 v20, v2, v20, vcc
	v_or_b32_e32 v21, 0x800000, v0
	v_add_u32_e32 v2, 21, v20
	v_cndmask_b32_e32 v0, v21, v0, vcc
	v_lshlrev_b64 v[21:22], v2, -1
	v_add_u32_e32 v2, 20, v20
	v_bfi_b32 v21, v21, 0, v0
	v_lshlrev_b64 v[38:39], v2, 1
	v_lshrrev_b64 v[0:1], v20, v[0:1]
	v_bfi_b32 v22, v22, 0, 0
	v_cmp_eq_u64_e64 s[28:29], v[21:22], v[38:39]
	v_mov_b32_e32 v2, v1
	v_mov_b32_e32 v1, v0
	s_and_saveexec_b64 s[38:39], s[28:29]
; %bb.23068:                            ;   in Loop: Header=BB6_20708 Depth=3
	v_bfe_u32 v1, v0, 21, 1
	v_add_co_u32_e64 v1, s[28:29], v0, v1
	v_add_co_u32_e64 v1, s[28:29], -1, v1
; %bb.23069:                            ;   in Loop: Header=BB6_20708 Depth=3
	s_or_b64 exec, exec, s[38:39]
	v_add_u32_e32 v2, 0xffffff81, v5
	v_mov_b32_e32 v5, 0xffffff82
	v_cndmask_b32_e32 v2, v2, v5, vcc
	v_lshrrev_b32_e32 v5, 23, v0
	v_add3_u32 v20, v20, v2, v5
	v_add_u32_e32 v5, 14, v20
	v_and_b32_e32 v1, 0x1fffff, v1
	v_add_u32_e32 v0, v1, v0
	v_mov_b32_e32 v1, v33
	v_cmp_ne_u32_e32 vcc, 0, v5
                                        ; implicit-def: $vgpr2
	s_and_saveexec_b64 s[28:29], vcc
	s_xor_b64 s[28:29], exec, s[28:29]
; %bb.23070:                            ;   in Loop: Header=BB6_20708 Depth=3
	v_cmp_lt_u64_e32 vcc, s[88:89], v[0:1]
	v_add_u32_e32 v2, 15, v20
	v_cndmask_b32_e32 v2, v5, v2, vcc
	v_cndmask_b32_e64 v5, 0, 1, vcc
	v_lshrrev_b64 v[0:1], v5, v[0:1]
; %bb.23071:                            ;   in Loop: Header=BB6_20708 Depth=3
	s_andn2_saveexec_b64 s[28:29], s[28:29]
; %bb.23072:                            ;   in Loop: Header=BB6_20708 Depth=3
	v_bfe_u32 v2, v0, 23, 1
; %bb.23073:                            ;   in Loop: Header=BB6_20708 Depth=3
	s_or_b64 exec, exec, s[28:29]
	v_lshrrev_b64 v[0:1], 21, v[0:1]
	v_cmp_gt_i32_e32 vcc, 32, v2
	v_cndmask_b32_e32 v1, 0, v1, vcc
	v_cndmask_b32_e32 v0, 3, v0, vcc
	v_cmp_eq_u64_e64 s[28:29], 0, v[0:1]
	v_min_i32_e32 v1, 31, v2
	v_lshlrev_b32_e32 v1, 2, v1
	v_cmp_eq_u32_e32 vcc, 0, v2
	v_and_b32_e32 v1, 0xfc, v1
	v_and_or_b32 v0, v0, 3, v1
	s_and_b64 s[28:29], vcc, s[28:29]
	v_cndmask_b32_e64 v0, v0, 0, s[28:29]
	v_or_b32_e32 v0, v0, v3
	buffer_store_dword v0, off, s[0:3], s33 offset:384 ; 4-byte Folded Spill
.LBB6_23074:                            ;   in Loop: Header=BB6_20708 Depth=3
	s_or_b64 exec, exec, s[36:37]
                                        ; implicit-def: $vgpr3
.LBB6_23075:                            ;   in Loop: Header=BB6_20708 Depth=3
	s_andn2_saveexec_b64 s[28:29], s[34:35]
	s_cbranch_execz .LBB6_23077
; %bb.23076:                            ;   in Loop: Header=BB6_20708 Depth=3
	v_or_b32_e32 v0, 0x7b, v3
	buffer_store_dword v0, off, s[0:3], s33 offset:384 ; 4-byte Folded Spill
.LBB6_23077:                            ;   in Loop: Header=BB6_20708 Depth=3
	s_or_b64 exec, exec, s[28:29]
                                        ; implicit-def: $vgpr2
                                        ; implicit-def: $vgpr0_vgpr1
.LBB6_23078:                            ;   in Loop: Header=BB6_20708 Depth=3
	s_andn2_saveexec_b64 s[28:29], s[30:31]
	s_cbranch_execz .LBB6_23084
; %bb.23079:                            ;   in Loop: Header=BB6_20708 Depth=3
	v_cmp_ne_u64_e32 vcc, 0, v[0:1]
                                        ; implicit-def: $vgpr0
                                        ; kill: killed $vgpr0
	s_and_saveexec_b64 s[62:63], vcc
	s_xor_b64 vcc, exec, s[62:63]
	s_cbranch_execz .LBB6_23081
; %bb.23080:                            ;   in Loop: Header=BB6_20708 Depth=3
	v_or_b32_sdwa v0, v2, s44 dst_sel:DWORD dst_unused:UNUSED_PAD src0_sel:BYTE_3 src1_sel:DWORD
	buffer_store_dword v0, off, s[0:3], s33 offset:384 ; 4-byte Folded Spill
                                        ; implicit-def: $vgpr2
.LBB6_23081:                            ;   in Loop: Header=BB6_20708 Depth=3
	s_andn2_saveexec_b64 s[30:31], vcc
	s_cbranch_execz .LBB6_23083
; %bb.23082:                            ;   in Loop: Header=BB6_20708 Depth=3
	v_cmp_lt_i32_e32 vcc, -1, v2
	v_bfrev_b32_e32 v0, 0.5
	v_mov_b32_e32 v1, 0x7c
	v_cndmask_b32_e32 v0, v0, v1, vcc
	buffer_store_dword v0, off, s[0:3], s33 offset:384 ; 4-byte Folded Spill
.LBB6_23083:                            ;   in Loop: Header=BB6_20708 Depth=3
	s_or_b64 exec, exec, s[30:31]
.LBB6_23084:                            ;   in Loop: Header=BB6_20708 Depth=3
	s_or_b64 exec, exec, s[28:29]
	buffer_load_dword v0, off, s[0:3], s33 offset:356 ; 4-byte Folded Reload
	buffer_load_dword v1, off, s[0:3], s33 offset:376 ; 4-byte Folded Reload
	v_cmp_ne_u32_e32 vcc, 0, v51
	v_mov_b32_e32 v2, 0
	v_mov_b32_e32 v3, 0
	s_waitcnt vmcnt(1)
	v_lshl_or_b32 v5, v0, 8, v51
	buffer_load_dword v0, off, s[0:3], s33 offset:368 ; 4-byte Folded Reload
	s_waitcnt vmcnt(1)
	v_lshlrev_b32_e32 v1, 24, v1
	s_waitcnt vmcnt(0)
	v_lshlrev_b32_e32 v0, 16, v0
	v_or3_b32 v0, v0, v1, v5
	v_mov_b32_e32 v1, v33
	s_and_saveexec_b64 s[30:31], vcc
	s_cbranch_execz .LBB6_23092
; %bb.23085:                            ;   in Loop: Header=BB6_20708 Depth=3
	v_cmp_ne_u32_e32 vcc, s97, v51
	v_bfrev_b32_e32 v3, 1
	s_and_saveexec_b64 s[34:35], vcc
	s_cbranch_execz .LBB6_23091
; %bb.23086:                            ;   in Loop: Header=BB6_20708 Depth=3
	v_and_b32_e32 v3, 0x7c, v51
	v_and_b32_e32 v7, 3, v51
	v_cmp_ne_u32_e32 vcc, s86, v3
                                        ; implicit-def: $vgpr3
	s_and_saveexec_b64 s[28:29], vcc
	s_xor_b64 s[28:29], exec, s[28:29]
	s_cbranch_execz .LBB6_23088
; %bb.23087:                            ;   in Loop: Header=BB6_20708 Depth=3
	v_ffbh_u32_e32 v20, v7
	v_min_u32_e32 v22, 32, v20
	v_subrev_u32_e32 v20, 29, v22
	v_lshlrev_b64 v[20:21], v20, v[0:1]
	v_bfe_u32 v3, v51, 2, 5
	v_sub_u32_e32 v1, 30, v22
	v_and_b32_e32 v20, 3, v20
	v_cmp_eq_u32_e32 vcc, 0, v3
	v_cndmask_b32_e32 v1, v3, v1, vcc
	v_cndmask_b32_e32 v3, v7, v20, vcc
	v_lshlrev_b32_e32 v7, 24, v51
	v_and_b32_e32 v7, 0x80000000, v7
	v_lshl_add_u32 v1, v1, 23, v7
	v_lshl_or_b32 v1, v3, 21, v1
	v_add_u32_e32 v3, 0x38000000, v1
                                        ; implicit-def: $vgpr7
                                        ; implicit-def: $vgpr51
.LBB6_23088:                            ;   in Loop: Header=BB6_20708 Depth=3
	s_andn2_saveexec_b64 s[36:37], s[28:29]
; %bb.23089:                            ;   in Loop: Header=BB6_20708 Depth=3
	v_and_b32_e32 v1, 0x80, v51
	v_cmp_eq_u32_e64 s[28:29], 0, v1
	v_mov_b32_e32 v1, 0xff800000
	v_mov_b32_e32 v3, 0x7f800000
	v_cmp_eq_u32_e32 vcc, 0, v7
	v_cndmask_b32_e64 v1, v1, v3, s[28:29]
	v_mov_b32_e32 v3, 0x7f800001
	v_cndmask_b32_e32 v3, v3, v1, vcc
; %bb.23090:                            ;   in Loop: Header=BB6_20708 Depth=3
	s_or_b64 exec, exec, s[36:37]
.LBB6_23091:                            ;   in Loop: Header=BB6_20708 Depth=3
	s_or_b64 exec, exec, s[34:35]
.LBB6_23092:                            ;   in Loop: Header=BB6_20708 Depth=3
	s_or_b64 exec, exec, s[30:31]
	v_cmp_ne_u16_sdwa s[62:63], v16, v33 src0_sel:BYTE_0 src1_sel:DWORD
	s_and_saveexec_b64 s[28:29], s[62:63]
	s_cbranch_execz .LBB6_23100
; %bb.23093:                            ;   in Loop: Header=BB6_20708 Depth=3
	v_cmp_ne_u16_sdwa s[62:63], sext(v16), s46 src0_sel:BYTE_0 src1_sel:DWORD
	v_bfrev_b32_e32 v2, 1
	s_and_saveexec_b64 s[30:31], s[62:63]
	s_cbranch_execz .LBB6_23099
; %bb.23094:                            ;   in Loop: Header=BB6_20708 Depth=3
	v_and_b32_e32 v2, 0x7c, v16
	v_and_b32_e32 v1, 3, v16
	v_cmp_ne_u32_e32 vcc, s86, v2
                                        ; implicit-def: $vgpr2
	s_and_saveexec_b64 s[62:63], vcc
	s_xor_b64 s[34:35], exec, s[62:63]
	s_cbranch_execz .LBB6_23096
; %bb.23095:                            ;   in Loop: Header=BB6_20708 Depth=3
	v_ffbh_u32_e32 v7, v1
	v_min_u32_e32 v7, 32, v7
	v_bfe_u32 v2, v16, 2, 5
	v_subrev_u32_e32 v20, 29, v7
	v_lshlrev_b64 v[20:21], v20, v[16:17]
	v_sub_u32_e32 v7, 30, v7
	v_cmp_eq_u32_e32 vcc, 0, v2
	v_cndmask_b32_e32 v2, v2, v7, vcc
	v_lshlrev_b32_e32 v7, 24, v16
	v_and_b32_e32 v20, 3, v20
	v_and_b32_e32 v7, 0x80000000, v7
	v_cndmask_b32_e32 v1, v1, v20, vcc
	v_lshl_add_u32 v2, v2, 23, v7
	v_lshl_or_b32 v1, v1, 21, v2
	v_add_u32_e32 v2, 0x38000000, v1
                                        ; implicit-def: $vgpr1
.LBB6_23096:                            ;   in Loop: Header=BB6_20708 Depth=3
	s_andn2_saveexec_b64 s[34:35], s[34:35]
; %bb.23097:                            ;   in Loop: Header=BB6_20708 Depth=3
	v_mov_b32_e32 v2, -1
	v_cmp_gt_i16_sdwa vcc, sext(v16), v2 src0_sel:BYTE_0 src1_sel:DWORD
	v_mov_b32_e32 v2, 0xff800000
	v_mov_b32_e32 v7, 0x7f800000
	v_cndmask_b32_e32 v2, v2, v7, vcc
	v_cmp_eq_u32_e32 vcc, 0, v1
	v_mov_b32_e32 v1, 0x7f800001
	v_cndmask_b32_e32 v2, v1, v2, vcc
; %bb.23098:                            ;   in Loop: Header=BB6_20708 Depth=3
	s_or_b64 exec, exec, s[34:35]
.LBB6_23099:                            ;   in Loop: Header=BB6_20708 Depth=3
	s_or_b64 exec, exec, s[30:31]
.LBB6_23100:                            ;   in Loop: Header=BB6_20708 Depth=3
	s_or_b64 exec, exec, s[28:29]
	v_add_f32_e32 v3, v3, v2
	v_and_b32_e32 v20, 0x7f800000, v3
	v_mov_b32_e32 v21, v33
	v_cmp_ne_u64_e32 vcc, s[76:77], v[20:21]
	v_and_b32_e32 v1, 0x7fffff, v3
	v_mov_b32_e32 v2, v33
                                        ; implicit-def: $vgpr7
                                        ; kill: killed $vgpr7
	s_and_saveexec_b64 s[28:29], vcc
	s_xor_b64 s[30:31], exec, s[28:29]
	s_cbranch_execz .LBB6_23114
; %bb.23101:                            ;   in Loop: Header=BB6_20708 Depth=3
	v_and_b32_e32 v20, 0x7fffffff, v3
	v_mov_b32_e32 v21, v33
	v_cmp_gt_u64_e32 vcc, s[78:79], v[20:21]
	v_and_b32_sdwa v20, v3, s97 dst_sel:DWORD dst_unused:UNUSED_PAD src0_sel:BYTE_3 src1_sel:DWORD
                                        ; implicit-def: $vgpr7
                                        ; kill: killed $vgpr7
	s_and_saveexec_b64 s[28:29], vcc
	s_xor_b64 s[34:35], exec, s[28:29]
	s_cbranch_execz .LBB6_23111
; %bb.23102:                            ;   in Loop: Header=BB6_20708 Depth=3
	v_mov_b32_e32 v7, 0
	v_cmp_ne_u32_e32 vcc, 0, v3
	buffer_store_dword v7, off, s[0:3], s33 offset:356 ; 4-byte Folded Spill
	s_and_saveexec_b64 s[36:37], vcc
	s_cbranch_execz .LBB6_23110
; %bb.23103:                            ;   in Loop: Header=BB6_20708 Depth=3
	v_bfe_u32 v7, v3, 23, 8
	v_cmp_gt_u32_e64 s[28:29], s47, v7
	v_sub_u32_e32 v3, 0x71, v7
	v_cmp_eq_u32_e32 vcc, 0, v7
	v_cndmask_b32_e64 v3, 0, v3, s[28:29]
	v_mov_b32_e32 v21, 0x70
	v_cndmask_b32_e32 v21, v3, v21, vcc
	v_or_b32_e32 v22, 0x800000, v1
	v_add_u32_e32 v3, 21, v21
	v_cndmask_b32_e32 v1, v22, v1, vcc
	v_lshlrev_b64 v[22:23], v3, -1
	v_add_u32_e32 v3, 20, v21
	v_bfi_b32 v22, v22, 0, v1
	v_lshlrev_b64 v[38:39], v3, 1
	v_lshrrev_b64 v[1:2], v21, v[1:2]
	v_bfi_b32 v23, v23, 0, 0
	v_cmp_eq_u64_e64 s[28:29], v[22:23], v[38:39]
	v_mov_b32_e32 v3, v2
	v_mov_b32_e32 v2, v1
	s_and_saveexec_b64 s[38:39], s[28:29]
; %bb.23104:                            ;   in Loop: Header=BB6_20708 Depth=3
	v_bfe_u32 v2, v1, 21, 1
	v_add_co_u32_e64 v2, s[28:29], v1, v2
	v_add_co_u32_e64 v2, s[28:29], -1, v2
; %bb.23105:                            ;   in Loop: Header=BB6_20708 Depth=3
	s_or_b64 exec, exec, s[38:39]
	v_add_u32_e32 v3, 0xffffff81, v7
	v_mov_b32_e32 v7, 0xffffff82
	v_cndmask_b32_e32 v3, v3, v7, vcc
	v_lshrrev_b32_e32 v7, 23, v1
	v_add3_u32 v21, v21, v3, v7
	v_add_u32_e32 v7, 14, v21
	v_and_b32_e32 v2, 0x1fffff, v2
	v_add_u32_e32 v1, v2, v1
	v_mov_b32_e32 v2, v33
	v_cmp_ne_u32_e32 vcc, 0, v7
                                        ; implicit-def: $vgpr3
	s_and_saveexec_b64 s[28:29], vcc
	s_xor_b64 s[28:29], exec, s[28:29]
; %bb.23106:                            ;   in Loop: Header=BB6_20708 Depth=3
	v_cmp_lt_u64_e32 vcc, s[88:89], v[1:2]
	v_add_u32_e32 v3, 15, v21
	v_cndmask_b32_e32 v3, v7, v3, vcc
	v_cndmask_b32_e64 v7, 0, 1, vcc
	v_lshrrev_b64 v[1:2], v7, v[1:2]
; %bb.23107:                            ;   in Loop: Header=BB6_20708 Depth=3
	s_andn2_saveexec_b64 s[28:29], s[28:29]
; %bb.23108:                            ;   in Loop: Header=BB6_20708 Depth=3
	v_bfe_u32 v3, v1, 23, 1
; %bb.23109:                            ;   in Loop: Header=BB6_20708 Depth=3
	s_or_b64 exec, exec, s[28:29]
	v_lshrrev_b64 v[1:2], 21, v[1:2]
	v_cmp_gt_i32_e32 vcc, 32, v3
	v_cndmask_b32_e32 v2, 0, v2, vcc
	v_cndmask_b32_e32 v1, 3, v1, vcc
	v_cmp_eq_u64_e64 s[28:29], 0, v[1:2]
	v_min_i32_e32 v2, 31, v3
	v_lshlrev_b32_e32 v2, 2, v2
	v_cmp_eq_u32_e32 vcc, 0, v3
	v_and_b32_e32 v2, 0xfc, v2
	v_and_or_b32 v1, v1, 3, v2
	s_and_b64 s[28:29], vcc, s[28:29]
	v_cndmask_b32_e64 v1, v1, 0, s[28:29]
	v_or_b32_e32 v1, v1, v20
	buffer_store_dword v1, off, s[0:3], s33 offset:356 ; 4-byte Folded Spill
.LBB6_23110:                            ;   in Loop: Header=BB6_20708 Depth=3
	s_or_b64 exec, exec, s[36:37]
                                        ; implicit-def: $vgpr20
.LBB6_23111:                            ;   in Loop: Header=BB6_20708 Depth=3
	s_andn2_saveexec_b64 s[28:29], s[34:35]
	s_cbranch_execz .LBB6_23113
; %bb.23112:                            ;   in Loop: Header=BB6_20708 Depth=3
	v_or_b32_e32 v1, 0x7b, v20
	buffer_store_dword v1, off, s[0:3], s33 offset:356 ; 4-byte Folded Spill
.LBB6_23113:                            ;   in Loop: Header=BB6_20708 Depth=3
	s_or_b64 exec, exec, s[28:29]
                                        ; implicit-def: $vgpr3
                                        ; implicit-def: $vgpr1_vgpr2
.LBB6_23114:                            ;   in Loop: Header=BB6_20708 Depth=3
	s_andn2_saveexec_b64 s[28:29], s[30:31]
	s_cbranch_execz .LBB6_23120
; %bb.23115:                            ;   in Loop: Header=BB6_20708 Depth=3
	v_cmp_ne_u64_e32 vcc, 0, v[1:2]
                                        ; implicit-def: $vgpr1
                                        ; kill: killed $vgpr1
	s_and_saveexec_b64 s[62:63], vcc
	s_xor_b64 vcc, exec, s[62:63]
	s_cbranch_execz .LBB6_23117
; %bb.23116:                            ;   in Loop: Header=BB6_20708 Depth=3
	v_or_b32_sdwa v1, v3, s44 dst_sel:DWORD dst_unused:UNUSED_PAD src0_sel:BYTE_3 src1_sel:DWORD
	buffer_store_dword v1, off, s[0:3], s33 offset:356 ; 4-byte Folded Spill
                                        ; implicit-def: $vgpr3
.LBB6_23117:                            ;   in Loop: Header=BB6_20708 Depth=3
	s_andn2_saveexec_b64 s[30:31], vcc
	s_cbranch_execz .LBB6_23119
; %bb.23118:                            ;   in Loop: Header=BB6_20708 Depth=3
	v_cmp_lt_i32_e32 vcc, -1, v3
	v_bfrev_b32_e32 v1, 0.5
	v_mov_b32_e32 v2, 0x7c
	v_cndmask_b32_e32 v1, v1, v2, vcc
	buffer_store_dword v1, off, s[0:3], s33 offset:356 ; 4-byte Folded Spill
.LBB6_23119:                            ;   in Loop: Header=BB6_20708 Depth=3
	s_or_b64 exec, exec, s[30:31]
.LBB6_23120:                            ;   in Loop: Header=BB6_20708 Depth=3
	s_or_b64 exec, exec, s[28:29]
	v_lshrrev_b16_e32 v1, 8, v5
	v_cmp_ne_u16_e32 vcc, 0, v1
	v_mov_b32_e32 v3, 0
	v_mov_b32_e32 v20, 0
	s_and_saveexec_b64 s[28:29], vcc
	s_cbranch_execz .LBB6_23128
; %bb.23121:                            ;   in Loop: Header=BB6_20708 Depth=3
	v_cmp_ne_u16_e32 vcc, s97, v1
	v_bfrev_b32_e32 v20, 1
	s_and_saveexec_b64 s[30:31], vcc
	s_cbranch_execz .LBB6_23127
; %bb.23122:                            ;   in Loop: Header=BB6_20708 Depth=3
	v_and_b32_e32 v2, 0x7c, v1
	v_and_b32_e32 v7, 3, v1
	v_cmp_ne_u32_e32 vcc, s86, v2
                                        ; implicit-def: $vgpr20
	s_and_saveexec_b64 s[62:63], vcc
	s_xor_b64 s[34:35], exec, s[62:63]
	s_cbranch_execz .LBB6_23124
; %bb.23123:                            ;   in Loop: Header=BB6_20708 Depth=3
	v_ffbh_u32_e32 v21, v7
	v_min_u32_e32 v21, 32, v21
	v_mov_b32_e32 v2, v33
	v_subrev_u32_e32 v22, 29, v21
	v_bfe_u32 v20, v1, 2, 5
	v_lshlrev_b64 v[1:2], v22, v[1:2]
	v_sub_u32_e32 v2, 30, v21
	v_cmp_eq_u32_e32 vcc, 0, v20
	v_lshlrev_b32_e32 v5, 16, v5
	v_and_b32_e32 v1, 3, v1
	v_cndmask_b32_e32 v2, v20, v2, vcc
	v_and_b32_e32 v5, 0x80000000, v5
	v_cndmask_b32_e32 v1, v7, v1, vcc
	v_lshl_add_u32 v2, v2, 23, v5
	v_lshl_or_b32 v1, v1, 21, v2
	v_add_u32_e32 v20, 0x38000000, v1
                                        ; implicit-def: $vgpr7
                                        ; implicit-def: $vgpr5
.LBB6_23124:                            ;   in Loop: Header=BB6_20708 Depth=3
	s_andn2_saveexec_b64 s[34:35], s[34:35]
; %bb.23125:                            ;   in Loop: Header=BB6_20708 Depth=3
	v_cmp_lt_i16_e32 vcc, -1, v5
	v_mov_b32_e32 v1, 0xff800000
	v_mov_b32_e32 v2, 0x7f800000
	v_cndmask_b32_e32 v1, v1, v2, vcc
	v_cmp_eq_u32_e32 vcc, 0, v7
	v_mov_b32_e32 v2, 0x7f800001
	v_cndmask_b32_e32 v20, v2, v1, vcc
; %bb.23126:                            ;   in Loop: Header=BB6_20708 Depth=3
	s_or_b64 exec, exec, s[34:35]
.LBB6_23127:                            ;   in Loop: Header=BB6_20708 Depth=3
	s_or_b64 exec, exec, s[30:31]
.LBB6_23128:                            ;   in Loop: Header=BB6_20708 Depth=3
	s_or_b64 exec, exec, s[28:29]
	v_lshrrev_b16_e32 v1, 8, v16
	v_cmp_ne_u16_e32 vcc, 0, v1
	s_and_saveexec_b64 s[28:29], vcc
	s_cbranch_execz .LBB6_23136
; %bb.23129:                            ;   in Loop: Header=BB6_20708 Depth=3
	v_cmp_ne_u16_e32 vcc, s97, v1
	v_bfrev_b32_e32 v3, 1
	s_and_saveexec_b64 s[30:31], vcc
	s_cbranch_execz .LBB6_23135
; %bb.23130:                            ;   in Loop: Header=BB6_20708 Depth=3
	v_and_b32_e32 v2, 0x7c, v1
	v_and_b32_e32 v5, 3, v1
	v_cmp_ne_u32_e32 vcc, s86, v2
                                        ; implicit-def: $vgpr3
	s_and_saveexec_b64 s[62:63], vcc
	s_xor_b64 s[34:35], exec, s[62:63]
	s_cbranch_execz .LBB6_23132
; %bb.23131:                            ;   in Loop: Header=BB6_20708 Depth=3
	v_ffbh_u32_e32 v7, v5
	v_min_u32_e32 v7, 32, v7
	v_mov_b32_e32 v2, v33
	v_subrev_u32_e32 v21, 29, v7
	v_bfe_u32 v3, v1, 2, 5
	v_lshlrev_b64 v[1:2], v21, v[1:2]
	v_sub_u32_e32 v2, 30, v7
	v_cmp_eq_u32_e32 vcc, 0, v3
	v_cndmask_b32_e32 v2, v3, v2, vcc
	v_lshlrev_b32_e32 v3, 16, v16
	v_and_b32_e32 v1, 3, v1
	v_and_b32_e32 v3, 0x80000000, v3
	v_cndmask_b32_e32 v1, v5, v1, vcc
	v_lshl_add_u32 v2, v2, 23, v3
	v_lshl_or_b32 v1, v1, 21, v2
	v_add_u32_e32 v3, 0x38000000, v1
                                        ; implicit-def: $vgpr5
.LBB6_23132:                            ;   in Loop: Header=BB6_20708 Depth=3
	s_andn2_saveexec_b64 s[34:35], s[34:35]
; %bb.23133:                            ;   in Loop: Header=BB6_20708 Depth=3
	v_cmp_lt_i16_e32 vcc, -1, v16
	v_mov_b32_e32 v1, 0xff800000
	v_mov_b32_e32 v2, 0x7f800000
	v_cndmask_b32_e32 v1, v1, v2, vcc
	v_cmp_eq_u32_e32 vcc, 0, v5
	v_mov_b32_e32 v2, 0x7f800001
	v_cndmask_b32_e32 v3, v2, v1, vcc
; %bb.23134:                            ;   in Loop: Header=BB6_20708 Depth=3
	s_or_b64 exec, exec, s[34:35]
.LBB6_23135:                            ;   in Loop: Header=BB6_20708 Depth=3
	s_or_b64 exec, exec, s[30:31]
.LBB6_23136:                            ;   in Loop: Header=BB6_20708 Depth=3
	s_or_b64 exec, exec, s[28:29]
	v_add_f32_e32 v3, v20, v3
	v_and_b32_e32 v20, 0x7f800000, v3
	v_mov_b32_e32 v21, v33
	v_cmp_ne_u64_e32 vcc, s[76:77], v[20:21]
	v_and_b32_e32 v1, 0x7fffff, v3
	v_mov_b32_e32 v2, v33
                                        ; implicit-def: $vgpr5
                                        ; kill: killed $vgpr5
	s_and_saveexec_b64 s[28:29], vcc
	s_xor_b64 s[30:31], exec, s[28:29]
	s_cbranch_execz .LBB6_23150
; %bb.23137:                            ;   in Loop: Header=BB6_20708 Depth=3
	v_and_b32_e32 v20, 0x7fffffff, v3
	v_mov_b32_e32 v21, v33
	v_cmp_gt_u64_e32 vcc, s[78:79], v[20:21]
	v_and_b32_sdwa v5, v3, s97 dst_sel:DWORD dst_unused:UNUSED_PAD src0_sel:BYTE_3 src1_sel:DWORD
                                        ; implicit-def: $vgpr7
                                        ; kill: killed $vgpr7
	s_and_saveexec_b64 s[28:29], vcc
	s_xor_b64 s[34:35], exec, s[28:29]
	s_cbranch_execz .LBB6_23147
; %bb.23138:                            ;   in Loop: Header=BB6_20708 Depth=3
	v_mov_b32_e32 v7, 0
	v_cmp_ne_u32_e32 vcc, 0, v3
	buffer_store_dword v7, off, s[0:3], s33 offset:368 ; 4-byte Folded Spill
	s_and_saveexec_b64 s[36:37], vcc
	s_cbranch_execz .LBB6_23146
; %bb.23139:                            ;   in Loop: Header=BB6_20708 Depth=3
	v_bfe_u32 v20, v3, 23, 8
	v_cmp_gt_u32_e64 s[28:29], s47, v20
	v_sub_u32_e32 v3, 0x71, v20
	v_cmp_eq_u32_e32 vcc, 0, v20
	v_cndmask_b32_e64 v3, 0, v3, s[28:29]
	v_mov_b32_e32 v21, 0x70
	v_cndmask_b32_e32 v21, v3, v21, vcc
	v_add_u32_e32 v3, 21, v21
	v_or_b32_e32 v7, 0x800000, v1
	v_lshlrev_b64 v[22:23], v3, -1
	v_cndmask_b32_e32 v1, v7, v1, vcc
	v_add_u32_e32 v3, 20, v21
	v_bfi_b32 v22, v22, 0, v1
	v_lshlrev_b64 v[38:39], v3, 1
	v_lshrrev_b64 v[1:2], v21, v[1:2]
	v_bfi_b32 v23, v23, 0, 0
	v_cmp_eq_u64_e64 s[28:29], v[22:23], v[38:39]
	v_mov_b32_e32 v3, v2
	v_mov_b32_e32 v2, v1
	s_and_saveexec_b64 s[38:39], s[28:29]
; %bb.23140:                            ;   in Loop: Header=BB6_20708 Depth=3
	v_bfe_u32 v2, v1, 21, 1
	v_add_co_u32_e64 v2, s[28:29], v1, v2
	v_add_co_u32_e64 v2, s[28:29], -1, v2
; %bb.23141:                            ;   in Loop: Header=BB6_20708 Depth=3
	s_or_b64 exec, exec, s[38:39]
	v_add_u32_e32 v3, 0xffffff81, v20
	v_mov_b32_e32 v7, 0xffffff82
	v_cndmask_b32_e32 v3, v3, v7, vcc
	v_lshrrev_b32_e32 v7, 23, v1
	v_add3_u32 v20, v21, v3, v7
	v_add_u32_e32 v7, 14, v20
	v_and_b32_e32 v2, 0x1fffff, v2
	v_add_u32_e32 v1, v2, v1
	v_mov_b32_e32 v2, v33
	v_cmp_ne_u32_e32 vcc, 0, v7
                                        ; implicit-def: $vgpr3
	s_and_saveexec_b64 s[28:29], vcc
	s_xor_b64 s[28:29], exec, s[28:29]
; %bb.23142:                            ;   in Loop: Header=BB6_20708 Depth=3
	v_cmp_lt_u64_e32 vcc, s[88:89], v[1:2]
	v_add_u32_e32 v3, 15, v20
	v_cndmask_b32_e32 v3, v7, v3, vcc
	v_cndmask_b32_e64 v7, 0, 1, vcc
	v_lshrrev_b64 v[1:2], v7, v[1:2]
; %bb.23143:                            ;   in Loop: Header=BB6_20708 Depth=3
	s_andn2_saveexec_b64 s[28:29], s[28:29]
; %bb.23144:                            ;   in Loop: Header=BB6_20708 Depth=3
	v_bfe_u32 v3, v1, 23, 1
; %bb.23145:                            ;   in Loop: Header=BB6_20708 Depth=3
	s_or_b64 exec, exec, s[28:29]
	v_lshrrev_b64 v[1:2], 21, v[1:2]
	v_cmp_gt_i32_e32 vcc, 32, v3
	v_cndmask_b32_e32 v2, 0, v2, vcc
	v_cndmask_b32_e32 v1, 3, v1, vcc
	v_cmp_eq_u64_e64 s[28:29], 0, v[1:2]
	v_min_i32_e32 v2, 31, v3
	v_lshlrev_b32_e32 v2, 2, v2
	v_cmp_eq_u32_e32 vcc, 0, v3
	v_and_b32_e32 v2, 0xfc, v2
	v_and_or_b32 v1, v1, 3, v2
	s_and_b64 s[28:29], vcc, s[28:29]
	v_cndmask_b32_e64 v1, v1, 0, s[28:29]
	v_or_b32_e32 v1, v1, v5
	buffer_store_dword v1, off, s[0:3], s33 offset:368 ; 4-byte Folded Spill
.LBB6_23146:                            ;   in Loop: Header=BB6_20708 Depth=3
	s_or_b64 exec, exec, s[36:37]
                                        ; implicit-def: $vgpr5
.LBB6_23147:                            ;   in Loop: Header=BB6_20708 Depth=3
	s_andn2_saveexec_b64 s[28:29], s[34:35]
	s_cbranch_execz .LBB6_23149
; %bb.23148:                            ;   in Loop: Header=BB6_20708 Depth=3
	v_or_b32_e32 v1, 0x7b, v5
	buffer_store_dword v1, off, s[0:3], s33 offset:368 ; 4-byte Folded Spill
.LBB6_23149:                            ;   in Loop: Header=BB6_20708 Depth=3
	s_or_b64 exec, exec, s[28:29]
                                        ; implicit-def: $vgpr3
                                        ; implicit-def: $vgpr1_vgpr2
.LBB6_23150:                            ;   in Loop: Header=BB6_20708 Depth=3
	s_andn2_saveexec_b64 s[28:29], s[30:31]
	s_cbranch_execz .LBB6_23156
; %bb.23151:                            ;   in Loop: Header=BB6_20708 Depth=3
	v_cmp_ne_u64_e32 vcc, 0, v[1:2]
                                        ; implicit-def: $vgpr1
                                        ; kill: killed $vgpr1
	s_and_saveexec_b64 s[62:63], vcc
	s_xor_b64 vcc, exec, s[62:63]
	s_cbranch_execz .LBB6_23153
; %bb.23152:                            ;   in Loop: Header=BB6_20708 Depth=3
	v_or_b32_sdwa v1, v3, s44 dst_sel:DWORD dst_unused:UNUSED_PAD src0_sel:BYTE_3 src1_sel:DWORD
	buffer_store_dword v1, off, s[0:3], s33 offset:368 ; 4-byte Folded Spill
                                        ; implicit-def: $vgpr3
.LBB6_23153:                            ;   in Loop: Header=BB6_20708 Depth=3
	s_andn2_saveexec_b64 s[30:31], vcc
	s_cbranch_execz .LBB6_23155
; %bb.23154:                            ;   in Loop: Header=BB6_20708 Depth=3
	v_cmp_lt_i32_e32 vcc, -1, v3
	v_bfrev_b32_e32 v1, 0.5
	v_mov_b32_e32 v2, 0x7c
	v_cndmask_b32_e32 v1, v1, v2, vcc
	buffer_store_dword v1, off, s[0:3], s33 offset:368 ; 4-byte Folded Spill
.LBB6_23155:                            ;   in Loop: Header=BB6_20708 Depth=3
	s_or_b64 exec, exec, s[30:31]
.LBB6_23156:                            ;   in Loop: Header=BB6_20708 Depth=3
	s_or_b64 exec, exec, s[28:29]
	v_and_b32_sdwa v5, v0, s96 dst_sel:DWORD dst_unused:UNUSED_PAD src0_sel:WORD_1 src1_sel:DWORD
	v_lshrrev_b32_e32 v1, 16, v0
	v_cmp_ne_u16_e32 vcc, 0, v5
	v_mov_b32_e32 v2, 0
	v_mov_b32_e32 v3, 0
	s_and_saveexec_b64 s[28:29], vcc
	s_cbranch_execz .LBB6_23164
; %bb.23157:                            ;   in Loop: Header=BB6_20708 Depth=3
	v_cmp_ne_u16_e32 vcc, s97, v5
	v_bfrev_b32_e32 v3, 1
	s_and_saveexec_b64 s[30:31], vcc
	s_cbranch_execz .LBB6_23163
; %bb.23158:                            ;   in Loop: Header=BB6_20708 Depth=3
	v_and_b32_e32 v3, 0x7c0000, v0
	v_bfe_u32 v5, v0, 16, 2
	v_cmp_ne_u32_e32 vcc, s45, v3
                                        ; implicit-def: $vgpr3
	s_and_saveexec_b64 s[62:63], vcc
	s_xor_b64 s[34:35], exec, s[62:63]
	s_cbranch_execz .LBB6_23160
; %bb.23159:                            ;   in Loop: Header=BB6_20708 Depth=3
	v_ffbh_u32_e32 v7, v5
	v_min_u32_e32 v7, 32, v7
	v_subrev_u32_e32 v20, 29, v7
	v_lshlrev_b64 v[20:21], v20, v[1:2]
	v_bfe_u32 v3, v0, 18, 5
	v_sub_u32_e32 v1, 30, v7
	v_and_b32_e32 v7, 3, v20
	v_cmp_eq_u32_e32 vcc, 0, v3
	v_cndmask_b32_e32 v1, v3, v1, vcc
	v_cndmask_b32_e32 v3, v5, v7, vcc
	v_lshlrev_b32_e32 v5, 8, v0
	v_and_b32_e32 v5, 0x80000000, v5
	v_lshl_add_u32 v1, v1, 23, v5
	v_lshl_or_b32 v1, v3, 21, v1
	v_add_u32_e32 v3, 0x38000000, v1
                                        ; implicit-def: $vgpr5
                                        ; implicit-def: $vgpr1
.LBB6_23160:                            ;   in Loop: Header=BB6_20708 Depth=3
	s_andn2_saveexec_b64 s[34:35], s[34:35]
; %bb.23161:                            ;   in Loop: Header=BB6_20708 Depth=3
	v_mov_b32_e32 v3, -1
	v_cmp_gt_i16_sdwa vcc, sext(v1), v3 src0_sel:BYTE_0 src1_sel:DWORD
	v_mov_b32_e32 v1, 0xff800000
	v_mov_b32_e32 v3, 0x7f800000
	v_cndmask_b32_e32 v1, v1, v3, vcc
	v_cmp_eq_u32_e32 vcc, 0, v5
	v_mov_b32_e32 v3, 0x7f800001
	v_cndmask_b32_e32 v3, v3, v1, vcc
; %bb.23162:                            ;   in Loop: Header=BB6_20708 Depth=3
	s_or_b64 exec, exec, s[34:35]
.LBB6_23163:                            ;   in Loop: Header=BB6_20708 Depth=3
	s_or_b64 exec, exec, s[30:31]
.LBB6_23164:                            ;   in Loop: Header=BB6_20708 Depth=3
	s_or_b64 exec, exec, s[28:29]
	v_lshrrev_b32_e32 v1, 16, v16
	v_cmp_ne_u16_sdwa s[62:63], v1, v33 src0_sel:BYTE_0 src1_sel:DWORD
	s_and_saveexec_b64 s[28:29], s[62:63]
	s_cbranch_execz .LBB6_23172
; %bb.23165:                            ;   in Loop: Header=BB6_20708 Depth=3
	v_cmp_ne_u16_sdwa s[62:63], v1, s97 src0_sel:BYTE_0 src1_sel:DWORD
	v_bfrev_b32_e32 v2, 1
	s_and_saveexec_b64 s[30:31], s[62:63]
	s_cbranch_execz .LBB6_23171
; %bb.23166:                            ;   in Loop: Header=BB6_20708 Depth=3
	v_and_b32_e32 v2, 0x7c0000, v16
	v_bfe_u32 v5, v16, 16, 2
	v_cmp_ne_u32_e32 vcc, s45, v2
                                        ; implicit-def: $vgpr2
	s_and_saveexec_b64 s[62:63], vcc
	s_xor_b64 s[34:35], exec, s[62:63]
	s_cbranch_execz .LBB6_23168
; %bb.23167:                            ;   in Loop: Header=BB6_20708 Depth=3
	v_ffbh_u32_e32 v2, v5
	v_min_u32_e32 v20, 32, v2
	v_subrev_u32_e32 v2, 29, v20
	v_lshlrev_b64 v[1:2], v2, v[1:2]
	v_bfe_u32 v7, v16, 18, 5
	v_and_b32_e32 v1, 3, v1
	v_cmp_eq_u32_e32 vcc, 0, v7
	v_sub_u32_e32 v2, 30, v20
	v_cndmask_b32_e32 v1, v5, v1, vcc
	v_lshlrev_b32_e32 v5, 8, v16
	v_cndmask_b32_e32 v2, v7, v2, vcc
	v_and_b32_e32 v5, 0x80000000, v5
	v_lshl_add_u32 v2, v2, 23, v5
	v_lshl_or_b32 v1, v1, 21, v2
	v_add_u32_e32 v2, 0x38000000, v1
                                        ; implicit-def: $vgpr5
                                        ; implicit-def: $vgpr1
.LBB6_23168:                            ;   in Loop: Header=BB6_20708 Depth=3
	s_andn2_saveexec_b64 s[34:35], s[34:35]
; %bb.23169:                            ;   in Loop: Header=BB6_20708 Depth=3
	v_mov_b32_e32 v2, -1
	v_cmp_gt_i16_sdwa vcc, sext(v1), v2 src0_sel:BYTE_0 src1_sel:DWORD
	v_mov_b32_e32 v1, 0xff800000
	v_mov_b32_e32 v2, 0x7f800000
	v_cndmask_b32_e32 v1, v1, v2, vcc
	v_cmp_eq_u32_e32 vcc, 0, v5
	v_mov_b32_e32 v2, 0x7f800001
	v_cndmask_b32_e32 v2, v2, v1, vcc
; %bb.23170:                            ;   in Loop: Header=BB6_20708 Depth=3
	s_or_b64 exec, exec, s[34:35]
.LBB6_23171:                            ;   in Loop: Header=BB6_20708 Depth=3
	s_or_b64 exec, exec, s[30:31]
.LBB6_23172:                            ;   in Loop: Header=BB6_20708 Depth=3
	s_or_b64 exec, exec, s[28:29]
	v_add_f32_e32 v3, v3, v2
	v_and_b32_e32 v20, 0x7f800000, v3
	v_mov_b32_e32 v21, v33
	v_cmp_ne_u64_e32 vcc, s[76:77], v[20:21]
	v_and_b32_e32 v1, 0x7fffff, v3
	v_mov_b32_e32 v2, v33
                                        ; implicit-def: $vgpr5
                                        ; kill: killed $vgpr5
	s_and_saveexec_b64 s[28:29], vcc
	s_xor_b64 s[30:31], exec, s[28:29]
	s_cbranch_execz .LBB6_23186
; %bb.23173:                            ;   in Loop: Header=BB6_20708 Depth=3
	v_and_b32_e32 v20, 0x7fffffff, v3
	v_mov_b32_e32 v21, v33
	v_cmp_gt_u64_e32 vcc, s[78:79], v[20:21]
	v_and_b32_sdwa v5, v3, s97 dst_sel:DWORD dst_unused:UNUSED_PAD src0_sel:BYTE_3 src1_sel:DWORD
                                        ; implicit-def: $vgpr7
                                        ; kill: killed $vgpr7
	s_and_saveexec_b64 s[28:29], vcc
	s_xor_b64 s[34:35], exec, s[28:29]
	s_cbranch_execz .LBB6_23183
; %bb.23174:                            ;   in Loop: Header=BB6_20708 Depth=3
	v_mov_b32_e32 v7, 0
	v_cmp_ne_u32_e32 vcc, 0, v3
	buffer_store_dword v7, off, s[0:3], s33 offset:376 ; 4-byte Folded Spill
	s_and_saveexec_b64 s[36:37], vcc
	s_cbranch_execz .LBB6_23182
; %bb.23175:                            ;   in Loop: Header=BB6_20708 Depth=3
	v_bfe_u32 v20, v3, 23, 8
	v_cmp_gt_u32_e64 s[28:29], s47, v20
	v_sub_u32_e32 v3, 0x71, v20
	v_cmp_eq_u32_e32 vcc, 0, v20
	v_cndmask_b32_e64 v3, 0, v3, s[28:29]
	v_mov_b32_e32 v21, 0x70
	v_cndmask_b32_e32 v21, v3, v21, vcc
	v_add_u32_e32 v3, 21, v21
	v_or_b32_e32 v7, 0x800000, v1
	v_lshlrev_b64 v[38:39], v3, -1
	v_cndmask_b32_e32 v1, v7, v1, vcc
	v_add_u32_e32 v3, 20, v21
	v_bfi_b32 v38, v38, 0, v1
	v_lshlrev_b64 v[49:50], v3, 1
	v_lshrrev_b64 v[1:2], v21, v[1:2]
	v_bfi_b32 v39, v39, 0, 0
	v_cmp_eq_u64_e64 s[28:29], v[38:39], v[49:50]
	v_mov_b32_e32 v3, v2
	v_mov_b32_e32 v2, v1
	s_and_saveexec_b64 s[38:39], s[28:29]
; %bb.23176:                            ;   in Loop: Header=BB6_20708 Depth=3
	v_bfe_u32 v2, v1, 21, 1
	v_add_co_u32_e64 v2, s[28:29], v1, v2
	v_add_co_u32_e64 v2, s[28:29], -1, v2
; %bb.23177:                            ;   in Loop: Header=BB6_20708 Depth=3
	s_or_b64 exec, exec, s[38:39]
	v_add_u32_e32 v3, 0xffffff81, v20
	v_mov_b32_e32 v7, 0xffffff82
	v_cndmask_b32_e32 v3, v3, v7, vcc
	v_lshrrev_b32_e32 v7, 23, v1
	v_add3_u32 v20, v21, v3, v7
	v_add_u32_e32 v7, 14, v20
	v_and_b32_e32 v2, 0x1fffff, v2
	v_add_u32_e32 v1, v2, v1
	v_mov_b32_e32 v2, v33
	v_cmp_ne_u32_e32 vcc, 0, v7
                                        ; implicit-def: $vgpr3
	s_and_saveexec_b64 s[28:29], vcc
	s_xor_b64 s[28:29], exec, s[28:29]
; %bb.23178:                            ;   in Loop: Header=BB6_20708 Depth=3
	v_cmp_lt_u64_e32 vcc, s[88:89], v[1:2]
	v_add_u32_e32 v3, 15, v20
	v_cndmask_b32_e32 v3, v7, v3, vcc
	v_cndmask_b32_e64 v7, 0, 1, vcc
	v_lshrrev_b64 v[1:2], v7, v[1:2]
; %bb.23179:                            ;   in Loop: Header=BB6_20708 Depth=3
	s_andn2_saveexec_b64 s[28:29], s[28:29]
; %bb.23180:                            ;   in Loop: Header=BB6_20708 Depth=3
	v_bfe_u32 v3, v1, 23, 1
; %bb.23181:                            ;   in Loop: Header=BB6_20708 Depth=3
	s_or_b64 exec, exec, s[28:29]
	v_lshrrev_b64 v[1:2], 21, v[1:2]
	v_cmp_gt_i32_e32 vcc, 32, v3
	v_cndmask_b32_e32 v2, 0, v2, vcc
	v_cndmask_b32_e32 v1, 3, v1, vcc
	v_cmp_eq_u64_e64 s[28:29], 0, v[1:2]
	v_min_i32_e32 v2, 31, v3
	v_lshlrev_b32_e32 v2, 2, v2
	v_cmp_eq_u32_e32 vcc, 0, v3
	v_and_b32_e32 v2, 0xfc, v2
	v_and_or_b32 v1, v1, 3, v2
	s_and_b64 s[28:29], vcc, s[28:29]
	v_cndmask_b32_e64 v1, v1, 0, s[28:29]
	v_or_b32_e32 v1, v1, v5
	buffer_store_dword v1, off, s[0:3], s33 offset:376 ; 4-byte Folded Spill
.LBB6_23182:                            ;   in Loop: Header=BB6_20708 Depth=3
	s_or_b64 exec, exec, s[36:37]
                                        ; implicit-def: $vgpr5
.LBB6_23183:                            ;   in Loop: Header=BB6_20708 Depth=3
	s_andn2_saveexec_b64 s[28:29], s[34:35]
	s_cbranch_execz .LBB6_23185
; %bb.23184:                            ;   in Loop: Header=BB6_20708 Depth=3
	v_or_b32_e32 v1, 0x7b, v5
	buffer_store_dword v1, off, s[0:3], s33 offset:376 ; 4-byte Folded Spill
.LBB6_23185:                            ;   in Loop: Header=BB6_20708 Depth=3
	s_or_b64 exec, exec, s[28:29]
                                        ; implicit-def: $vgpr3
                                        ; implicit-def: $vgpr1_vgpr2
.LBB6_23186:                            ;   in Loop: Header=BB6_20708 Depth=3
	s_andn2_saveexec_b64 s[28:29], s[30:31]
	s_cbranch_execz .LBB6_23192
; %bb.23187:                            ;   in Loop: Header=BB6_20708 Depth=3
	v_cmp_ne_u64_e32 vcc, 0, v[1:2]
                                        ; implicit-def: $vgpr1
                                        ; kill: killed $vgpr1
	s_and_saveexec_b64 s[62:63], vcc
	s_xor_b64 vcc, exec, s[62:63]
	s_cbranch_execz .LBB6_23189
; %bb.23188:                            ;   in Loop: Header=BB6_20708 Depth=3
	v_or_b32_sdwa v1, v3, s44 dst_sel:DWORD dst_unused:UNUSED_PAD src0_sel:BYTE_3 src1_sel:DWORD
	buffer_store_dword v1, off, s[0:3], s33 offset:376 ; 4-byte Folded Spill
                                        ; implicit-def: $vgpr3
.LBB6_23189:                            ;   in Loop: Header=BB6_20708 Depth=3
	s_andn2_saveexec_b64 s[30:31], vcc
	s_cbranch_execz .LBB6_23191
; %bb.23190:                            ;   in Loop: Header=BB6_20708 Depth=3
	v_cmp_lt_i32_e32 vcc, -1, v3
	v_bfrev_b32_e32 v1, 0.5
	v_mov_b32_e32 v2, 0x7c
	v_cndmask_b32_e32 v1, v1, v2, vcc
	buffer_store_dword v1, off, s[0:3], s33 offset:376 ; 4-byte Folded Spill
.LBB6_23191:                            ;   in Loop: Header=BB6_20708 Depth=3
	s_or_b64 exec, exec, s[30:31]
.LBB6_23192:                            ;   in Loop: Header=BB6_20708 Depth=3
	s_or_b64 exec, exec, s[28:29]
	v_cmp_lt_u32_e32 vcc, s57, v0
	v_mov_b32_e32 v2, 0
	v_mov_b32_e32 v3, 0
	s_and_saveexec_b64 s[28:29], vcc
	s_cbranch_execz .LBB6_23200
; %bb.23193:                            ;   in Loop: Header=BB6_20708 Depth=3
	v_lshrrev_b32_e32 v1, 24, v0
	v_cmp_ne_u32_e32 vcc, s97, v1
	v_bfrev_b32_e32 v3, 1
	s_and_saveexec_b64 s[30:31], vcc
	s_cbranch_execz .LBB6_23199
; %bb.23194:                            ;   in Loop: Header=BB6_20708 Depth=3
	v_and_b32_e32 v3, 0x7c000000, v0
	v_bfe_u32 v5, v0, 24, 2
	v_cmp_ne_u32_e32 vcc, s68, v3
                                        ; implicit-def: $vgpr3
	s_and_saveexec_b64 s[62:63], vcc
	s_xor_b64 s[34:35], exec, s[62:63]
	s_cbranch_execz .LBB6_23196
; %bb.23195:                            ;   in Loop: Header=BB6_20708 Depth=3
	v_ffbh_u32_e32 v7, v5
	v_min_u32_e32 v7, 32, v7
	v_subrev_u32_e32 v20, 29, v7
	v_bfe_u32 v3, v0, 26, 5
	v_lshlrev_b64 v[20:21], v20, v[1:2]
	v_sub_u32_e32 v1, 30, v7
	v_cmp_eq_u32_e32 vcc, 0, v3
	v_and_b32_e32 v7, 3, v20
	v_cndmask_b32_e32 v1, v3, v1, vcc
	v_and_b32_e32 v0, 0x80000000, v0
	v_cndmask_b32_e32 v3, v5, v7, vcc
	v_lshl_add_u32 v0, v1, 23, v0
	v_lshl_or_b32 v0, v3, 21, v0
	v_add_u32_e32 v3, 0x38000000, v0
                                        ; implicit-def: $vgpr5
                                        ; implicit-def: $vgpr0_vgpr1
.LBB6_23196:                            ;   in Loop: Header=BB6_20708 Depth=3
	s_andn2_saveexec_b64 s[34:35], s[34:35]
; %bb.23197:                            ;   in Loop: Header=BB6_20708 Depth=3
	v_cmp_lt_i32_e32 vcc, -1, v0
	v_mov_b32_e32 v0, 0xff800000
	v_mov_b32_e32 v1, 0x7f800000
	v_cndmask_b32_e32 v0, v0, v1, vcc
	v_cmp_eq_u32_e32 vcc, 0, v5
	v_mov_b32_e32 v1, 0x7f800001
	v_cndmask_b32_e32 v3, v1, v0, vcc
; %bb.23198:                            ;   in Loop: Header=BB6_20708 Depth=3
	s_or_b64 exec, exec, s[34:35]
.LBB6_23199:                            ;   in Loop: Header=BB6_20708 Depth=3
	s_or_b64 exec, exec, s[30:31]
.LBB6_23200:                            ;   in Loop: Header=BB6_20708 Depth=3
	s_or_b64 exec, exec, s[28:29]
	v_cmp_lt_u32_e32 vcc, s57, v16
	s_and_saveexec_b64 s[28:29], vcc
	s_cbranch_execz .LBB6_23208
; %bb.23201:                            ;   in Loop: Header=BB6_20708 Depth=3
	v_lshrrev_b32_e32 v0, 24, v16
	v_cmp_ne_u32_e32 vcc, s97, v0
	v_bfrev_b32_e32 v2, 1
	s_and_saveexec_b64 s[30:31], vcc
	s_cbranch_execz .LBB6_23207
; %bb.23202:                            ;   in Loop: Header=BB6_20708 Depth=3
	v_and_b32_e32 v2, 0x7c000000, v16
	v_bfe_u32 v1, v16, 24, 2
	v_cmp_ne_u32_e32 vcc, s68, v2
                                        ; implicit-def: $vgpr2
	s_and_saveexec_b64 s[62:63], vcc
	s_xor_b64 s[34:35], exec, s[62:63]
	s_cbranch_execz .LBB6_23204
; %bb.23203:                            ;   in Loop: Header=BB6_20708 Depth=3
	v_ffbh_u32_e32 v5, v1
	v_min_u32_e32 v5, 32, v5
	v_subrev_u32_e32 v7, 29, v5
	v_bfe_u32 v2, v16, 26, 5
	v_lshlrev_b64 v[20:21], v7, v[0:1]
	v_sub_u32_e32 v0, 30, v5
	v_cmp_eq_u32_e32 vcc, 0, v2
	v_and_b32_e32 v5, 3, v20
	v_cndmask_b32_e32 v0, v2, v0, vcc
	v_and_b32_e32 v2, 0x80000000, v16
	v_cndmask_b32_e32 v1, v1, v5, vcc
	v_lshl_add_u32 v0, v0, 23, v2
	v_lshl_or_b32 v0, v1, 21, v0
	v_add_u32_e32 v2, 0x38000000, v0
                                        ; implicit-def: $vgpr1
.LBB6_23204:                            ;   in Loop: Header=BB6_20708 Depth=3
	s_andn2_saveexec_b64 s[34:35], s[34:35]
; %bb.23205:                            ;   in Loop: Header=BB6_20708 Depth=3
	v_cmp_lt_i32_e32 vcc, -1, v16
	v_mov_b32_e32 v0, 0xff800000
	v_mov_b32_e32 v2, 0x7f800000
	v_cndmask_b32_e32 v0, v0, v2, vcc
	v_cmp_eq_u32_e32 vcc, 0, v1
	v_mov_b32_e32 v1, 0x7f800001
	v_cndmask_b32_e32 v2, v1, v0, vcc
; %bb.23206:                            ;   in Loop: Header=BB6_20708 Depth=3
	s_or_b64 exec, exec, s[34:35]
.LBB6_23207:                            ;   in Loop: Header=BB6_20708 Depth=3
	s_or_b64 exec, exec, s[30:31]
.LBB6_23208:                            ;   in Loop: Header=BB6_20708 Depth=3
	s_or_b64 exec, exec, s[28:29]
	v_add_f32_e32 v2, v3, v2
	v_and_b32_e32 v20, 0x7f800000, v2
	v_mov_b32_e32 v21, v33
	v_cmp_ne_u64_e32 vcc, s[76:77], v[20:21]
	v_and_b32_e32 v0, 0x7fffff, v2
	v_mov_b32_e32 v1, v33
                                        ; implicit-def: $vgpr3
                                        ; kill: killed $vgpr3
	s_and_saveexec_b64 s[28:29], vcc
	s_xor_b64 s[30:31], exec, s[28:29]
	s_cbranch_execz .LBB6_23222
; %bb.23209:                            ;   in Loop: Header=BB6_20708 Depth=3
	v_and_b32_e32 v20, 0x7fffffff, v2
	v_mov_b32_e32 v21, v33
	v_cmp_gt_u64_e32 vcc, s[78:79], v[20:21]
	v_and_b32_sdwa v3, v2, s97 dst_sel:DWORD dst_unused:UNUSED_PAD src0_sel:BYTE_3 src1_sel:DWORD
                                        ; implicit-def: $vgpr5
                                        ; kill: killed $vgpr5
	s_and_saveexec_b64 s[28:29], vcc
	s_xor_b64 s[34:35], exec, s[28:29]
	s_cbranch_execz .LBB6_23219
; %bb.23210:                            ;   in Loop: Header=BB6_20708 Depth=3
	v_mov_b32_e32 v5, 0
	v_cmp_ne_u32_e32 vcc, 0, v2
	buffer_store_dword v5, off, s[0:3], s33 offset:388 ; 4-byte Folded Spill
	s_and_saveexec_b64 s[36:37], vcc
	s_cbranch_execz .LBB6_23218
; %bb.23211:                            ;   in Loop: Header=BB6_20708 Depth=3
	v_bfe_u32 v5, v2, 23, 8
	v_cmp_gt_u32_e64 s[28:29], s47, v5
	v_sub_u32_e32 v2, 0x71, v5
	v_cmp_eq_u32_e32 vcc, 0, v5
	v_cndmask_b32_e64 v2, 0, v2, s[28:29]
	v_mov_b32_e32 v20, 0x70
	v_cndmask_b32_e32 v20, v2, v20, vcc
	v_add_u32_e32 v2, 21, v20
	v_or_b32_e32 v7, 0x800000, v0
	v_lshlrev_b64 v[21:22], v2, -1
	v_cndmask_b32_e32 v0, v7, v0, vcc
	v_add_u32_e32 v2, 20, v20
	v_bfi_b32 v21, v21, 0, v0
	v_lshlrev_b64 v[38:39], v2, 1
	v_lshrrev_b64 v[0:1], v20, v[0:1]
	v_bfi_b32 v22, v22, 0, 0
	v_cmp_eq_u64_e64 s[28:29], v[21:22], v[38:39]
	v_mov_b32_e32 v2, v1
	v_mov_b32_e32 v1, v0
	s_and_saveexec_b64 s[38:39], s[28:29]
; %bb.23212:                            ;   in Loop: Header=BB6_20708 Depth=3
	v_bfe_u32 v1, v0, 21, 1
	v_add_co_u32_e64 v1, s[28:29], v0, v1
	v_add_co_u32_e64 v1, s[28:29], -1, v1
; %bb.23213:                            ;   in Loop: Header=BB6_20708 Depth=3
	s_or_b64 exec, exec, s[38:39]
	v_add_u32_e32 v2, 0xffffff81, v5
	v_mov_b32_e32 v5, 0xffffff82
	v_cndmask_b32_e32 v2, v2, v5, vcc
	v_lshrrev_b32_e32 v5, 23, v0
	v_add3_u32 v7, v20, v2, v5
	v_add_u32_e32 v5, 14, v7
	v_and_b32_e32 v1, 0x1fffff, v1
	v_add_u32_e32 v0, v1, v0
	v_mov_b32_e32 v1, v33
	v_cmp_ne_u32_e32 vcc, 0, v5
                                        ; implicit-def: $vgpr2
	s_and_saveexec_b64 s[28:29], vcc
	s_xor_b64 s[28:29], exec, s[28:29]
; %bb.23214:                            ;   in Loop: Header=BB6_20708 Depth=3
	v_cmp_lt_u64_e32 vcc, s[88:89], v[0:1]
	v_add_u32_e32 v2, 15, v7
	v_cndmask_b32_e32 v2, v5, v2, vcc
	v_cndmask_b32_e64 v5, 0, 1, vcc
	v_lshrrev_b64 v[0:1], v5, v[0:1]
; %bb.23215:                            ;   in Loop: Header=BB6_20708 Depth=3
	s_andn2_saveexec_b64 s[28:29], s[28:29]
; %bb.23216:                            ;   in Loop: Header=BB6_20708 Depth=3
	v_bfe_u32 v2, v0, 23, 1
; %bb.23217:                            ;   in Loop: Header=BB6_20708 Depth=3
	s_or_b64 exec, exec, s[28:29]
	v_lshrrev_b64 v[0:1], 21, v[0:1]
	v_cmp_gt_i32_e32 vcc, 32, v2
	v_cndmask_b32_e32 v1, 0, v1, vcc
	v_cndmask_b32_e32 v0, 3, v0, vcc
	v_cmp_eq_u64_e64 s[28:29], 0, v[0:1]
	v_min_i32_e32 v1, 31, v2
	v_lshlrev_b32_e32 v1, 2, v1
	v_cmp_eq_u32_e32 vcc, 0, v2
	v_and_b32_e32 v1, 0xfc, v1
	v_and_or_b32 v0, v0, 3, v1
	s_and_b64 s[28:29], vcc, s[28:29]
	v_cndmask_b32_e64 v0, v0, 0, s[28:29]
	v_or_b32_e32 v0, v0, v3
	buffer_store_dword v0, off, s[0:3], s33 offset:388 ; 4-byte Folded Spill
.LBB6_23218:                            ;   in Loop: Header=BB6_20708 Depth=3
	s_or_b64 exec, exec, s[36:37]
                                        ; implicit-def: $vgpr3
.LBB6_23219:                            ;   in Loop: Header=BB6_20708 Depth=3
	s_andn2_saveexec_b64 s[28:29], s[34:35]
	s_cbranch_execz .LBB6_23221
; %bb.23220:                            ;   in Loop: Header=BB6_20708 Depth=3
	v_or_b32_e32 v0, 0x7b, v3
	buffer_store_dword v0, off, s[0:3], s33 offset:388 ; 4-byte Folded Spill
.LBB6_23221:                            ;   in Loop: Header=BB6_20708 Depth=3
	s_or_b64 exec, exec, s[28:29]
                                        ; implicit-def: $vgpr2
                                        ; implicit-def: $vgpr0_vgpr1
.LBB6_23222:                            ;   in Loop: Header=BB6_20708 Depth=3
	s_andn2_saveexec_b64 s[28:29], s[30:31]
	s_cbranch_execz .LBB6_23228
; %bb.23223:                            ;   in Loop: Header=BB6_20708 Depth=3
	v_cmp_ne_u64_e32 vcc, 0, v[0:1]
                                        ; implicit-def: $vgpr0
                                        ; kill: killed $vgpr0
	s_and_saveexec_b64 s[62:63], vcc
	s_xor_b64 vcc, exec, s[62:63]
	s_cbranch_execz .LBB6_23225
; %bb.23224:                            ;   in Loop: Header=BB6_20708 Depth=3
	v_or_b32_sdwa v0, v2, s44 dst_sel:DWORD dst_unused:UNUSED_PAD src0_sel:BYTE_3 src1_sel:DWORD
	buffer_store_dword v0, off, s[0:3], s33 offset:388 ; 4-byte Folded Spill
                                        ; implicit-def: $vgpr2
.LBB6_23225:                            ;   in Loop: Header=BB6_20708 Depth=3
	s_andn2_saveexec_b64 s[30:31], vcc
	s_cbranch_execz .LBB6_23227
; %bb.23226:                            ;   in Loop: Header=BB6_20708 Depth=3
	v_cmp_lt_i32_e32 vcc, -1, v2
	v_bfrev_b32_e32 v0, 0.5
	v_mov_b32_e32 v1, 0x7c
	v_cndmask_b32_e32 v0, v0, v1, vcc
	buffer_store_dword v0, off, s[0:3], s33 offset:388 ; 4-byte Folded Spill
.LBB6_23227:                            ;   in Loop: Header=BB6_20708 Depth=3
	s_or_b64 exec, exec, s[30:31]
.LBB6_23228:                            ;   in Loop: Header=BB6_20708 Depth=3
	s_or_b64 exec, exec, s[28:29]
	buffer_load_dword v0, off, s[0:3], s33 offset:340 ; 4-byte Folded Reload
	buffer_load_dword v1, off, s[0:3], s33 offset:364 ; 4-byte Folded Reload
	v_cmp_ne_u32_e32 vcc, 0, v37
	v_mov_b32_e32 v2, 0
	v_mov_b32_e32 v3, 0
	s_waitcnt vmcnt(1)
	v_lshl_or_b32 v5, v0, 8, v37
	buffer_load_dword v0, off, s[0:3], s33 offset:352 ; 4-byte Folded Reload
	s_waitcnt vmcnt(1)
	v_lshlrev_b32_e32 v1, 24, v1
	s_waitcnt vmcnt(0)
	v_lshlrev_b32_e32 v0, 16, v0
	v_or3_b32 v0, v0, v1, v5
	v_mov_b32_e32 v1, v33
	s_and_saveexec_b64 s[30:31], vcc
	s_cbranch_execz .LBB6_23236
; %bb.23229:                            ;   in Loop: Header=BB6_20708 Depth=3
	v_cmp_ne_u32_e32 vcc, s97, v37
	v_bfrev_b32_e32 v3, 1
	s_and_saveexec_b64 s[34:35], vcc
	s_cbranch_execz .LBB6_23235
; %bb.23230:                            ;   in Loop: Header=BB6_20708 Depth=3
	v_and_b32_e32 v3, 0x7c, v37
	v_and_b32_e32 v7, 3, v37
	v_cmp_ne_u32_e32 vcc, s86, v3
                                        ; implicit-def: $vgpr3
	s_and_saveexec_b64 s[28:29], vcc
	s_xor_b64 s[28:29], exec, s[28:29]
	s_cbranch_execz .LBB6_23232
; %bb.23231:                            ;   in Loop: Header=BB6_20708 Depth=3
	v_ffbh_u32_e32 v20, v7
	v_min_u32_e32 v22, 32, v20
	v_subrev_u32_e32 v20, 29, v22
	v_lshlrev_b64 v[20:21], v20, v[0:1]
	v_bfe_u32 v3, v37, 2, 5
	v_sub_u32_e32 v1, 30, v22
	v_and_b32_e32 v20, 3, v20
	v_cmp_eq_u32_e32 vcc, 0, v3
	v_cndmask_b32_e32 v1, v3, v1, vcc
	v_cndmask_b32_e32 v3, v7, v20, vcc
	v_lshlrev_b32_e32 v7, 24, v37
	v_and_b32_e32 v7, 0x80000000, v7
	v_lshl_add_u32 v1, v1, 23, v7
	v_lshl_or_b32 v1, v3, 21, v1
	v_add_u32_e32 v3, 0x38000000, v1
                                        ; implicit-def: $vgpr7
                                        ; implicit-def: $vgpr37
.LBB6_23232:                            ;   in Loop: Header=BB6_20708 Depth=3
	s_andn2_saveexec_b64 s[36:37], s[28:29]
; %bb.23233:                            ;   in Loop: Header=BB6_20708 Depth=3
	v_and_b32_e32 v1, 0x80, v37
	v_cmp_eq_u32_e64 s[28:29], 0, v1
	v_mov_b32_e32 v1, 0xff800000
	v_mov_b32_e32 v3, 0x7f800000
	v_cmp_eq_u32_e32 vcc, 0, v7
	v_cndmask_b32_e64 v1, v1, v3, s[28:29]
	v_mov_b32_e32 v3, 0x7f800001
	v_cndmask_b32_e32 v3, v3, v1, vcc
; %bb.23234:                            ;   in Loop: Header=BB6_20708 Depth=3
	s_or_b64 exec, exec, s[36:37]
.LBB6_23235:                            ;   in Loop: Header=BB6_20708 Depth=3
	s_or_b64 exec, exec, s[34:35]
.LBB6_23236:                            ;   in Loop: Header=BB6_20708 Depth=3
	s_or_b64 exec, exec, s[30:31]
	v_cmp_ne_u16_sdwa s[62:63], v17, v33 src0_sel:BYTE_0 src1_sel:DWORD
	s_and_saveexec_b64 s[28:29], s[62:63]
	s_cbranch_execz .LBB6_23244
; %bb.23237:                            ;   in Loop: Header=BB6_20708 Depth=3
	v_cmp_ne_u16_sdwa s[62:63], v17, s97 src0_sel:BYTE_0 src1_sel:DWORD
	v_bfrev_b32_e32 v2, 1
	s_and_saveexec_b64 s[30:31], s[62:63]
	s_cbranch_execz .LBB6_23243
; %bb.23238:                            ;   in Loop: Header=BB6_20708 Depth=3
	v_and_b32_e32 v2, 0x7c, v17
	v_and_b32_e32 v1, 3, v17
	v_cmp_ne_u32_e32 vcc, s86, v2
                                        ; implicit-def: $vgpr2
	s_and_saveexec_b64 s[62:63], vcc
	s_xor_b64 s[34:35], exec, s[62:63]
	s_cbranch_execz .LBB6_23240
; %bb.23239:                            ;   in Loop: Header=BB6_20708 Depth=3
	v_ffbh_u32_e32 v7, v1
	v_min_u32_e32 v7, 32, v7
	v_mov_b32_e32 v20, v17
	v_mov_b32_e32 v21, v33
	v_bfe_u32 v2, v17, 2, 5
	v_subrev_u32_e32 v22, 29, v7
	v_lshlrev_b64 v[20:21], v22, v[20:21]
	v_sub_u32_e32 v7, 30, v7
	v_cmp_eq_u32_e32 vcc, 0, v2
	v_cndmask_b32_e32 v2, v2, v7, vcc
	v_lshlrev_b32_e32 v7, 24, v17
	v_and_b32_e32 v20, 3, v20
	v_and_b32_e32 v7, 0x80000000, v7
	v_cndmask_b32_e32 v1, v1, v20, vcc
	v_lshl_add_u32 v2, v2, 23, v7
	v_lshl_or_b32 v1, v1, 21, v2
	v_add_u32_e32 v2, 0x38000000, v1
                                        ; implicit-def: $vgpr1
.LBB6_23240:                            ;   in Loop: Header=BB6_20708 Depth=3
	s_andn2_saveexec_b64 s[34:35], s[34:35]
; %bb.23241:                            ;   in Loop: Header=BB6_20708 Depth=3
	v_mov_b32_e32 v2, -1
	v_cmp_gt_i16_sdwa vcc, sext(v17), v2 src0_sel:BYTE_0 src1_sel:DWORD
	v_mov_b32_e32 v2, 0xff800000
	v_mov_b32_e32 v7, 0x7f800000
	v_cndmask_b32_e32 v2, v2, v7, vcc
	v_cmp_eq_u32_e32 vcc, 0, v1
	v_mov_b32_e32 v1, 0x7f800001
	v_cndmask_b32_e32 v2, v1, v2, vcc
; %bb.23242:                            ;   in Loop: Header=BB6_20708 Depth=3
	s_or_b64 exec, exec, s[34:35]
.LBB6_23243:                            ;   in Loop: Header=BB6_20708 Depth=3
	s_or_b64 exec, exec, s[30:31]
.LBB6_23244:                            ;   in Loop: Header=BB6_20708 Depth=3
	s_or_b64 exec, exec, s[28:29]
	v_add_f32_e32 v3, v3, v2
	v_and_b32_e32 v20, 0x7f800000, v3
	v_mov_b32_e32 v21, v33
	v_cmp_ne_u64_e32 vcc, s[76:77], v[20:21]
	v_and_b32_e32 v1, 0x7fffff, v3
	v_mov_b32_e32 v2, v33
                                        ; implicit-def: $vgpr7
                                        ; kill: killed $vgpr7
	s_and_saveexec_b64 s[28:29], vcc
	s_xor_b64 s[30:31], exec, s[28:29]
	s_cbranch_execz .LBB6_23258
; %bb.23245:                            ;   in Loop: Header=BB6_20708 Depth=3
	v_and_b32_e32 v20, 0x7fffffff, v3
	v_mov_b32_e32 v21, v33
	v_cmp_gt_u64_e32 vcc, s[78:79], v[20:21]
	v_and_b32_sdwa v20, v3, s97 dst_sel:DWORD dst_unused:UNUSED_PAD src0_sel:BYTE_3 src1_sel:DWORD
                                        ; implicit-def: $vgpr7
                                        ; kill: killed $vgpr7
	s_and_saveexec_b64 s[28:29], vcc
	s_xor_b64 s[34:35], exec, s[28:29]
	s_cbranch_execz .LBB6_23255
; %bb.23246:                            ;   in Loop: Header=BB6_20708 Depth=3
	v_mov_b32_e32 v7, 0
	v_cmp_ne_u32_e32 vcc, 0, v3
	buffer_store_dword v7, off, s[0:3], s33 offset:340 ; 4-byte Folded Spill
	s_and_saveexec_b64 s[36:37], vcc
	s_cbranch_execz .LBB6_23254
; %bb.23247:                            ;   in Loop: Header=BB6_20708 Depth=3
	v_bfe_u32 v21, v3, 23, 8
	v_cmp_gt_u32_e64 s[28:29], s47, v21
	v_sub_u32_e32 v3, 0x71, v21
	v_cmp_eq_u32_e32 vcc, 0, v21
	v_cndmask_b32_e64 v3, 0, v3, s[28:29]
	v_mov_b32_e32 v22, 0x70
	v_cndmask_b32_e32 v22, v3, v22, vcc
	v_add_u32_e32 v3, 21, v22
	v_or_b32_e32 v7, 0x800000, v1
	v_lshlrev_b64 v[36:37], v3, -1
	v_cndmask_b32_e32 v1, v7, v1, vcc
	v_add_u32_e32 v3, 20, v22
	v_bfi_b32 v36, v36, 0, v1
	v_lshlrev_b64 v[38:39], v3, 1
	v_lshrrev_b64 v[1:2], v22, v[1:2]
	v_bfi_b32 v37, v37, 0, 0
	v_cmp_eq_u64_e64 s[28:29], v[36:37], v[38:39]
	v_mov_b32_e32 v3, v2
	v_mov_b32_e32 v2, v1
	s_and_saveexec_b64 s[38:39], s[28:29]
; %bb.23248:                            ;   in Loop: Header=BB6_20708 Depth=3
	v_bfe_u32 v2, v1, 21, 1
	v_add_co_u32_e64 v2, s[28:29], v1, v2
	v_add_co_u32_e64 v2, s[28:29], -1, v2
; %bb.23249:                            ;   in Loop: Header=BB6_20708 Depth=3
	s_or_b64 exec, exec, s[38:39]
	v_add_u32_e32 v3, 0xffffff81, v21
	v_mov_b32_e32 v7, 0xffffff82
	v_cndmask_b32_e32 v3, v3, v7, vcc
	v_lshrrev_b32_e32 v7, 23, v1
	v_add3_u32 v21, v22, v3, v7
	v_add_u32_e32 v7, 14, v21
	v_and_b32_e32 v2, 0x1fffff, v2
	v_add_u32_e32 v1, v2, v1
	v_mov_b32_e32 v2, v33
	v_cmp_ne_u32_e32 vcc, 0, v7
                                        ; implicit-def: $vgpr3
	s_and_saveexec_b64 s[28:29], vcc
	s_xor_b64 s[28:29], exec, s[28:29]
; %bb.23250:                            ;   in Loop: Header=BB6_20708 Depth=3
	v_cmp_lt_u64_e32 vcc, s[88:89], v[1:2]
	v_add_u32_e32 v3, 15, v21
	v_cndmask_b32_e32 v3, v7, v3, vcc
	v_cndmask_b32_e64 v7, 0, 1, vcc
	v_lshrrev_b64 v[1:2], v7, v[1:2]
; %bb.23251:                            ;   in Loop: Header=BB6_20708 Depth=3
	s_andn2_saveexec_b64 s[28:29], s[28:29]
; %bb.23252:                            ;   in Loop: Header=BB6_20708 Depth=3
	v_bfe_u32 v3, v1, 23, 1
; %bb.23253:                            ;   in Loop: Header=BB6_20708 Depth=3
	s_or_b64 exec, exec, s[28:29]
	v_lshrrev_b64 v[1:2], 21, v[1:2]
	v_cmp_gt_i32_e32 vcc, 32, v3
	v_cndmask_b32_e32 v2, 0, v2, vcc
	v_cndmask_b32_e32 v1, 3, v1, vcc
	v_cmp_eq_u64_e64 s[28:29], 0, v[1:2]
	v_min_i32_e32 v2, 31, v3
	v_lshlrev_b32_e32 v2, 2, v2
	v_cmp_eq_u32_e32 vcc, 0, v3
	v_and_b32_e32 v2, 0xfc, v2
	v_and_or_b32 v1, v1, 3, v2
	s_and_b64 s[28:29], vcc, s[28:29]
	v_cndmask_b32_e64 v1, v1, 0, s[28:29]
	v_or_b32_e32 v1, v1, v20
	buffer_store_dword v1, off, s[0:3], s33 offset:340 ; 4-byte Folded Spill
.LBB6_23254:                            ;   in Loop: Header=BB6_20708 Depth=3
	s_or_b64 exec, exec, s[36:37]
                                        ; implicit-def: $vgpr20
.LBB6_23255:                            ;   in Loop: Header=BB6_20708 Depth=3
	s_andn2_saveexec_b64 s[28:29], s[34:35]
	s_cbranch_execz .LBB6_23257
; %bb.23256:                            ;   in Loop: Header=BB6_20708 Depth=3
	v_or_b32_e32 v1, 0x7b, v20
	buffer_store_dword v1, off, s[0:3], s33 offset:340 ; 4-byte Folded Spill
.LBB6_23257:                            ;   in Loop: Header=BB6_20708 Depth=3
	s_or_b64 exec, exec, s[28:29]
                                        ; implicit-def: $vgpr3
                                        ; implicit-def: $vgpr1_vgpr2
.LBB6_23258:                            ;   in Loop: Header=BB6_20708 Depth=3
	s_andn2_saveexec_b64 s[28:29], s[30:31]
	s_cbranch_execz .LBB6_23264
; %bb.23259:                            ;   in Loop: Header=BB6_20708 Depth=3
	v_cmp_ne_u64_e32 vcc, 0, v[1:2]
                                        ; implicit-def: $vgpr1
                                        ; kill: killed $vgpr1
	s_and_saveexec_b64 s[62:63], vcc
	s_xor_b64 vcc, exec, s[62:63]
	s_cbranch_execz .LBB6_23261
; %bb.23260:                            ;   in Loop: Header=BB6_20708 Depth=3
	v_or_b32_sdwa v1, v3, s44 dst_sel:DWORD dst_unused:UNUSED_PAD src0_sel:BYTE_3 src1_sel:DWORD
	buffer_store_dword v1, off, s[0:3], s33 offset:340 ; 4-byte Folded Spill
                                        ; implicit-def: $vgpr3
.LBB6_23261:                            ;   in Loop: Header=BB6_20708 Depth=3
	s_andn2_saveexec_b64 s[30:31], vcc
	s_cbranch_execz .LBB6_23263
; %bb.23262:                            ;   in Loop: Header=BB6_20708 Depth=3
	v_cmp_lt_i32_e32 vcc, -1, v3
	v_bfrev_b32_e32 v1, 0.5
	v_mov_b32_e32 v2, 0x7c
	v_cndmask_b32_e32 v1, v1, v2, vcc
	buffer_store_dword v1, off, s[0:3], s33 offset:340 ; 4-byte Folded Spill
.LBB6_23263:                            ;   in Loop: Header=BB6_20708 Depth=3
	s_or_b64 exec, exec, s[30:31]
.LBB6_23264:                            ;   in Loop: Header=BB6_20708 Depth=3
	s_or_b64 exec, exec, s[28:29]
	v_lshrrev_b16_e32 v1, 8, v5
	v_cmp_ne_u16_e32 vcc, 0, v1
	v_mov_b32_e32 v3, 0
	v_mov_b32_e32 v20, 0
	s_and_saveexec_b64 s[28:29], vcc
	s_cbranch_execz .LBB6_23272
; %bb.23265:                            ;   in Loop: Header=BB6_20708 Depth=3
	v_cmp_ne_u16_e32 vcc, s97, v1
	v_bfrev_b32_e32 v20, 1
	s_and_saveexec_b64 s[30:31], vcc
	s_cbranch_execz .LBB6_23271
; %bb.23266:                            ;   in Loop: Header=BB6_20708 Depth=3
	v_and_b32_e32 v2, 0x7c, v1
	v_and_b32_e32 v7, 3, v1
	v_cmp_ne_u32_e32 vcc, s86, v2
                                        ; implicit-def: $vgpr20
	s_and_saveexec_b64 s[62:63], vcc
	s_xor_b64 s[34:35], exec, s[62:63]
	s_cbranch_execz .LBB6_23268
; %bb.23267:                            ;   in Loop: Header=BB6_20708 Depth=3
	v_ffbh_u32_e32 v21, v7
	v_min_u32_e32 v21, 32, v21
	v_mov_b32_e32 v2, v33
	v_subrev_u32_e32 v22, 29, v21
	v_bfe_u32 v20, v1, 2, 5
	v_lshlrev_b64 v[1:2], v22, v[1:2]
	v_sub_u32_e32 v2, 30, v21
	v_cmp_eq_u32_e32 vcc, 0, v20
	v_lshlrev_b32_e32 v5, 16, v5
	v_and_b32_e32 v1, 3, v1
	v_cndmask_b32_e32 v2, v20, v2, vcc
	v_and_b32_e32 v5, 0x80000000, v5
	v_cndmask_b32_e32 v1, v7, v1, vcc
	v_lshl_add_u32 v2, v2, 23, v5
	v_lshl_or_b32 v1, v1, 21, v2
	v_add_u32_e32 v20, 0x38000000, v1
                                        ; implicit-def: $vgpr7
                                        ; implicit-def: $vgpr5
.LBB6_23268:                            ;   in Loop: Header=BB6_20708 Depth=3
	s_andn2_saveexec_b64 s[34:35], s[34:35]
; %bb.23269:                            ;   in Loop: Header=BB6_20708 Depth=3
	v_cmp_lt_i16_e32 vcc, -1, v5
	v_mov_b32_e32 v1, 0xff800000
	v_mov_b32_e32 v2, 0x7f800000
	v_cndmask_b32_e32 v1, v1, v2, vcc
	v_cmp_eq_u32_e32 vcc, 0, v7
	v_mov_b32_e32 v2, 0x7f800001
	v_cndmask_b32_e32 v20, v2, v1, vcc
; %bb.23270:                            ;   in Loop: Header=BB6_20708 Depth=3
	s_or_b64 exec, exec, s[34:35]
.LBB6_23271:                            ;   in Loop: Header=BB6_20708 Depth=3
	s_or_b64 exec, exec, s[30:31]
.LBB6_23272:                            ;   in Loop: Header=BB6_20708 Depth=3
	s_or_b64 exec, exec, s[28:29]
	v_lshrrev_b16_e32 v1, 8, v17
	v_cmp_ne_u16_e32 vcc, 0, v1
	s_and_saveexec_b64 s[28:29], vcc
	s_cbranch_execz .LBB6_23280
; %bb.23273:                            ;   in Loop: Header=BB6_20708 Depth=3
	v_cmp_ne_u16_e32 vcc, s97, v1
	v_bfrev_b32_e32 v3, 1
	s_and_saveexec_b64 s[30:31], vcc
	s_cbranch_execz .LBB6_23279
; %bb.23274:                            ;   in Loop: Header=BB6_20708 Depth=3
	v_and_b32_e32 v2, 0x7c, v1
	v_and_b32_e32 v5, 3, v1
	v_cmp_ne_u32_e32 vcc, s86, v2
                                        ; implicit-def: $vgpr3
	s_and_saveexec_b64 s[62:63], vcc
	s_xor_b64 s[34:35], exec, s[62:63]
	s_cbranch_execz .LBB6_23276
; %bb.23275:                            ;   in Loop: Header=BB6_20708 Depth=3
	v_ffbh_u32_e32 v7, v5
	v_min_u32_e32 v7, 32, v7
	v_mov_b32_e32 v2, v33
	v_subrev_u32_e32 v21, 29, v7
	v_bfe_u32 v3, v1, 2, 5
	v_lshlrev_b64 v[1:2], v21, v[1:2]
	v_sub_u32_e32 v2, 30, v7
	v_cmp_eq_u32_e32 vcc, 0, v3
	v_cndmask_b32_e32 v2, v3, v2, vcc
	v_lshlrev_b32_e32 v3, 16, v17
	v_and_b32_e32 v1, 3, v1
	v_and_b32_e32 v3, 0x80000000, v3
	v_cndmask_b32_e32 v1, v5, v1, vcc
	v_lshl_add_u32 v2, v2, 23, v3
	v_lshl_or_b32 v1, v1, 21, v2
	v_add_u32_e32 v3, 0x38000000, v1
                                        ; implicit-def: $vgpr5
.LBB6_23276:                            ;   in Loop: Header=BB6_20708 Depth=3
	s_andn2_saveexec_b64 s[34:35], s[34:35]
; %bb.23277:                            ;   in Loop: Header=BB6_20708 Depth=3
	v_cmp_lt_i16_e32 vcc, -1, v17
	v_mov_b32_e32 v1, 0xff800000
	v_mov_b32_e32 v2, 0x7f800000
	v_cndmask_b32_e32 v1, v1, v2, vcc
	v_cmp_eq_u32_e32 vcc, 0, v5
	v_mov_b32_e32 v2, 0x7f800001
	v_cndmask_b32_e32 v3, v2, v1, vcc
; %bb.23278:                            ;   in Loop: Header=BB6_20708 Depth=3
	s_or_b64 exec, exec, s[34:35]
.LBB6_23279:                            ;   in Loop: Header=BB6_20708 Depth=3
	s_or_b64 exec, exec, s[30:31]
.LBB6_23280:                            ;   in Loop: Header=BB6_20708 Depth=3
	s_or_b64 exec, exec, s[28:29]
	v_add_f32_e32 v3, v20, v3
	v_and_b32_e32 v20, 0x7f800000, v3
	v_mov_b32_e32 v21, v33
	v_cmp_ne_u64_e32 vcc, s[76:77], v[20:21]
	v_and_b32_e32 v1, 0x7fffff, v3
	v_mov_b32_e32 v2, v33
                                        ; implicit-def: $vgpr5
                                        ; kill: killed $vgpr5
	s_and_saveexec_b64 s[28:29], vcc
	s_xor_b64 s[30:31], exec, s[28:29]
	s_cbranch_execz .LBB6_23294
; %bb.23281:                            ;   in Loop: Header=BB6_20708 Depth=3
	v_and_b32_e32 v20, 0x7fffffff, v3
	v_mov_b32_e32 v21, v33
	v_cmp_gt_u64_e32 vcc, s[78:79], v[20:21]
	v_and_b32_sdwa v5, v3, s97 dst_sel:DWORD dst_unused:UNUSED_PAD src0_sel:BYTE_3 src1_sel:DWORD
                                        ; implicit-def: $vgpr7
                                        ; kill: killed $vgpr7
	s_and_saveexec_b64 s[28:29], vcc
	s_xor_b64 s[34:35], exec, s[28:29]
	s_cbranch_execz .LBB6_23291
; %bb.23282:                            ;   in Loop: Header=BB6_20708 Depth=3
	v_mov_b32_e32 v7, 0
	v_cmp_ne_u32_e32 vcc, 0, v3
	buffer_store_dword v7, off, s[0:3], s33 offset:352 ; 4-byte Folded Spill
	s_and_saveexec_b64 s[36:37], vcc
	s_cbranch_execz .LBB6_23290
; %bb.23283:                            ;   in Loop: Header=BB6_20708 Depth=3
	v_bfe_u32 v20, v3, 23, 8
	v_cmp_gt_u32_e64 s[28:29], s47, v20
	v_sub_u32_e32 v3, 0x71, v20
	v_cmp_eq_u32_e32 vcc, 0, v20
	v_cndmask_b32_e64 v3, 0, v3, s[28:29]
	v_mov_b32_e32 v21, 0x70
	v_cndmask_b32_e32 v21, v3, v21, vcc
	v_add_u32_e32 v3, 21, v21
	v_or_b32_e32 v7, 0x800000, v1
	v_lshlrev_b64 v[37:38], v3, -1
	v_cndmask_b32_e32 v1, v7, v1, vcc
	v_add_u32_e32 v3, 20, v21
	v_bfi_b32 v37, v37, 0, v1
	v_lshlrev_b64 v[49:50], v3, 1
	v_lshrrev_b64 v[1:2], v21, v[1:2]
	v_bfi_b32 v38, v38, 0, 0
	v_cmp_eq_u64_e64 s[28:29], v[37:38], v[49:50]
	v_mov_b32_e32 v3, v2
	v_mov_b32_e32 v2, v1
	s_and_saveexec_b64 s[38:39], s[28:29]
; %bb.23284:                            ;   in Loop: Header=BB6_20708 Depth=3
	v_bfe_u32 v2, v1, 21, 1
	v_add_co_u32_e64 v2, s[28:29], v1, v2
	v_add_co_u32_e64 v2, s[28:29], -1, v2
; %bb.23285:                            ;   in Loop: Header=BB6_20708 Depth=3
	s_or_b64 exec, exec, s[38:39]
	v_add_u32_e32 v3, 0xffffff81, v20
	v_mov_b32_e32 v7, 0xffffff82
	v_cndmask_b32_e32 v3, v3, v7, vcc
	v_lshrrev_b32_e32 v7, 23, v1
	v_add3_u32 v20, v21, v3, v7
	v_add_u32_e32 v7, 14, v20
	v_and_b32_e32 v2, 0x1fffff, v2
	v_add_u32_e32 v1, v2, v1
	v_mov_b32_e32 v2, v33
	v_cmp_ne_u32_e32 vcc, 0, v7
                                        ; implicit-def: $vgpr3
	s_and_saveexec_b64 s[28:29], vcc
	s_xor_b64 s[28:29], exec, s[28:29]
; %bb.23286:                            ;   in Loop: Header=BB6_20708 Depth=3
	v_cmp_lt_u64_e32 vcc, s[88:89], v[1:2]
	v_add_u32_e32 v3, 15, v20
	v_cndmask_b32_e32 v3, v7, v3, vcc
	v_cndmask_b32_e64 v7, 0, 1, vcc
	v_lshrrev_b64 v[1:2], v7, v[1:2]
; %bb.23287:                            ;   in Loop: Header=BB6_20708 Depth=3
	s_andn2_saveexec_b64 s[28:29], s[28:29]
; %bb.23288:                            ;   in Loop: Header=BB6_20708 Depth=3
	v_bfe_u32 v3, v1, 23, 1
; %bb.23289:                            ;   in Loop: Header=BB6_20708 Depth=3
	s_or_b64 exec, exec, s[28:29]
	v_lshrrev_b64 v[1:2], 21, v[1:2]
	v_cmp_gt_i32_e32 vcc, 32, v3
	v_cndmask_b32_e32 v2, 0, v2, vcc
	v_cndmask_b32_e32 v1, 3, v1, vcc
	v_cmp_eq_u64_e64 s[28:29], 0, v[1:2]
	v_min_i32_e32 v2, 31, v3
	v_lshlrev_b32_e32 v2, 2, v2
	v_cmp_eq_u32_e32 vcc, 0, v3
	v_and_b32_e32 v2, 0xfc, v2
	v_and_or_b32 v1, v1, 3, v2
	s_and_b64 s[28:29], vcc, s[28:29]
	v_cndmask_b32_e64 v1, v1, 0, s[28:29]
	v_or_b32_e32 v1, v1, v5
	buffer_store_dword v1, off, s[0:3], s33 offset:352 ; 4-byte Folded Spill
.LBB6_23290:                            ;   in Loop: Header=BB6_20708 Depth=3
	s_or_b64 exec, exec, s[36:37]
                                        ; implicit-def: $vgpr5
.LBB6_23291:                            ;   in Loop: Header=BB6_20708 Depth=3
	s_andn2_saveexec_b64 s[28:29], s[34:35]
	s_cbranch_execz .LBB6_23293
; %bb.23292:                            ;   in Loop: Header=BB6_20708 Depth=3
	v_or_b32_e32 v1, 0x7b, v5
	buffer_store_dword v1, off, s[0:3], s33 offset:352 ; 4-byte Folded Spill
.LBB6_23293:                            ;   in Loop: Header=BB6_20708 Depth=3
	s_or_b64 exec, exec, s[28:29]
                                        ; implicit-def: $vgpr3
                                        ; implicit-def: $vgpr1_vgpr2
.LBB6_23294:                            ;   in Loop: Header=BB6_20708 Depth=3
	s_andn2_saveexec_b64 s[28:29], s[30:31]
	s_cbranch_execz .LBB6_23300
; %bb.23295:                            ;   in Loop: Header=BB6_20708 Depth=3
	v_cmp_ne_u64_e32 vcc, 0, v[1:2]
                                        ; implicit-def: $vgpr1
                                        ; kill: killed $vgpr1
	s_and_saveexec_b64 s[62:63], vcc
	s_xor_b64 vcc, exec, s[62:63]
	s_cbranch_execz .LBB6_23297
; %bb.23296:                            ;   in Loop: Header=BB6_20708 Depth=3
	v_or_b32_sdwa v1, v3, s44 dst_sel:DWORD dst_unused:UNUSED_PAD src0_sel:BYTE_3 src1_sel:DWORD
	buffer_store_dword v1, off, s[0:3], s33 offset:352 ; 4-byte Folded Spill
                                        ; implicit-def: $vgpr3
.LBB6_23297:                            ;   in Loop: Header=BB6_20708 Depth=3
	s_andn2_saveexec_b64 s[30:31], vcc
	s_cbranch_execz .LBB6_23299
; %bb.23298:                            ;   in Loop: Header=BB6_20708 Depth=3
	v_cmp_lt_i32_e32 vcc, -1, v3
	v_bfrev_b32_e32 v1, 0.5
	v_mov_b32_e32 v2, 0x7c
	v_cndmask_b32_e32 v1, v1, v2, vcc
	buffer_store_dword v1, off, s[0:3], s33 offset:352 ; 4-byte Folded Spill
.LBB6_23299:                            ;   in Loop: Header=BB6_20708 Depth=3
	s_or_b64 exec, exec, s[30:31]
.LBB6_23300:                            ;   in Loop: Header=BB6_20708 Depth=3
	s_or_b64 exec, exec, s[28:29]
	v_and_b32_sdwa v5, v0, s96 dst_sel:DWORD dst_unused:UNUSED_PAD src0_sel:WORD_1 src1_sel:DWORD
	v_lshrrev_b32_e32 v1, 16, v0
	v_cmp_ne_u16_e32 vcc, 0, v5
	v_mov_b32_e32 v2, 0
	v_mov_b32_e32 v3, 0
	s_and_saveexec_b64 s[28:29], vcc
	s_cbranch_execz .LBB6_23308
; %bb.23301:                            ;   in Loop: Header=BB6_20708 Depth=3
	v_cmp_ne_u16_e32 vcc, s97, v5
	v_bfrev_b32_e32 v3, 1
	s_and_saveexec_b64 s[30:31], vcc
	s_cbranch_execz .LBB6_23307
; %bb.23302:                            ;   in Loop: Header=BB6_20708 Depth=3
	v_and_b32_e32 v3, 0x7c0000, v0
	v_bfe_u32 v5, v0, 16, 2
	v_cmp_ne_u32_e32 vcc, s45, v3
                                        ; implicit-def: $vgpr3
	s_and_saveexec_b64 s[62:63], vcc
	s_xor_b64 s[34:35], exec, s[62:63]
	s_cbranch_execz .LBB6_23304
; %bb.23303:                            ;   in Loop: Header=BB6_20708 Depth=3
	v_ffbh_u32_e32 v7, v5
	v_min_u32_e32 v7, 32, v7
	v_subrev_u32_e32 v20, 29, v7
	v_lshlrev_b64 v[20:21], v20, v[1:2]
	v_bfe_u32 v3, v0, 18, 5
	v_sub_u32_e32 v1, 30, v7
	v_and_b32_e32 v7, 3, v20
	v_cmp_eq_u32_e32 vcc, 0, v3
	v_cndmask_b32_e32 v1, v3, v1, vcc
	v_cndmask_b32_e32 v3, v5, v7, vcc
	v_lshlrev_b32_e32 v5, 8, v0
	v_and_b32_e32 v5, 0x80000000, v5
	v_lshl_add_u32 v1, v1, 23, v5
	v_lshl_or_b32 v1, v3, 21, v1
	v_add_u32_e32 v3, 0x38000000, v1
                                        ; implicit-def: $vgpr5
                                        ; implicit-def: $vgpr1
.LBB6_23304:                            ;   in Loop: Header=BB6_20708 Depth=3
	s_andn2_saveexec_b64 s[34:35], s[34:35]
; %bb.23305:                            ;   in Loop: Header=BB6_20708 Depth=3
	v_mov_b32_e32 v3, -1
	v_cmp_gt_i16_sdwa vcc, sext(v1), v3 src0_sel:BYTE_0 src1_sel:DWORD
	v_mov_b32_e32 v1, 0xff800000
	v_mov_b32_e32 v3, 0x7f800000
	v_cndmask_b32_e32 v1, v1, v3, vcc
	v_cmp_eq_u32_e32 vcc, 0, v5
	v_mov_b32_e32 v3, 0x7f800001
	v_cndmask_b32_e32 v3, v3, v1, vcc
; %bb.23306:                            ;   in Loop: Header=BB6_20708 Depth=3
	s_or_b64 exec, exec, s[34:35]
.LBB6_23307:                            ;   in Loop: Header=BB6_20708 Depth=3
	s_or_b64 exec, exec, s[30:31]
.LBB6_23308:                            ;   in Loop: Header=BB6_20708 Depth=3
	s_or_b64 exec, exec, s[28:29]
	v_lshrrev_b32_e32 v1, 16, v17
	v_cmp_ne_u16_sdwa s[62:63], v1, v33 src0_sel:BYTE_0 src1_sel:DWORD
	s_and_saveexec_b64 s[28:29], s[62:63]
	s_cbranch_execz .LBB6_23316
; %bb.23309:                            ;   in Loop: Header=BB6_20708 Depth=3
	v_cmp_ne_u16_sdwa s[62:63], v1, s97 src0_sel:BYTE_0 src1_sel:DWORD
	v_bfrev_b32_e32 v2, 1
	s_and_saveexec_b64 s[30:31], s[62:63]
	s_cbranch_execz .LBB6_23315
; %bb.23310:                            ;   in Loop: Header=BB6_20708 Depth=3
	v_and_b32_e32 v2, 0x7c0000, v17
	v_bfe_u32 v5, v17, 16, 2
	v_cmp_ne_u32_e32 vcc, s45, v2
                                        ; implicit-def: $vgpr2
	s_and_saveexec_b64 s[62:63], vcc
	s_xor_b64 s[34:35], exec, s[62:63]
	s_cbranch_execz .LBB6_23312
; %bb.23311:                            ;   in Loop: Header=BB6_20708 Depth=3
	v_ffbh_u32_e32 v2, v5
	v_min_u32_e32 v20, 32, v2
	v_subrev_u32_e32 v2, 29, v20
	v_lshlrev_b64 v[1:2], v2, v[1:2]
	v_bfe_u32 v7, v17, 18, 5
	v_and_b32_e32 v1, 3, v1
	v_cmp_eq_u32_e32 vcc, 0, v7
	v_sub_u32_e32 v2, 30, v20
	v_cndmask_b32_e32 v1, v5, v1, vcc
	v_lshlrev_b32_e32 v5, 8, v17
	v_cndmask_b32_e32 v2, v7, v2, vcc
	v_and_b32_e32 v5, 0x80000000, v5
	v_lshl_add_u32 v2, v2, 23, v5
	v_lshl_or_b32 v1, v1, 21, v2
	v_add_u32_e32 v2, 0x38000000, v1
                                        ; implicit-def: $vgpr5
                                        ; implicit-def: $vgpr1
.LBB6_23312:                            ;   in Loop: Header=BB6_20708 Depth=3
	s_andn2_saveexec_b64 s[34:35], s[34:35]
; %bb.23313:                            ;   in Loop: Header=BB6_20708 Depth=3
	v_mov_b32_e32 v2, -1
	v_cmp_gt_i16_sdwa vcc, sext(v1), v2 src0_sel:BYTE_0 src1_sel:DWORD
	v_mov_b32_e32 v1, 0xff800000
	v_mov_b32_e32 v2, 0x7f800000
	v_cndmask_b32_e32 v1, v1, v2, vcc
	v_cmp_eq_u32_e32 vcc, 0, v5
	v_mov_b32_e32 v2, 0x7f800001
	v_cndmask_b32_e32 v2, v2, v1, vcc
; %bb.23314:                            ;   in Loop: Header=BB6_20708 Depth=3
	s_or_b64 exec, exec, s[34:35]
.LBB6_23315:                            ;   in Loop: Header=BB6_20708 Depth=3
	s_or_b64 exec, exec, s[30:31]
.LBB6_23316:                            ;   in Loop: Header=BB6_20708 Depth=3
	s_or_b64 exec, exec, s[28:29]
	v_add_f32_e32 v3, v3, v2
	v_and_b32_e32 v20, 0x7f800000, v3
	v_mov_b32_e32 v21, v33
	v_cmp_ne_u64_e32 vcc, s[76:77], v[20:21]
	v_and_b32_e32 v1, 0x7fffff, v3
	v_mov_b32_e32 v2, v33
                                        ; implicit-def: $vgpr5
                                        ; kill: killed $vgpr5
	s_and_saveexec_b64 s[28:29], vcc
	s_xor_b64 s[30:31], exec, s[28:29]
	s_cbranch_execz .LBB6_23330
; %bb.23317:                            ;   in Loop: Header=BB6_20708 Depth=3
	v_and_b32_e32 v20, 0x7fffffff, v3
	v_mov_b32_e32 v21, v33
	v_cmp_gt_u64_e32 vcc, s[78:79], v[20:21]
	v_and_b32_sdwa v5, v3, s97 dst_sel:DWORD dst_unused:UNUSED_PAD src0_sel:BYTE_3 src1_sel:DWORD
                                        ; implicit-def: $vgpr7
                                        ; kill: killed $vgpr7
	s_and_saveexec_b64 s[28:29], vcc
	s_xor_b64 s[34:35], exec, s[28:29]
	s_cbranch_execz .LBB6_23327
; %bb.23318:                            ;   in Loop: Header=BB6_20708 Depth=3
	v_mov_b32_e32 v7, 0
	v_cmp_ne_u32_e32 vcc, 0, v3
	buffer_store_dword v7, off, s[0:3], s33 offset:364 ; 4-byte Folded Spill
	s_and_saveexec_b64 s[36:37], vcc
	s_cbranch_execz .LBB6_23326
; %bb.23319:                            ;   in Loop: Header=BB6_20708 Depth=3
	v_bfe_u32 v20, v3, 23, 8
	v_cmp_gt_u32_e64 s[28:29], s47, v20
	v_sub_u32_e32 v3, 0x71, v20
	v_cmp_eq_u32_e32 vcc, 0, v20
	v_cndmask_b32_e64 v3, 0, v3, s[28:29]
	v_mov_b32_e32 v21, 0x70
	v_cndmask_b32_e32 v21, v3, v21, vcc
	v_add_u32_e32 v3, 21, v21
	v_or_b32_e32 v7, 0x800000, v1
	v_lshlrev_b64 v[38:39], v3, -1
	v_cndmask_b32_e32 v1, v7, v1, vcc
	v_add_u32_e32 v3, 20, v21
	v_bfi_b32 v38, v38, 0, v1
	v_lshlrev_b64 v[49:50], v3, 1
	v_lshrrev_b64 v[1:2], v21, v[1:2]
	v_bfi_b32 v39, v39, 0, 0
	v_cmp_eq_u64_e64 s[28:29], v[38:39], v[49:50]
	v_mov_b32_e32 v3, v2
	v_mov_b32_e32 v2, v1
	s_and_saveexec_b64 s[38:39], s[28:29]
; %bb.23320:                            ;   in Loop: Header=BB6_20708 Depth=3
	v_bfe_u32 v2, v1, 21, 1
	v_add_co_u32_e64 v2, s[28:29], v1, v2
	v_add_co_u32_e64 v2, s[28:29], -1, v2
; %bb.23321:                            ;   in Loop: Header=BB6_20708 Depth=3
	s_or_b64 exec, exec, s[38:39]
	v_add_u32_e32 v3, 0xffffff81, v20
	v_mov_b32_e32 v7, 0xffffff82
	v_cndmask_b32_e32 v3, v3, v7, vcc
	v_lshrrev_b32_e32 v7, 23, v1
	v_add3_u32 v20, v21, v3, v7
	v_add_u32_e32 v7, 14, v20
	v_and_b32_e32 v2, 0x1fffff, v2
	v_add_u32_e32 v1, v2, v1
	v_mov_b32_e32 v2, v33
	v_cmp_ne_u32_e32 vcc, 0, v7
                                        ; implicit-def: $vgpr3
	s_and_saveexec_b64 s[28:29], vcc
	s_xor_b64 s[28:29], exec, s[28:29]
; %bb.23322:                            ;   in Loop: Header=BB6_20708 Depth=3
	v_cmp_lt_u64_e32 vcc, s[88:89], v[1:2]
	v_add_u32_e32 v3, 15, v20
	v_cndmask_b32_e32 v3, v7, v3, vcc
	v_cndmask_b32_e64 v7, 0, 1, vcc
	v_lshrrev_b64 v[1:2], v7, v[1:2]
; %bb.23323:                            ;   in Loop: Header=BB6_20708 Depth=3
	s_andn2_saveexec_b64 s[28:29], s[28:29]
; %bb.23324:                            ;   in Loop: Header=BB6_20708 Depth=3
	v_bfe_u32 v3, v1, 23, 1
; %bb.23325:                            ;   in Loop: Header=BB6_20708 Depth=3
	s_or_b64 exec, exec, s[28:29]
	v_lshrrev_b64 v[1:2], 21, v[1:2]
	v_cmp_gt_i32_e32 vcc, 32, v3
	v_cndmask_b32_e32 v2, 0, v2, vcc
	v_cndmask_b32_e32 v1, 3, v1, vcc
	v_cmp_eq_u64_e64 s[28:29], 0, v[1:2]
	v_min_i32_e32 v2, 31, v3
	v_lshlrev_b32_e32 v2, 2, v2
	v_cmp_eq_u32_e32 vcc, 0, v3
	v_and_b32_e32 v2, 0xfc, v2
	v_and_or_b32 v1, v1, 3, v2
	s_and_b64 s[28:29], vcc, s[28:29]
	v_cndmask_b32_e64 v1, v1, 0, s[28:29]
	v_or_b32_e32 v1, v1, v5
	buffer_store_dword v1, off, s[0:3], s33 offset:364 ; 4-byte Folded Spill
.LBB6_23326:                            ;   in Loop: Header=BB6_20708 Depth=3
	s_or_b64 exec, exec, s[36:37]
                                        ; implicit-def: $vgpr5
.LBB6_23327:                            ;   in Loop: Header=BB6_20708 Depth=3
	s_andn2_saveexec_b64 s[28:29], s[34:35]
	s_cbranch_execz .LBB6_23329
; %bb.23328:                            ;   in Loop: Header=BB6_20708 Depth=3
	v_or_b32_e32 v1, 0x7b, v5
	buffer_store_dword v1, off, s[0:3], s33 offset:364 ; 4-byte Folded Spill
.LBB6_23329:                            ;   in Loop: Header=BB6_20708 Depth=3
	s_or_b64 exec, exec, s[28:29]
                                        ; implicit-def: $vgpr3
                                        ; implicit-def: $vgpr1_vgpr2
.LBB6_23330:                            ;   in Loop: Header=BB6_20708 Depth=3
	s_andn2_saveexec_b64 s[28:29], s[30:31]
	s_cbranch_execz .LBB6_23336
; %bb.23331:                            ;   in Loop: Header=BB6_20708 Depth=3
	v_cmp_ne_u64_e32 vcc, 0, v[1:2]
                                        ; implicit-def: $vgpr1
                                        ; kill: killed $vgpr1
	s_and_saveexec_b64 s[62:63], vcc
	s_xor_b64 vcc, exec, s[62:63]
	s_cbranch_execz .LBB6_23333
; %bb.23332:                            ;   in Loop: Header=BB6_20708 Depth=3
	v_or_b32_sdwa v1, v3, s44 dst_sel:DWORD dst_unused:UNUSED_PAD src0_sel:BYTE_3 src1_sel:DWORD
	buffer_store_dword v1, off, s[0:3], s33 offset:364 ; 4-byte Folded Spill
                                        ; implicit-def: $vgpr3
.LBB6_23333:                            ;   in Loop: Header=BB6_20708 Depth=3
	s_andn2_saveexec_b64 s[30:31], vcc
	s_cbranch_execz .LBB6_23335
; %bb.23334:                            ;   in Loop: Header=BB6_20708 Depth=3
	v_cmp_lt_i32_e32 vcc, -1, v3
	v_bfrev_b32_e32 v1, 0.5
	v_mov_b32_e32 v2, 0x7c
	v_cndmask_b32_e32 v1, v1, v2, vcc
	buffer_store_dword v1, off, s[0:3], s33 offset:364 ; 4-byte Folded Spill
.LBB6_23335:                            ;   in Loop: Header=BB6_20708 Depth=3
	s_or_b64 exec, exec, s[30:31]
.LBB6_23336:                            ;   in Loop: Header=BB6_20708 Depth=3
	s_or_b64 exec, exec, s[28:29]
	v_cmp_lt_u32_e32 vcc, s57, v0
	v_mov_b32_e32 v2, 0
	v_mov_b32_e32 v3, 0
	s_and_saveexec_b64 s[28:29], vcc
	s_cbranch_execz .LBB6_23344
; %bb.23337:                            ;   in Loop: Header=BB6_20708 Depth=3
	v_lshrrev_b32_e32 v1, 24, v0
	v_cmp_ne_u32_e32 vcc, s97, v1
	v_bfrev_b32_e32 v3, 1
	s_and_saveexec_b64 s[30:31], vcc
	s_cbranch_execz .LBB6_23343
; %bb.23338:                            ;   in Loop: Header=BB6_20708 Depth=3
	v_and_b32_e32 v3, 0x7c000000, v0
	v_bfe_u32 v5, v0, 24, 2
	v_cmp_ne_u32_e32 vcc, s68, v3
                                        ; implicit-def: $vgpr3
	s_and_saveexec_b64 s[62:63], vcc
	s_xor_b64 s[34:35], exec, s[62:63]
	s_cbranch_execz .LBB6_23340
; %bb.23339:                            ;   in Loop: Header=BB6_20708 Depth=3
	v_ffbh_u32_e32 v7, v5
	v_min_u32_e32 v7, 32, v7
	v_subrev_u32_e32 v20, 29, v7
	v_bfe_u32 v3, v0, 26, 5
	v_lshlrev_b64 v[20:21], v20, v[1:2]
	v_sub_u32_e32 v1, 30, v7
	v_cmp_eq_u32_e32 vcc, 0, v3
	v_and_b32_e32 v7, 3, v20
	v_cndmask_b32_e32 v1, v3, v1, vcc
	v_and_b32_e32 v0, 0x80000000, v0
	v_cndmask_b32_e32 v3, v5, v7, vcc
	v_lshl_add_u32 v0, v1, 23, v0
	v_lshl_or_b32 v0, v3, 21, v0
	v_add_u32_e32 v3, 0x38000000, v0
                                        ; implicit-def: $vgpr5
                                        ; implicit-def: $vgpr0_vgpr1
.LBB6_23340:                            ;   in Loop: Header=BB6_20708 Depth=3
	s_andn2_saveexec_b64 s[34:35], s[34:35]
; %bb.23341:                            ;   in Loop: Header=BB6_20708 Depth=3
	v_cmp_lt_i32_e32 vcc, -1, v0
	v_mov_b32_e32 v0, 0xff800000
	v_mov_b32_e32 v1, 0x7f800000
	v_cndmask_b32_e32 v0, v0, v1, vcc
	v_cmp_eq_u32_e32 vcc, 0, v5
	v_mov_b32_e32 v1, 0x7f800001
	v_cndmask_b32_e32 v3, v1, v0, vcc
; %bb.23342:                            ;   in Loop: Header=BB6_20708 Depth=3
	s_or_b64 exec, exec, s[34:35]
.LBB6_23343:                            ;   in Loop: Header=BB6_20708 Depth=3
	s_or_b64 exec, exec, s[30:31]
.LBB6_23344:                            ;   in Loop: Header=BB6_20708 Depth=3
	s_or_b64 exec, exec, s[28:29]
	v_cmp_lt_u64_e32 vcc, s[56:57], v[16:17]
	s_and_saveexec_b64 s[28:29], vcc
	s_cbranch_execz .LBB6_23352
; %bb.23345:                            ;   in Loop: Header=BB6_20708 Depth=3
	v_lshrrev_b32_e32 v0, 24, v17
	v_cmp_ne_u32_e32 vcc, s97, v0
	v_bfrev_b32_e32 v2, 1
	s_and_saveexec_b64 s[30:31], vcc
	s_cbranch_execz .LBB6_23351
; %bb.23346:                            ;   in Loop: Header=BB6_20708 Depth=3
	v_and_b32_e32 v2, 0x7c000000, v17
	v_bfe_u32 v1, v17, 24, 2
	v_cmp_ne_u32_e32 vcc, s68, v2
                                        ; implicit-def: $vgpr2
	s_and_saveexec_b64 s[62:63], vcc
	s_xor_b64 s[34:35], exec, s[62:63]
	s_cbranch_execz .LBB6_23348
; %bb.23347:                            ;   in Loop: Header=BB6_20708 Depth=3
	v_ffbh_u32_e32 v5, v1
	v_min_u32_e32 v5, 32, v5
	v_subrev_u32_e32 v7, 29, v5
	v_bfe_u32 v2, v17, 26, 5
	v_lshlrev_b64 v[20:21], v7, v[0:1]
	v_sub_u32_e32 v0, 30, v5
	v_cmp_eq_u32_e32 vcc, 0, v2
	v_and_b32_e32 v5, 3, v20
	v_cndmask_b32_e32 v0, v2, v0, vcc
	v_and_b32_e32 v2, 0x80000000, v17
	v_cndmask_b32_e32 v1, v1, v5, vcc
	v_lshl_add_u32 v0, v0, 23, v2
	v_lshl_or_b32 v0, v1, 21, v0
	v_add_u32_e32 v2, 0x38000000, v0
                                        ; implicit-def: $vgpr1
.LBB6_23348:                            ;   in Loop: Header=BB6_20708 Depth=3
	s_andn2_saveexec_b64 s[34:35], s[34:35]
; %bb.23349:                            ;   in Loop: Header=BB6_20708 Depth=3
	v_cmp_lt_i64_e32 vcc, -1, v[16:17]
	v_mov_b32_e32 v0, 0xff800000
	v_mov_b32_e32 v2, 0x7f800000
	v_cndmask_b32_e32 v0, v0, v2, vcc
	v_cmp_eq_u32_e32 vcc, 0, v1
	v_mov_b32_e32 v1, 0x7f800001
	v_cndmask_b32_e32 v2, v1, v0, vcc
; %bb.23350:                            ;   in Loop: Header=BB6_20708 Depth=3
	s_or_b64 exec, exec, s[34:35]
.LBB6_23351:                            ;   in Loop: Header=BB6_20708 Depth=3
	s_or_b64 exec, exec, s[30:31]
.LBB6_23352:                            ;   in Loop: Header=BB6_20708 Depth=3
	s_or_b64 exec, exec, s[28:29]
	v_add_f32_e32 v2, v3, v2
	v_and_b32_e32 v16, 0x7f800000, v2
	v_mov_b32_e32 v17, v33
	v_cmp_ne_u64_e32 vcc, s[76:77], v[16:17]
	v_and_b32_e32 v0, 0x7fffff, v2
	v_mov_b32_e32 v1, v33
                                        ; implicit-def: $vgpr34
	s_and_saveexec_b64 s[28:29], vcc
	s_xor_b64 s[30:31], exec, s[28:29]
	s_cbranch_execz .LBB6_23366
; %bb.23353:                            ;   in Loop: Header=BB6_20708 Depth=3
	v_and_b32_e32 v16, 0x7fffffff, v2
	v_mov_b32_e32 v17, v33
	v_cmp_gt_u64_e32 vcc, s[78:79], v[16:17]
	v_and_b32_sdwa v3, v2, s97 dst_sel:DWORD dst_unused:UNUSED_PAD src0_sel:BYTE_3 src1_sel:DWORD
                                        ; implicit-def: $vgpr34
	s_and_saveexec_b64 s[28:29], vcc
	s_xor_b64 s[34:35], exec, s[28:29]
	s_cbranch_execz .LBB6_23363
; %bb.23354:                            ;   in Loop: Header=BB6_20708 Depth=3
	v_mov_b32_e32 v34, 0
	v_cmp_ne_u32_e32 vcc, 0, v2
	s_and_saveexec_b64 s[36:37], vcc
	s_cbranch_execz .LBB6_23362
; %bb.23355:                            ;   in Loop: Header=BB6_20708 Depth=3
	v_bfe_u32 v5, v2, 23, 8
	v_cmp_gt_u32_e64 s[28:29], s47, v5
	v_sub_u32_e32 v2, 0x71, v5
	v_cmp_eq_u32_e32 vcc, 0, v5
	v_cndmask_b32_e64 v2, 0, v2, s[28:29]
	v_mov_b32_e32 v16, 0x70
	v_cndmask_b32_e32 v16, v2, v16, vcc
	v_add_u32_e32 v2, 21, v16
	v_or_b32_e32 v7, 0x800000, v0
	v_lshlrev_b64 v[20:21], v2, -1
	v_cndmask_b32_e32 v0, v7, v0, vcc
	v_add_u32_e32 v2, 20, v16
	v_bfi_b32 v20, v20, 0, v0
	v_lshlrev_b64 v[49:50], v2, 1
	v_lshrrev_b64 v[0:1], v16, v[0:1]
	v_bfi_b32 v21, v21, 0, 0
	v_cmp_eq_u64_e64 s[28:29], v[20:21], v[49:50]
	v_mov_b32_e32 v2, v1
	v_mov_b32_e32 v1, v0
	s_and_saveexec_b64 s[38:39], s[28:29]
; %bb.23356:                            ;   in Loop: Header=BB6_20708 Depth=3
	v_bfe_u32 v1, v0, 21, 1
	v_add_co_u32_e64 v1, s[28:29], v0, v1
	v_add_co_u32_e64 v1, s[28:29], -1, v1
; %bb.23357:                            ;   in Loop: Header=BB6_20708 Depth=3
	s_or_b64 exec, exec, s[38:39]
	v_add_u32_e32 v2, 0xffffff81, v5
	v_mov_b32_e32 v5, 0xffffff82
	v_cndmask_b32_e32 v2, v2, v5, vcc
	v_lshrrev_b32_e32 v5, 23, v0
	v_add3_u32 v7, v16, v2, v5
	v_add_u32_e32 v5, 14, v7
	v_and_b32_e32 v1, 0x1fffff, v1
	v_add_u32_e32 v0, v1, v0
	v_mov_b32_e32 v1, v33
	v_cmp_ne_u32_e32 vcc, 0, v5
                                        ; implicit-def: $vgpr2
	s_and_saveexec_b64 s[28:29], vcc
	s_xor_b64 s[28:29], exec, s[28:29]
; %bb.23358:                            ;   in Loop: Header=BB6_20708 Depth=3
	v_cmp_lt_u64_e32 vcc, s[88:89], v[0:1]
	v_add_u32_e32 v2, 15, v7
	v_cndmask_b32_e32 v2, v5, v2, vcc
	v_cndmask_b32_e64 v5, 0, 1, vcc
	v_lshrrev_b64 v[0:1], v5, v[0:1]
; %bb.23359:                            ;   in Loop: Header=BB6_20708 Depth=3
	s_andn2_saveexec_b64 s[28:29], s[28:29]
; %bb.23360:                            ;   in Loop: Header=BB6_20708 Depth=3
	v_bfe_u32 v2, v0, 23, 1
; %bb.23361:                            ;   in Loop: Header=BB6_20708 Depth=3
	s_or_b64 exec, exec, s[28:29]
	v_lshrrev_b64 v[0:1], 21, v[0:1]
	v_cmp_gt_i32_e32 vcc, 32, v2
	v_cndmask_b32_e32 v1, 0, v1, vcc
	v_cndmask_b32_e32 v0, 3, v0, vcc
	v_cmp_eq_u64_e64 s[28:29], 0, v[0:1]
	v_min_i32_e32 v1, 31, v2
	v_lshlrev_b32_e32 v1, 2, v1
	v_cmp_eq_u32_e32 vcc, 0, v2
	v_and_b32_e32 v1, 0xfc, v1
	v_and_or_b32 v0, v0, 3, v1
	s_and_b64 s[28:29], vcc, s[28:29]
	v_cndmask_b32_e64 v0, v0, 0, s[28:29]
	v_or_b32_e32 v34, v0, v3
.LBB6_23362:                            ;   in Loop: Header=BB6_20708 Depth=3
	s_or_b64 exec, exec, s[36:37]
                                        ; implicit-def: $vgpr3
.LBB6_23363:                            ;   in Loop: Header=BB6_20708 Depth=3
	s_andn2_saveexec_b64 s[28:29], s[34:35]
; %bb.23364:                            ;   in Loop: Header=BB6_20708 Depth=3
	v_or_b32_e32 v34, 0x7b, v3
; %bb.23365:                            ;   in Loop: Header=BB6_20708 Depth=3
	s_or_b64 exec, exec, s[28:29]
                                        ; implicit-def: $vgpr2
                                        ; implicit-def: $vgpr0_vgpr1
.LBB6_23366:                            ;   in Loop: Header=BB6_20708 Depth=3
	s_andn2_saveexec_b64 s[28:29], s[30:31]
	s_cbranch_execz .LBB6_23372
; %bb.23367:                            ;   in Loop: Header=BB6_20708 Depth=3
	v_cmp_ne_u64_e32 vcc, 0, v[0:1]
                                        ; implicit-def: $vgpr34
	s_and_saveexec_b64 s[62:63], vcc
	s_xor_b64 vcc, exec, s[62:63]
; %bb.23368:                            ;   in Loop: Header=BB6_20708 Depth=3
	v_or_b32_sdwa v34, v2, s44 dst_sel:DWORD dst_unused:UNUSED_PAD src0_sel:BYTE_3 src1_sel:DWORD
                                        ; implicit-def: $vgpr2
; %bb.23369:                            ;   in Loop: Header=BB6_20708 Depth=3
	s_andn2_saveexec_b64 s[30:31], vcc
; %bb.23370:                            ;   in Loop: Header=BB6_20708 Depth=3
	v_cmp_lt_i32_e32 vcc, -1, v2
	v_bfrev_b32_e32 v0, 0.5
	v_mov_b32_e32 v1, 0x7c
	v_cndmask_b32_e32 v34, v0, v1, vcc
; %bb.23371:                            ;   in Loop: Header=BB6_20708 Depth=3
	s_or_b64 exec, exec, s[30:31]
.LBB6_23372:                            ;   in Loop: Header=BB6_20708 Depth=3
	s_or_b64 exec, exec, s[28:29]
	buffer_load_dword v0, off, s[0:3], s33 offset:324 ; 4-byte Folded Reload
	buffer_load_dword v1, off, s[0:3], s33 offset:348 ; 4-byte Folded Reload
	v_cmp_ne_u32_e32 vcc, 0, v30
	v_mov_b32_e32 v2, 0
	v_mov_b32_e32 v3, 0
	s_waitcnt vmcnt(1)
	v_lshl_or_b32 v5, v0, 8, v30
	buffer_load_dword v0, off, s[0:3], s33 offset:332 ; 4-byte Folded Reload
	s_waitcnt vmcnt(1)
	v_lshlrev_b32_e32 v1, 24, v1
	s_waitcnt vmcnt(0)
	v_lshlrev_b32_e32 v0, 16, v0
	v_or3_b32 v0, v0, v1, v5
	v_mov_b32_e32 v1, v33
	s_and_saveexec_b64 s[30:31], vcc
	s_cbranch_execz .LBB6_23380
; %bb.23373:                            ;   in Loop: Header=BB6_20708 Depth=3
	v_cmp_ne_u32_e32 vcc, s97, v30
	v_bfrev_b32_e32 v3, 1
	s_and_saveexec_b64 s[34:35], vcc
	s_cbranch_execz .LBB6_23379
; %bb.23374:                            ;   in Loop: Header=BB6_20708 Depth=3
	v_and_b32_e32 v3, 0x7c, v30
	v_and_b32_e32 v7, 3, v30
	v_cmp_ne_u32_e32 vcc, s86, v3
                                        ; implicit-def: $vgpr3
	s_and_saveexec_b64 s[28:29], vcc
	s_xor_b64 s[28:29], exec, s[28:29]
	s_cbranch_execz .LBB6_23376
; %bb.23375:                            ;   in Loop: Header=BB6_20708 Depth=3
	v_ffbh_u32_e32 v16, v7
	v_min_u32_e32 v16, 32, v16
	v_subrev_u32_e32 v17, 29, v16
	v_lshlrev_b64 v[20:21], v17, v[0:1]
	v_bfe_u32 v3, v30, 2, 5
	v_sub_u32_e32 v1, 30, v16
	v_and_b32_e32 v16, 3, v20
	v_cmp_eq_u32_e32 vcc, 0, v3
	v_cndmask_b32_e32 v1, v3, v1, vcc
	v_cndmask_b32_e32 v3, v7, v16, vcc
	v_lshlrev_b32_e32 v7, 24, v30
	v_and_b32_e32 v7, 0x80000000, v7
	v_lshl_add_u32 v1, v1, 23, v7
	v_lshl_or_b32 v1, v3, 21, v1
	v_add_u32_e32 v3, 0x38000000, v1
                                        ; implicit-def: $vgpr7
                                        ; implicit-def: $vgpr30
.LBB6_23376:                            ;   in Loop: Header=BB6_20708 Depth=3
	s_andn2_saveexec_b64 s[36:37], s[28:29]
; %bb.23377:                            ;   in Loop: Header=BB6_20708 Depth=3
	v_and_b32_e32 v1, 0x80, v30
	v_cmp_eq_u32_e64 s[28:29], 0, v1
	v_mov_b32_e32 v1, 0xff800000
	v_mov_b32_e32 v3, 0x7f800000
	v_cmp_eq_u32_e32 vcc, 0, v7
	v_cndmask_b32_e64 v1, v1, v3, s[28:29]
	v_mov_b32_e32 v3, 0x7f800001
	v_cndmask_b32_e32 v3, v3, v1, vcc
; %bb.23378:                            ;   in Loop: Header=BB6_20708 Depth=3
	s_or_b64 exec, exec, s[36:37]
.LBB6_23379:                            ;   in Loop: Header=BB6_20708 Depth=3
	s_or_b64 exec, exec, s[34:35]
.LBB6_23380:                            ;   in Loop: Header=BB6_20708 Depth=3
	s_or_b64 exec, exec, s[30:31]
	v_cmp_ne_u16_sdwa s[62:63], v18, v33 src0_sel:BYTE_0 src1_sel:DWORD
	s_and_saveexec_b64 s[28:29], s[62:63]
	s_cbranch_execz .LBB6_23388
; %bb.23381:                            ;   in Loop: Header=BB6_20708 Depth=3
	v_cmp_ne_u16_sdwa s[62:63], sext(v18), s46 src0_sel:BYTE_0 src1_sel:DWORD
	v_bfrev_b32_e32 v2, 1
	s_and_saveexec_b64 s[30:31], s[62:63]
	s_cbranch_execz .LBB6_23387
; %bb.23382:                            ;   in Loop: Header=BB6_20708 Depth=3
	v_and_b32_e32 v2, 0x7c, v18
	v_and_b32_e32 v1, 3, v18
	v_cmp_ne_u32_e32 vcc, s86, v2
                                        ; implicit-def: $vgpr2
	s_and_saveexec_b64 s[62:63], vcc
	s_xor_b64 s[34:35], exec, s[62:63]
	s_cbranch_execz .LBB6_23384
; %bb.23383:                            ;   in Loop: Header=BB6_20708 Depth=3
	v_ffbh_u32_e32 v7, v1
	v_min_u32_e32 v7, 32, v7
	v_bfe_u32 v2, v18, 2, 5
	v_subrev_u32_e32 v16, 29, v7
	v_lshlrev_b64 v[20:21], v16, v[18:19]
	v_sub_u32_e32 v7, 30, v7
	v_cmp_eq_u32_e32 vcc, 0, v2
	v_cndmask_b32_e32 v2, v2, v7, vcc
	v_lshlrev_b32_e32 v7, 24, v18
	v_and_b32_e32 v16, 3, v20
	v_and_b32_e32 v7, 0x80000000, v7
	v_cndmask_b32_e32 v1, v1, v16, vcc
	v_lshl_add_u32 v2, v2, 23, v7
	v_lshl_or_b32 v1, v1, 21, v2
	v_add_u32_e32 v2, 0x38000000, v1
                                        ; implicit-def: $vgpr1
.LBB6_23384:                            ;   in Loop: Header=BB6_20708 Depth=3
	s_andn2_saveexec_b64 s[34:35], s[34:35]
; %bb.23385:                            ;   in Loop: Header=BB6_20708 Depth=3
	v_mov_b32_e32 v2, -1
	v_cmp_gt_i16_sdwa vcc, sext(v18), v2 src0_sel:BYTE_0 src1_sel:DWORD
	v_mov_b32_e32 v2, 0xff800000
	v_mov_b32_e32 v7, 0x7f800000
	v_cndmask_b32_e32 v2, v2, v7, vcc
	v_cmp_eq_u32_e32 vcc, 0, v1
	v_mov_b32_e32 v1, 0x7f800001
	v_cndmask_b32_e32 v2, v1, v2, vcc
; %bb.23386:                            ;   in Loop: Header=BB6_20708 Depth=3
	s_or_b64 exec, exec, s[34:35]
.LBB6_23387:                            ;   in Loop: Header=BB6_20708 Depth=3
	s_or_b64 exec, exec, s[30:31]
.LBB6_23388:                            ;   in Loop: Header=BB6_20708 Depth=3
	s_or_b64 exec, exec, s[28:29]
	v_add_f32_e32 v3, v3, v2
	v_and_b32_e32 v20, 0x7f800000, v3
	v_mov_b32_e32 v21, v33
	v_cmp_ne_u64_e32 vcc, s[76:77], v[20:21]
	v_and_b32_e32 v1, 0x7fffff, v3
	v_mov_b32_e32 v2, v33
                                        ; implicit-def: $vgpr38
	s_and_saveexec_b64 s[28:29], vcc
	s_xor_b64 s[30:31], exec, s[28:29]
	s_cbranch_execz .LBB6_23402
; %bb.23389:                            ;   in Loop: Header=BB6_20708 Depth=3
	v_and_b32_e32 v20, 0x7fffffff, v3
	v_mov_b32_e32 v21, v33
	v_cmp_gt_u64_e32 vcc, s[78:79], v[20:21]
	v_and_b32_sdwa v20, v3, s97 dst_sel:DWORD dst_unused:UNUSED_PAD src0_sel:BYTE_3 src1_sel:DWORD
                                        ; implicit-def: $vgpr38
	s_and_saveexec_b64 s[28:29], vcc
	s_xor_b64 s[34:35], exec, s[28:29]
	s_cbranch_execz .LBB6_23399
; %bb.23390:                            ;   in Loop: Header=BB6_20708 Depth=3
	v_mov_b32_e32 v38, 0
	v_cmp_ne_u32_e32 vcc, 0, v3
	s_and_saveexec_b64 s[36:37], vcc
	s_cbranch_execz .LBB6_23398
; %bb.23391:                            ;   in Loop: Header=BB6_20708 Depth=3
	v_bfe_u32 v17, v3, 23, 8
	v_cmp_gt_u32_e64 s[28:29], s47, v17
	v_sub_u32_e32 v3, 0x71, v17
	v_cmp_eq_u32_e32 vcc, 0, v17
	v_cndmask_b32_e64 v3, 0, v3, s[28:29]
	v_mov_b32_e32 v16, 0x70
	v_cndmask_b32_e32 v21, v3, v16, vcc
	v_add_u32_e32 v3, 21, v21
	v_or_b32_e32 v7, 0x800000, v1
	v_lshlrev_b64 v[29:30], v3, -1
	v_cndmask_b32_e32 v1, v7, v1, vcc
	v_add_u32_e32 v3, 20, v21
	v_bfi_b32 v29, v29, 0, v1
	v_lshlrev_b64 v[49:50], v3, 1
	v_lshrrev_b64 v[1:2], v21, v[1:2]
	v_bfi_b32 v30, v30, 0, 0
	v_cmp_eq_u64_e64 s[28:29], v[29:30], v[49:50]
	v_mov_b32_e32 v3, v2
	v_mov_b32_e32 v2, v1
	s_and_saveexec_b64 s[38:39], s[28:29]
; %bb.23392:                            ;   in Loop: Header=BB6_20708 Depth=3
	v_bfe_u32 v2, v1, 21, 1
	v_add_co_u32_e64 v2, s[28:29], v1, v2
	v_add_co_u32_e64 v2, s[28:29], -1, v2
; %bb.23393:                            ;   in Loop: Header=BB6_20708 Depth=3
	s_or_b64 exec, exec, s[38:39]
	v_add_u32_e32 v3, 0xffffff81, v17
	v_mov_b32_e32 v7, 0xffffff82
	v_cndmask_b32_e32 v3, v3, v7, vcc
	v_lshrrev_b32_e32 v7, 23, v1
	v_add3_u32 v17, v21, v3, v7
	v_add_u32_e32 v7, 14, v17
	v_and_b32_e32 v2, 0x1fffff, v2
	v_add_u32_e32 v1, v2, v1
	v_mov_b32_e32 v2, v33
	v_cmp_ne_u32_e32 vcc, 0, v7
                                        ; implicit-def: $vgpr3
	s_and_saveexec_b64 s[28:29], vcc
	s_xor_b64 s[28:29], exec, s[28:29]
; %bb.23394:                            ;   in Loop: Header=BB6_20708 Depth=3
	v_cmp_lt_u64_e32 vcc, s[88:89], v[1:2]
	v_add_u32_e32 v3, 15, v17
	v_cndmask_b32_e32 v3, v7, v3, vcc
	v_cndmask_b32_e64 v7, 0, 1, vcc
	v_lshrrev_b64 v[1:2], v7, v[1:2]
; %bb.23395:                            ;   in Loop: Header=BB6_20708 Depth=3
	s_andn2_saveexec_b64 s[28:29], s[28:29]
; %bb.23396:                            ;   in Loop: Header=BB6_20708 Depth=3
	v_bfe_u32 v3, v1, 23, 1
; %bb.23397:                            ;   in Loop: Header=BB6_20708 Depth=3
	s_or_b64 exec, exec, s[28:29]
	v_lshrrev_b64 v[1:2], 21, v[1:2]
	v_cmp_gt_i32_e32 vcc, 32, v3
	v_cndmask_b32_e32 v2, 0, v2, vcc
	v_cndmask_b32_e32 v1, 3, v1, vcc
	v_cmp_eq_u64_e64 s[28:29], 0, v[1:2]
	v_min_i32_e32 v2, 31, v3
	v_lshlrev_b32_e32 v2, 2, v2
	v_cmp_eq_u32_e32 vcc, 0, v3
	v_and_b32_e32 v2, 0xfc, v2
	v_and_or_b32 v1, v1, 3, v2
	s_and_b64 s[28:29], vcc, s[28:29]
	v_cndmask_b32_e64 v1, v1, 0, s[28:29]
	v_or_b32_e32 v38, v1, v20
.LBB6_23398:                            ;   in Loop: Header=BB6_20708 Depth=3
	s_or_b64 exec, exec, s[36:37]
                                        ; implicit-def: $vgpr20
.LBB6_23399:                            ;   in Loop: Header=BB6_20708 Depth=3
	s_andn2_saveexec_b64 s[28:29], s[34:35]
; %bb.23400:                            ;   in Loop: Header=BB6_20708 Depth=3
	v_or_b32_e32 v38, 0x7b, v20
; %bb.23401:                            ;   in Loop: Header=BB6_20708 Depth=3
	s_or_b64 exec, exec, s[28:29]
                                        ; implicit-def: $vgpr3
                                        ; implicit-def: $vgpr1_vgpr2
.LBB6_23402:                            ;   in Loop: Header=BB6_20708 Depth=3
	s_andn2_saveexec_b64 s[28:29], s[30:31]
	s_cbranch_execz .LBB6_23408
; %bb.23403:                            ;   in Loop: Header=BB6_20708 Depth=3
	v_cmp_ne_u64_e32 vcc, 0, v[1:2]
                                        ; implicit-def: $vgpr38
	s_and_saveexec_b64 s[62:63], vcc
	s_xor_b64 vcc, exec, s[62:63]
; %bb.23404:                            ;   in Loop: Header=BB6_20708 Depth=3
	v_or_b32_sdwa v38, v3, s44 dst_sel:DWORD dst_unused:UNUSED_PAD src0_sel:BYTE_3 src1_sel:DWORD
                                        ; implicit-def: $vgpr3
; %bb.23405:                            ;   in Loop: Header=BB6_20708 Depth=3
	s_andn2_saveexec_b64 s[30:31], vcc
; %bb.23406:                            ;   in Loop: Header=BB6_20708 Depth=3
	v_cmp_lt_i32_e32 vcc, -1, v3
	v_bfrev_b32_e32 v1, 0.5
	v_mov_b32_e32 v2, 0x7c
	v_cndmask_b32_e32 v38, v1, v2, vcc
; %bb.23407:                            ;   in Loop: Header=BB6_20708 Depth=3
	s_or_b64 exec, exec, s[30:31]
.LBB6_23408:                            ;   in Loop: Header=BB6_20708 Depth=3
	s_or_b64 exec, exec, s[28:29]
	v_lshrrev_b16_e32 v1, 8, v5
	v_cmp_ne_u16_e32 vcc, 0, v1
	v_mov_b32_e32 v3, 0
	v_mov_b32_e32 v20, 0
	s_and_saveexec_b64 s[28:29], vcc
	s_cbranch_execz .LBB6_23416
; %bb.23409:                            ;   in Loop: Header=BB6_20708 Depth=3
	v_cmp_ne_u16_e32 vcc, s97, v1
	v_bfrev_b32_e32 v20, 1
	s_and_saveexec_b64 s[30:31], vcc
	s_cbranch_execz .LBB6_23415
; %bb.23410:                            ;   in Loop: Header=BB6_20708 Depth=3
	v_and_b32_e32 v2, 0x7c, v1
	v_and_b32_e32 v7, 3, v1
	v_cmp_ne_u32_e32 vcc, s86, v2
                                        ; implicit-def: $vgpr20
	s_and_saveexec_b64 s[62:63], vcc
	s_xor_b64 s[34:35], exec, s[62:63]
	s_cbranch_execz .LBB6_23412
; %bb.23411:                            ;   in Loop: Header=BB6_20708 Depth=3
	v_ffbh_u32_e32 v17, v7
	v_min_u32_e32 v17, 32, v17
	v_mov_b32_e32 v2, v33
	v_subrev_u32_e32 v20, 29, v17
	v_bfe_u32 v16, v1, 2, 5
	v_lshlrev_b64 v[1:2], v20, v[1:2]
	v_sub_u32_e32 v2, 30, v17
	v_cmp_eq_u32_e32 vcc, 0, v16
	v_lshlrev_b32_e32 v5, 16, v5
	v_and_b32_e32 v1, 3, v1
	v_cndmask_b32_e32 v2, v16, v2, vcc
	v_and_b32_e32 v5, 0x80000000, v5
	v_cndmask_b32_e32 v1, v7, v1, vcc
	v_lshl_add_u32 v2, v2, 23, v5
	v_lshl_or_b32 v1, v1, 21, v2
	v_add_u32_e32 v20, 0x38000000, v1
                                        ; implicit-def: $vgpr7
                                        ; implicit-def: $vgpr5
.LBB6_23412:                            ;   in Loop: Header=BB6_20708 Depth=3
	s_andn2_saveexec_b64 s[34:35], s[34:35]
; %bb.23413:                            ;   in Loop: Header=BB6_20708 Depth=3
	v_cmp_lt_i16_e32 vcc, -1, v5
	v_mov_b32_e32 v1, 0xff800000
	v_mov_b32_e32 v2, 0x7f800000
	v_cndmask_b32_e32 v1, v1, v2, vcc
	v_cmp_eq_u32_e32 vcc, 0, v7
	v_mov_b32_e32 v2, 0x7f800001
	v_cndmask_b32_e32 v20, v2, v1, vcc
; %bb.23414:                            ;   in Loop: Header=BB6_20708 Depth=3
	s_or_b64 exec, exec, s[34:35]
.LBB6_23415:                            ;   in Loop: Header=BB6_20708 Depth=3
	s_or_b64 exec, exec, s[30:31]
.LBB6_23416:                            ;   in Loop: Header=BB6_20708 Depth=3
	s_or_b64 exec, exec, s[28:29]
	v_lshrrev_b16_e32 v1, 8, v18
	v_cmp_ne_u16_e32 vcc, 0, v1
	s_and_saveexec_b64 s[28:29], vcc
	s_cbranch_execz .LBB6_23424
; %bb.23417:                            ;   in Loop: Header=BB6_20708 Depth=3
	v_cmp_ne_u16_e32 vcc, s97, v1
	v_bfrev_b32_e32 v3, 1
	s_and_saveexec_b64 s[30:31], vcc
	s_cbranch_execz .LBB6_23423
; %bb.23418:                            ;   in Loop: Header=BB6_20708 Depth=3
	v_and_b32_e32 v2, 0x7c, v1
	v_and_b32_e32 v5, 3, v1
	v_cmp_ne_u32_e32 vcc, s86, v2
                                        ; implicit-def: $vgpr3
	s_and_saveexec_b64 s[62:63], vcc
	s_xor_b64 s[34:35], exec, s[62:63]
	s_cbranch_execz .LBB6_23420
; %bb.23419:                            ;   in Loop: Header=BB6_20708 Depth=3
	v_ffbh_u32_e32 v7, v5
	v_min_u32_e32 v7, 32, v7
	v_mov_b32_e32 v2, v33
	v_subrev_u32_e32 v16, 29, v7
	v_bfe_u32 v3, v1, 2, 5
	v_lshlrev_b64 v[1:2], v16, v[1:2]
	v_sub_u32_e32 v2, 30, v7
	v_cmp_eq_u32_e32 vcc, 0, v3
	v_cndmask_b32_e32 v2, v3, v2, vcc
	v_lshlrev_b32_e32 v3, 16, v18
	v_and_b32_e32 v1, 3, v1
	v_and_b32_e32 v3, 0x80000000, v3
	v_cndmask_b32_e32 v1, v5, v1, vcc
	v_lshl_add_u32 v2, v2, 23, v3
	v_lshl_or_b32 v1, v1, 21, v2
	v_add_u32_e32 v3, 0x38000000, v1
                                        ; implicit-def: $vgpr5
.LBB6_23420:                            ;   in Loop: Header=BB6_20708 Depth=3
	s_andn2_saveexec_b64 s[34:35], s[34:35]
; %bb.23421:                            ;   in Loop: Header=BB6_20708 Depth=3
	v_cmp_lt_i16_e32 vcc, -1, v18
	v_mov_b32_e32 v1, 0xff800000
	v_mov_b32_e32 v2, 0x7f800000
	v_cndmask_b32_e32 v1, v1, v2, vcc
	v_cmp_eq_u32_e32 vcc, 0, v5
	v_mov_b32_e32 v2, 0x7f800001
	v_cndmask_b32_e32 v3, v2, v1, vcc
; %bb.23422:                            ;   in Loop: Header=BB6_20708 Depth=3
	s_or_b64 exec, exec, s[34:35]
.LBB6_23423:                            ;   in Loop: Header=BB6_20708 Depth=3
	s_or_b64 exec, exec, s[30:31]
.LBB6_23424:                            ;   in Loop: Header=BB6_20708 Depth=3
	s_or_b64 exec, exec, s[28:29]
	v_add_f32_e32 v3, v20, v3
	v_and_b32_e32 v20, 0x7f800000, v3
	v_mov_b32_e32 v21, v33
	v_cmp_ne_u64_e32 vcc, s[76:77], v[20:21]
	v_and_b32_e32 v1, 0x7fffff, v3
	v_mov_b32_e32 v2, v33
                                        ; implicit-def: $vgpr30
	s_and_saveexec_b64 s[28:29], vcc
	s_xor_b64 s[30:31], exec, s[28:29]
	s_cbranch_execz .LBB6_23438
; %bb.23425:                            ;   in Loop: Header=BB6_20708 Depth=3
	v_and_b32_e32 v20, 0x7fffffff, v3
	v_mov_b32_e32 v21, v33
	v_cmp_gt_u64_e32 vcc, s[78:79], v[20:21]
	v_and_b32_sdwa v5, v3, s97 dst_sel:DWORD dst_unused:UNUSED_PAD src0_sel:BYTE_3 src1_sel:DWORD
                                        ; implicit-def: $vgpr30
	s_and_saveexec_b64 s[28:29], vcc
	s_xor_b64 s[34:35], exec, s[28:29]
	s_cbranch_execz .LBB6_23435
; %bb.23426:                            ;   in Loop: Header=BB6_20708 Depth=3
	v_mov_b32_e32 v30, 0
	v_cmp_ne_u32_e32 vcc, 0, v3
	s_and_saveexec_b64 s[36:37], vcc
	s_cbranch_execz .LBB6_23434
; %bb.23427:                            ;   in Loop: Header=BB6_20708 Depth=3
	v_bfe_u32 v20, v3, 23, 8
	v_cmp_gt_u32_e64 s[28:29], s47, v20
	v_sub_u32_e32 v3, 0x71, v20
	v_cmp_eq_u32_e32 vcc, 0, v20
	v_cndmask_b32_e64 v3, 0, v3, s[28:29]
	v_mov_b32_e32 v16, 0x70
	v_cndmask_b32_e32 v21, v3, v16, vcc
	v_add_u32_e32 v3, 21, v21
	v_or_b32_e32 v7, 0x800000, v1
	v_lshlrev_b64 v[29:30], v3, -1
	v_cndmask_b32_e32 v1, v7, v1, vcc
	v_add_u32_e32 v3, 20, v21
	v_bfi_b32 v29, v29, 0, v1
	v_lshlrev_b64 v[49:50], v3, 1
	v_lshrrev_b64 v[1:2], v21, v[1:2]
	v_bfi_b32 v30, v30, 0, 0
	v_cmp_eq_u64_e64 s[28:29], v[29:30], v[49:50]
	v_mov_b32_e32 v3, v2
	v_mov_b32_e32 v2, v1
	s_and_saveexec_b64 s[38:39], s[28:29]
; %bb.23428:                            ;   in Loop: Header=BB6_20708 Depth=3
	v_bfe_u32 v2, v1, 21, 1
	v_add_co_u32_e64 v2, s[28:29], v1, v2
	v_add_co_u32_e64 v2, s[28:29], -1, v2
; %bb.23429:                            ;   in Loop: Header=BB6_20708 Depth=3
	s_or_b64 exec, exec, s[38:39]
	v_add_u32_e32 v3, 0xffffff81, v20
	v_mov_b32_e32 v7, 0xffffff82
	v_cndmask_b32_e32 v3, v3, v7, vcc
	v_lshrrev_b32_e32 v7, 23, v1
	v_add3_u32 v20, v21, v3, v7
	v_add_u32_e32 v7, 14, v20
	v_and_b32_e32 v2, 0x1fffff, v2
	v_add_u32_e32 v1, v2, v1
	v_mov_b32_e32 v2, v33
	v_cmp_ne_u32_e32 vcc, 0, v7
                                        ; implicit-def: $vgpr3
	s_and_saveexec_b64 s[28:29], vcc
	s_xor_b64 s[28:29], exec, s[28:29]
; %bb.23430:                            ;   in Loop: Header=BB6_20708 Depth=3
	v_cmp_lt_u64_e32 vcc, s[88:89], v[1:2]
	v_add_u32_e32 v3, 15, v20
	v_cndmask_b32_e32 v3, v7, v3, vcc
	v_cndmask_b32_e64 v7, 0, 1, vcc
	v_lshrrev_b64 v[1:2], v7, v[1:2]
; %bb.23431:                            ;   in Loop: Header=BB6_20708 Depth=3
	s_andn2_saveexec_b64 s[28:29], s[28:29]
; %bb.23432:                            ;   in Loop: Header=BB6_20708 Depth=3
	v_bfe_u32 v3, v1, 23, 1
; %bb.23433:                            ;   in Loop: Header=BB6_20708 Depth=3
	s_or_b64 exec, exec, s[28:29]
	v_lshrrev_b64 v[1:2], 21, v[1:2]
	v_cmp_gt_i32_e32 vcc, 32, v3
	v_cndmask_b32_e32 v2, 0, v2, vcc
	v_cndmask_b32_e32 v1, 3, v1, vcc
	v_cmp_eq_u64_e64 s[28:29], 0, v[1:2]
	v_min_i32_e32 v2, 31, v3
	v_lshlrev_b32_e32 v2, 2, v2
	v_cmp_eq_u32_e32 vcc, 0, v3
	v_and_b32_e32 v2, 0xfc, v2
	v_and_or_b32 v1, v1, 3, v2
	s_and_b64 s[28:29], vcc, s[28:29]
	v_cndmask_b32_e64 v1, v1, 0, s[28:29]
	v_or_b32_e32 v30, v1, v5
.LBB6_23434:                            ;   in Loop: Header=BB6_20708 Depth=3
	s_or_b64 exec, exec, s[36:37]
                                        ; implicit-def: $vgpr5
.LBB6_23435:                            ;   in Loop: Header=BB6_20708 Depth=3
	s_andn2_saveexec_b64 s[28:29], s[34:35]
; %bb.23436:                            ;   in Loop: Header=BB6_20708 Depth=3
	v_or_b32_e32 v30, 0x7b, v5
; %bb.23437:                            ;   in Loop: Header=BB6_20708 Depth=3
	s_or_b64 exec, exec, s[28:29]
                                        ; implicit-def: $vgpr3
                                        ; implicit-def: $vgpr1_vgpr2
.LBB6_23438:                            ;   in Loop: Header=BB6_20708 Depth=3
	s_andn2_saveexec_b64 s[28:29], s[30:31]
	s_cbranch_execz .LBB6_23444
; %bb.23439:                            ;   in Loop: Header=BB6_20708 Depth=3
	v_cmp_ne_u64_e32 vcc, 0, v[1:2]
                                        ; implicit-def: $vgpr30
	s_and_saveexec_b64 s[62:63], vcc
	s_xor_b64 vcc, exec, s[62:63]
; %bb.23440:                            ;   in Loop: Header=BB6_20708 Depth=3
	v_or_b32_sdwa v30, v3, s44 dst_sel:DWORD dst_unused:UNUSED_PAD src0_sel:BYTE_3 src1_sel:DWORD
                                        ; implicit-def: $vgpr3
; %bb.23441:                            ;   in Loop: Header=BB6_20708 Depth=3
	s_andn2_saveexec_b64 s[30:31], vcc
; %bb.23442:                            ;   in Loop: Header=BB6_20708 Depth=3
	v_cmp_lt_i32_e32 vcc, -1, v3
	v_bfrev_b32_e32 v1, 0.5
	v_mov_b32_e32 v2, 0x7c
	v_cndmask_b32_e32 v30, v1, v2, vcc
; %bb.23443:                            ;   in Loop: Header=BB6_20708 Depth=3
	s_or_b64 exec, exec, s[30:31]
.LBB6_23444:                            ;   in Loop: Header=BB6_20708 Depth=3
	s_or_b64 exec, exec, s[28:29]
	v_and_b32_sdwa v5, v0, s96 dst_sel:DWORD dst_unused:UNUSED_PAD src0_sel:WORD_1 src1_sel:DWORD
	v_lshrrev_b32_e32 v1, 16, v0
	v_cmp_ne_u16_e32 vcc, 0, v5
	v_mov_b32_e32 v2, 0
	v_mov_b32_e32 v3, 0
	s_and_saveexec_b64 s[28:29], vcc
	s_cbranch_execz .LBB6_23452
; %bb.23445:                            ;   in Loop: Header=BB6_20708 Depth=3
	v_cmp_ne_u16_e32 vcc, s97, v5
	v_bfrev_b32_e32 v3, 1
	s_and_saveexec_b64 s[30:31], vcc
	s_cbranch_execz .LBB6_23451
; %bb.23446:                            ;   in Loop: Header=BB6_20708 Depth=3
	v_and_b32_e32 v3, 0x7c0000, v0
	v_bfe_u32 v5, v0, 16, 2
	v_cmp_ne_u32_e32 vcc, s45, v3
                                        ; implicit-def: $vgpr3
	s_and_saveexec_b64 s[62:63], vcc
	s_xor_b64 s[34:35], exec, s[62:63]
	s_cbranch_execz .LBB6_23448
; %bb.23447:                            ;   in Loop: Header=BB6_20708 Depth=3
	v_ffbh_u32_e32 v7, v5
	v_min_u32_e32 v7, 32, v7
	v_subrev_u32_e32 v16, 29, v7
	v_lshlrev_b64 v[20:21], v16, v[1:2]
	v_bfe_u32 v3, v0, 18, 5
	v_sub_u32_e32 v1, 30, v7
	v_and_b32_e32 v7, 3, v20
	v_cmp_eq_u32_e32 vcc, 0, v3
	v_cndmask_b32_e32 v1, v3, v1, vcc
	v_cndmask_b32_e32 v3, v5, v7, vcc
	v_lshlrev_b32_e32 v5, 8, v0
	v_and_b32_e32 v5, 0x80000000, v5
	v_lshl_add_u32 v1, v1, 23, v5
	v_lshl_or_b32 v1, v3, 21, v1
	v_add_u32_e32 v3, 0x38000000, v1
                                        ; implicit-def: $vgpr5
                                        ; implicit-def: $vgpr1
.LBB6_23448:                            ;   in Loop: Header=BB6_20708 Depth=3
	s_andn2_saveexec_b64 s[34:35], s[34:35]
; %bb.23449:                            ;   in Loop: Header=BB6_20708 Depth=3
	v_mov_b32_e32 v3, -1
	v_cmp_gt_i16_sdwa vcc, sext(v1), v3 src0_sel:BYTE_0 src1_sel:DWORD
	v_mov_b32_e32 v1, 0xff800000
	v_mov_b32_e32 v3, 0x7f800000
	v_cndmask_b32_e32 v1, v1, v3, vcc
	v_cmp_eq_u32_e32 vcc, 0, v5
	v_mov_b32_e32 v3, 0x7f800001
	v_cndmask_b32_e32 v3, v3, v1, vcc
; %bb.23450:                            ;   in Loop: Header=BB6_20708 Depth=3
	s_or_b64 exec, exec, s[34:35]
.LBB6_23451:                            ;   in Loop: Header=BB6_20708 Depth=3
	s_or_b64 exec, exec, s[30:31]
.LBB6_23452:                            ;   in Loop: Header=BB6_20708 Depth=3
	s_or_b64 exec, exec, s[28:29]
	v_lshrrev_b32_e32 v1, 16, v18
	v_cmp_ne_u16_sdwa s[62:63], v1, v33 src0_sel:BYTE_0 src1_sel:DWORD
	s_and_saveexec_b64 s[28:29], s[62:63]
	s_cbranch_execz .LBB6_23460
; %bb.23453:                            ;   in Loop: Header=BB6_20708 Depth=3
	v_cmp_ne_u16_sdwa s[62:63], v1, s97 src0_sel:BYTE_0 src1_sel:DWORD
	v_bfrev_b32_e32 v2, 1
	s_and_saveexec_b64 s[30:31], s[62:63]
	s_cbranch_execz .LBB6_23459
; %bb.23454:                            ;   in Loop: Header=BB6_20708 Depth=3
	v_and_b32_e32 v2, 0x7c0000, v18
	v_bfe_u32 v5, v18, 16, 2
	v_cmp_ne_u32_e32 vcc, s45, v2
                                        ; implicit-def: $vgpr2
	s_and_saveexec_b64 s[62:63], vcc
	s_xor_b64 s[34:35], exec, s[62:63]
	s_cbranch_execz .LBB6_23456
; %bb.23455:                            ;   in Loop: Header=BB6_20708 Depth=3
	v_ffbh_u32_e32 v2, v5
	v_min_u32_e32 v16, 32, v2
	v_subrev_u32_e32 v2, 29, v16
	v_lshlrev_b64 v[1:2], v2, v[1:2]
	v_bfe_u32 v7, v18, 18, 5
	v_and_b32_e32 v1, 3, v1
	v_cmp_eq_u32_e32 vcc, 0, v7
	v_sub_u32_e32 v2, 30, v16
	v_cndmask_b32_e32 v1, v5, v1, vcc
	v_lshlrev_b32_e32 v5, 8, v18
	v_cndmask_b32_e32 v2, v7, v2, vcc
	v_and_b32_e32 v5, 0x80000000, v5
	v_lshl_add_u32 v2, v2, 23, v5
	v_lshl_or_b32 v1, v1, 21, v2
	v_add_u32_e32 v2, 0x38000000, v1
                                        ; implicit-def: $vgpr5
                                        ; implicit-def: $vgpr1
.LBB6_23456:                            ;   in Loop: Header=BB6_20708 Depth=3
	s_andn2_saveexec_b64 s[34:35], s[34:35]
; %bb.23457:                            ;   in Loop: Header=BB6_20708 Depth=3
	v_mov_b32_e32 v2, -1
	v_cmp_gt_i16_sdwa vcc, sext(v1), v2 src0_sel:BYTE_0 src1_sel:DWORD
	v_mov_b32_e32 v1, 0xff800000
	v_mov_b32_e32 v2, 0x7f800000
	v_cndmask_b32_e32 v1, v1, v2, vcc
	v_cmp_eq_u32_e32 vcc, 0, v5
	v_mov_b32_e32 v2, 0x7f800001
	v_cndmask_b32_e32 v2, v2, v1, vcc
; %bb.23458:                            ;   in Loop: Header=BB6_20708 Depth=3
	s_or_b64 exec, exec, s[34:35]
.LBB6_23459:                            ;   in Loop: Header=BB6_20708 Depth=3
	s_or_b64 exec, exec, s[30:31]
.LBB6_23460:                            ;   in Loop: Header=BB6_20708 Depth=3
	s_or_b64 exec, exec, s[28:29]
	v_add_f32_e32 v3, v3, v2
	v_and_b32_e32 v20, 0x7f800000, v3
	v_mov_b32_e32 v21, v33
	v_cmp_ne_u64_e32 vcc, s[76:77], v[20:21]
	v_and_b32_e32 v1, 0x7fffff, v3
	v_mov_b32_e32 v2, v33
                                        ; implicit-def: $vgpr39
	s_and_saveexec_b64 s[28:29], vcc
	s_xor_b64 s[30:31], exec, s[28:29]
	s_cbranch_execz .LBB6_23474
; %bb.23461:                            ;   in Loop: Header=BB6_20708 Depth=3
	v_and_b32_e32 v20, 0x7fffffff, v3
	v_mov_b32_e32 v21, v33
	v_cmp_gt_u64_e32 vcc, s[78:79], v[20:21]
	v_and_b32_sdwa v5, v3, s97 dst_sel:DWORD dst_unused:UNUSED_PAD src0_sel:BYTE_3 src1_sel:DWORD
                                        ; implicit-def: $vgpr39
	s_and_saveexec_b64 s[28:29], vcc
	s_xor_b64 s[34:35], exec, s[28:29]
	s_cbranch_execz .LBB6_23471
; %bb.23462:                            ;   in Loop: Header=BB6_20708 Depth=3
	v_mov_b32_e32 v39, 0
	v_cmp_ne_u32_e32 vcc, 0, v3
	s_and_saveexec_b64 s[36:37], vcc
	s_cbranch_execz .LBB6_23470
; %bb.23463:                            ;   in Loop: Header=BB6_20708 Depth=3
	v_bfe_u32 v20, v3, 23, 8
	v_cmp_gt_u32_e64 s[28:29], s47, v20
	v_sub_u32_e32 v3, 0x71, v20
	v_cmp_eq_u32_e32 vcc, 0, v20
	v_cndmask_b32_e64 v3, 0, v3, s[28:29]
	v_mov_b32_e32 v16, 0x70
	v_cndmask_b32_e32 v21, v3, v16, vcc
	v_add_u32_e32 v3, 21, v21
	v_or_b32_e32 v7, 0x800000, v1
	v_lshlrev_b64 v[49:50], v3, -1
	v_cndmask_b32_e32 v1, v7, v1, vcc
	v_add_u32_e32 v3, 20, v21
	v_bfi_b32 v49, v49, 0, v1
	v_lshlrev_b64 v[51:52], v3, 1
	v_lshrrev_b64 v[1:2], v21, v[1:2]
	v_bfi_b32 v50, v50, 0, 0
	v_cmp_eq_u64_e64 s[28:29], v[49:50], v[51:52]
	v_mov_b32_e32 v3, v2
	v_mov_b32_e32 v2, v1
	s_and_saveexec_b64 s[38:39], s[28:29]
; %bb.23464:                            ;   in Loop: Header=BB6_20708 Depth=3
	v_bfe_u32 v2, v1, 21, 1
	v_add_co_u32_e64 v2, s[28:29], v1, v2
	v_add_co_u32_e64 v2, s[28:29], -1, v2
; %bb.23465:                            ;   in Loop: Header=BB6_20708 Depth=3
	s_or_b64 exec, exec, s[38:39]
	v_add_u32_e32 v3, 0xffffff81, v20
	v_mov_b32_e32 v7, 0xffffff82
	v_cndmask_b32_e32 v3, v3, v7, vcc
	v_lshrrev_b32_e32 v7, 23, v1
	v_add3_u32 v20, v21, v3, v7
	v_add_u32_e32 v7, 14, v20
	v_and_b32_e32 v2, 0x1fffff, v2
	v_add_u32_e32 v1, v2, v1
	v_mov_b32_e32 v2, v33
	v_cmp_ne_u32_e32 vcc, 0, v7
                                        ; implicit-def: $vgpr3
	s_and_saveexec_b64 s[28:29], vcc
	s_xor_b64 s[28:29], exec, s[28:29]
; %bb.23466:                            ;   in Loop: Header=BB6_20708 Depth=3
	v_cmp_lt_u64_e32 vcc, s[88:89], v[1:2]
	v_add_u32_e32 v3, 15, v20
	v_cndmask_b32_e32 v3, v7, v3, vcc
	v_cndmask_b32_e64 v7, 0, 1, vcc
	v_lshrrev_b64 v[1:2], v7, v[1:2]
; %bb.23467:                            ;   in Loop: Header=BB6_20708 Depth=3
	s_andn2_saveexec_b64 s[28:29], s[28:29]
; %bb.23468:                            ;   in Loop: Header=BB6_20708 Depth=3
	v_bfe_u32 v3, v1, 23, 1
; %bb.23469:                            ;   in Loop: Header=BB6_20708 Depth=3
	s_or_b64 exec, exec, s[28:29]
	v_lshrrev_b64 v[1:2], 21, v[1:2]
	v_cmp_gt_i32_e32 vcc, 32, v3
	v_cndmask_b32_e32 v2, 0, v2, vcc
	v_cndmask_b32_e32 v1, 3, v1, vcc
	v_cmp_eq_u64_e64 s[28:29], 0, v[1:2]
	v_min_i32_e32 v2, 31, v3
	v_lshlrev_b32_e32 v2, 2, v2
	v_cmp_eq_u32_e32 vcc, 0, v3
	v_and_b32_e32 v2, 0xfc, v2
	v_and_or_b32 v1, v1, 3, v2
	s_and_b64 s[28:29], vcc, s[28:29]
	v_cndmask_b32_e64 v1, v1, 0, s[28:29]
	v_or_b32_e32 v39, v1, v5
.LBB6_23470:                            ;   in Loop: Header=BB6_20708 Depth=3
	s_or_b64 exec, exec, s[36:37]
                                        ; implicit-def: $vgpr5
.LBB6_23471:                            ;   in Loop: Header=BB6_20708 Depth=3
	s_andn2_saveexec_b64 s[28:29], s[34:35]
; %bb.23472:                            ;   in Loop: Header=BB6_20708 Depth=3
	v_or_b32_e32 v39, 0x7b, v5
; %bb.23473:                            ;   in Loop: Header=BB6_20708 Depth=3
	s_or_b64 exec, exec, s[28:29]
                                        ; implicit-def: $vgpr3
                                        ; implicit-def: $vgpr1_vgpr2
.LBB6_23474:                            ;   in Loop: Header=BB6_20708 Depth=3
	s_andn2_saveexec_b64 s[28:29], s[30:31]
	s_cbranch_execz .LBB6_23480
; %bb.23475:                            ;   in Loop: Header=BB6_20708 Depth=3
	v_cmp_ne_u64_e32 vcc, 0, v[1:2]
                                        ; implicit-def: $vgpr39
	s_and_saveexec_b64 s[62:63], vcc
	s_xor_b64 vcc, exec, s[62:63]
; %bb.23476:                            ;   in Loop: Header=BB6_20708 Depth=3
	v_or_b32_sdwa v39, v3, s44 dst_sel:DWORD dst_unused:UNUSED_PAD src0_sel:BYTE_3 src1_sel:DWORD
                                        ; implicit-def: $vgpr3
; %bb.23477:                            ;   in Loop: Header=BB6_20708 Depth=3
	s_andn2_saveexec_b64 s[30:31], vcc
; %bb.23478:                            ;   in Loop: Header=BB6_20708 Depth=3
	v_cmp_lt_i32_e32 vcc, -1, v3
	v_bfrev_b32_e32 v1, 0.5
	v_mov_b32_e32 v2, 0x7c
	v_cndmask_b32_e32 v39, v1, v2, vcc
; %bb.23479:                            ;   in Loop: Header=BB6_20708 Depth=3
	s_or_b64 exec, exec, s[30:31]
.LBB6_23480:                            ;   in Loop: Header=BB6_20708 Depth=3
	s_or_b64 exec, exec, s[28:29]
	v_cmp_lt_u32_e32 vcc, s57, v0
	v_mov_b32_e32 v2, 0
	v_mov_b32_e32 v3, 0
	s_and_saveexec_b64 s[28:29], vcc
	s_cbranch_execz .LBB6_23488
; %bb.23481:                            ;   in Loop: Header=BB6_20708 Depth=3
	v_lshrrev_b32_e32 v1, 24, v0
	v_cmp_ne_u32_e32 vcc, s97, v1
	v_bfrev_b32_e32 v3, 1
	s_and_saveexec_b64 s[30:31], vcc
	s_cbranch_execz .LBB6_23487
; %bb.23482:                            ;   in Loop: Header=BB6_20708 Depth=3
	v_and_b32_e32 v3, 0x7c000000, v0
	v_bfe_u32 v5, v0, 24, 2
	v_cmp_ne_u32_e32 vcc, s68, v3
                                        ; implicit-def: $vgpr3
	s_and_saveexec_b64 s[62:63], vcc
	s_xor_b64 s[34:35], exec, s[62:63]
	s_cbranch_execz .LBB6_23484
; %bb.23483:                            ;   in Loop: Header=BB6_20708 Depth=3
	v_ffbh_u32_e32 v7, v5
	v_min_u32_e32 v7, 32, v7
	v_subrev_u32_e32 v16, 29, v7
	v_bfe_u32 v3, v0, 26, 5
	v_lshlrev_b64 v[20:21], v16, v[1:2]
	v_sub_u32_e32 v1, 30, v7
	v_cmp_eq_u32_e32 vcc, 0, v3
	v_and_b32_e32 v7, 3, v20
	v_cndmask_b32_e32 v1, v3, v1, vcc
	v_and_b32_e32 v0, 0x80000000, v0
	v_cndmask_b32_e32 v3, v5, v7, vcc
	v_lshl_add_u32 v0, v1, 23, v0
	v_lshl_or_b32 v0, v3, 21, v0
	v_add_u32_e32 v3, 0x38000000, v0
                                        ; implicit-def: $vgpr5
                                        ; implicit-def: $vgpr0_vgpr1
.LBB6_23484:                            ;   in Loop: Header=BB6_20708 Depth=3
	s_andn2_saveexec_b64 s[34:35], s[34:35]
; %bb.23485:                            ;   in Loop: Header=BB6_20708 Depth=3
	v_cmp_lt_i32_e32 vcc, -1, v0
	v_mov_b32_e32 v0, 0xff800000
	v_mov_b32_e32 v1, 0x7f800000
	v_cndmask_b32_e32 v0, v0, v1, vcc
	v_cmp_eq_u32_e32 vcc, 0, v5
	v_mov_b32_e32 v1, 0x7f800001
	v_cndmask_b32_e32 v3, v1, v0, vcc
; %bb.23486:                            ;   in Loop: Header=BB6_20708 Depth=3
	s_or_b64 exec, exec, s[34:35]
.LBB6_23487:                            ;   in Loop: Header=BB6_20708 Depth=3
	s_or_b64 exec, exec, s[30:31]
.LBB6_23488:                            ;   in Loop: Header=BB6_20708 Depth=3
	s_or_b64 exec, exec, s[28:29]
	v_cmp_lt_u32_e32 vcc, s57, v18
	s_and_saveexec_b64 s[28:29], vcc
	s_cbranch_execz .LBB6_23496
; %bb.23489:                            ;   in Loop: Header=BB6_20708 Depth=3
	v_lshrrev_b32_e32 v0, 24, v18
	v_cmp_ne_u32_e32 vcc, s97, v0
	v_bfrev_b32_e32 v2, 1
	s_and_saveexec_b64 s[30:31], vcc
	s_cbranch_execz .LBB6_23495
; %bb.23490:                            ;   in Loop: Header=BB6_20708 Depth=3
	v_and_b32_e32 v2, 0x7c000000, v18
	v_bfe_u32 v1, v18, 24, 2
	v_cmp_ne_u32_e32 vcc, s68, v2
                                        ; implicit-def: $vgpr2
	s_and_saveexec_b64 s[62:63], vcc
	s_xor_b64 s[34:35], exec, s[62:63]
	s_cbranch_execz .LBB6_23492
; %bb.23491:                            ;   in Loop: Header=BB6_20708 Depth=3
	v_ffbh_u32_e32 v5, v1
	v_min_u32_e32 v5, 32, v5
	v_subrev_u32_e32 v7, 29, v5
	v_bfe_u32 v2, v18, 26, 5
	v_lshlrev_b64 v[20:21], v7, v[0:1]
	v_sub_u32_e32 v0, 30, v5
	v_cmp_eq_u32_e32 vcc, 0, v2
	v_and_b32_e32 v5, 3, v20
	v_cndmask_b32_e32 v0, v2, v0, vcc
	v_and_b32_e32 v2, 0x80000000, v18
	v_cndmask_b32_e32 v1, v1, v5, vcc
	v_lshl_add_u32 v0, v0, 23, v2
	v_lshl_or_b32 v0, v1, 21, v0
	v_add_u32_e32 v2, 0x38000000, v0
                                        ; implicit-def: $vgpr1
.LBB6_23492:                            ;   in Loop: Header=BB6_20708 Depth=3
	s_andn2_saveexec_b64 s[34:35], s[34:35]
; %bb.23493:                            ;   in Loop: Header=BB6_20708 Depth=3
	v_cmp_lt_i32_e32 vcc, -1, v18
	v_mov_b32_e32 v0, 0xff800000
	v_mov_b32_e32 v2, 0x7f800000
	v_cndmask_b32_e32 v0, v0, v2, vcc
	v_cmp_eq_u32_e32 vcc, 0, v1
	v_mov_b32_e32 v1, 0x7f800001
	v_cndmask_b32_e32 v2, v1, v0, vcc
; %bb.23494:                            ;   in Loop: Header=BB6_20708 Depth=3
	s_or_b64 exec, exec, s[34:35]
.LBB6_23495:                            ;   in Loop: Header=BB6_20708 Depth=3
	s_or_b64 exec, exec, s[30:31]
.LBB6_23496:                            ;   in Loop: Header=BB6_20708 Depth=3
	s_or_b64 exec, exec, s[28:29]
	v_add_f32_e32 v2, v3, v2
	v_and_b32_e32 v20, 0x7f800000, v2
	v_mov_b32_e32 v21, v33
	v_cmp_ne_u64_e32 vcc, s[76:77], v[20:21]
	v_and_b32_e32 v0, 0x7fffff, v2
	v_mov_b32_e32 v1, v33
                                        ; implicit-def: $vgpr49
	s_and_saveexec_b64 s[28:29], vcc
	s_xor_b64 s[30:31], exec, s[28:29]
	s_cbranch_execz .LBB6_23510
; %bb.23497:                            ;   in Loop: Header=BB6_20708 Depth=3
	v_and_b32_e32 v20, 0x7fffffff, v2
	v_mov_b32_e32 v21, v33
	v_cmp_gt_u64_e32 vcc, s[78:79], v[20:21]
	v_and_b32_sdwa v3, v2, s97 dst_sel:DWORD dst_unused:UNUSED_PAD src0_sel:BYTE_3 src1_sel:DWORD
                                        ; implicit-def: $vgpr49
	s_and_saveexec_b64 s[28:29], vcc
	s_xor_b64 s[34:35], exec, s[28:29]
	s_cbranch_execz .LBB6_23507
; %bb.23498:                            ;   in Loop: Header=BB6_20708 Depth=3
	v_mov_b32_e32 v49, 0
	v_cmp_ne_u32_e32 vcc, 0, v2
	s_and_saveexec_b64 s[36:37], vcc
	s_cbranch_execz .LBB6_23506
; %bb.23499:                            ;   in Loop: Header=BB6_20708 Depth=3
	v_bfe_u32 v5, v2, 23, 8
	v_cmp_gt_u32_e64 s[28:29], s47, v5
	v_sub_u32_e32 v2, 0x71, v5
	v_cmp_eq_u32_e32 vcc, 0, v5
	v_cndmask_b32_e64 v2, 0, v2, s[28:29]
	v_mov_b32_e32 v16, 0x70
	v_cndmask_b32_e32 v20, v2, v16, vcc
	v_add_u32_e32 v2, 21, v20
	v_or_b32_e32 v7, 0x800000, v0
	v_lshlrev_b64 v[21:22], v2, -1
	v_cndmask_b32_e32 v0, v7, v0, vcc
	v_add_u32_e32 v2, 20, v20
	v_bfi_b32 v21, v21, 0, v0
	v_lshlrev_b64 v[49:50], v2, 1
	v_lshrrev_b64 v[0:1], v20, v[0:1]
	v_bfi_b32 v22, v22, 0, 0
	v_cmp_eq_u64_e64 s[28:29], v[21:22], v[49:50]
	v_mov_b32_e32 v2, v1
	v_mov_b32_e32 v1, v0
	s_and_saveexec_b64 s[38:39], s[28:29]
; %bb.23500:                            ;   in Loop: Header=BB6_20708 Depth=3
	v_bfe_u32 v1, v0, 21, 1
	v_add_co_u32_e64 v1, s[28:29], v0, v1
	v_add_co_u32_e64 v1, s[28:29], -1, v1
; %bb.23501:                            ;   in Loop: Header=BB6_20708 Depth=3
	s_or_b64 exec, exec, s[38:39]
	v_add_u32_e32 v2, 0xffffff81, v5
	v_mov_b32_e32 v5, 0xffffff82
	v_cndmask_b32_e32 v2, v2, v5, vcc
	v_lshrrev_b32_e32 v5, 23, v0
	v_add3_u32 v7, v20, v2, v5
	v_add_u32_e32 v5, 14, v7
	v_and_b32_e32 v1, 0x1fffff, v1
	v_add_u32_e32 v0, v1, v0
	v_mov_b32_e32 v1, v33
	v_cmp_ne_u32_e32 vcc, 0, v5
                                        ; implicit-def: $vgpr2
	s_and_saveexec_b64 s[28:29], vcc
	s_xor_b64 s[28:29], exec, s[28:29]
; %bb.23502:                            ;   in Loop: Header=BB6_20708 Depth=3
	v_cmp_lt_u64_e32 vcc, s[88:89], v[0:1]
	v_add_u32_e32 v2, 15, v7
	v_cndmask_b32_e32 v2, v5, v2, vcc
	v_cndmask_b32_e64 v5, 0, 1, vcc
	v_lshrrev_b64 v[0:1], v5, v[0:1]
; %bb.23503:                            ;   in Loop: Header=BB6_20708 Depth=3
	s_andn2_saveexec_b64 s[28:29], s[28:29]
; %bb.23504:                            ;   in Loop: Header=BB6_20708 Depth=3
	v_bfe_u32 v2, v0, 23, 1
; %bb.23505:                            ;   in Loop: Header=BB6_20708 Depth=3
	s_or_b64 exec, exec, s[28:29]
	v_lshrrev_b64 v[0:1], 21, v[0:1]
	v_cmp_gt_i32_e32 vcc, 32, v2
	v_cndmask_b32_e32 v1, 0, v1, vcc
	v_cndmask_b32_e32 v0, 3, v0, vcc
	v_cmp_eq_u64_e64 s[28:29], 0, v[0:1]
	v_min_i32_e32 v1, 31, v2
	v_lshlrev_b32_e32 v1, 2, v1
	v_cmp_eq_u32_e32 vcc, 0, v2
	v_and_b32_e32 v1, 0xfc, v1
	v_and_or_b32 v0, v0, 3, v1
	s_and_b64 s[28:29], vcc, s[28:29]
	v_cndmask_b32_e64 v0, v0, 0, s[28:29]
	v_or_b32_e32 v49, v0, v3
.LBB6_23506:                            ;   in Loop: Header=BB6_20708 Depth=3
	s_or_b64 exec, exec, s[36:37]
                                        ; implicit-def: $vgpr3
.LBB6_23507:                            ;   in Loop: Header=BB6_20708 Depth=3
	s_andn2_saveexec_b64 s[28:29], s[34:35]
; %bb.23508:                            ;   in Loop: Header=BB6_20708 Depth=3
	v_or_b32_e32 v49, 0x7b, v3
; %bb.23509:                            ;   in Loop: Header=BB6_20708 Depth=3
	s_or_b64 exec, exec, s[28:29]
                                        ; implicit-def: $vgpr2
                                        ; implicit-def: $vgpr0_vgpr1
.LBB6_23510:                            ;   in Loop: Header=BB6_20708 Depth=3
	s_andn2_saveexec_b64 s[28:29], s[30:31]
	s_cbranch_execz .LBB6_23516
; %bb.23511:                            ;   in Loop: Header=BB6_20708 Depth=3
	v_cmp_ne_u64_e32 vcc, 0, v[0:1]
                                        ; implicit-def: $vgpr49
	s_and_saveexec_b64 s[62:63], vcc
	s_xor_b64 vcc, exec, s[62:63]
; %bb.23512:                            ;   in Loop: Header=BB6_20708 Depth=3
	v_or_b32_sdwa v49, v2, s44 dst_sel:DWORD dst_unused:UNUSED_PAD src0_sel:BYTE_3 src1_sel:DWORD
                                        ; implicit-def: $vgpr2
; %bb.23513:                            ;   in Loop: Header=BB6_20708 Depth=3
	s_andn2_saveexec_b64 s[30:31], vcc
; %bb.23514:                            ;   in Loop: Header=BB6_20708 Depth=3
	v_cmp_lt_i32_e32 vcc, -1, v2
	v_bfrev_b32_e32 v0, 0.5
	v_mov_b32_e32 v1, 0x7c
	v_cndmask_b32_e32 v49, v0, v1, vcc
; %bb.23515:                            ;   in Loop: Header=BB6_20708 Depth=3
	s_or_b64 exec, exec, s[30:31]
.LBB6_23516:                            ;   in Loop: Header=BB6_20708 Depth=3
	s_or_b64 exec, exec, s[28:29]
	buffer_load_dword v0, off, s[0:3], s33 offset:336 ; 4-byte Folded Reload
	buffer_load_dword v1, off, s[0:3], s33 offset:320 ; 4-byte Folded Reload
	;; [unrolled: 1-line block ×3, first 2 shown]
	v_cmp_ne_u32_e32 vcc, 0, v6
	v_mov_b32_e32 v3, 0
	s_waitcnt vmcnt(2)
	v_lshlrev_b32_e32 v0, 24, v0
	s_waitcnt vmcnt(1)
	v_lshlrev_b32_e32 v1, 16, v1
	s_waitcnt vmcnt(0)
	v_lshl_or_b32 v5, v2, 8, v6
	v_or3_b32 v0, v1, v0, v5
	v_mov_b32_e32 v1, v33
	v_mov_b32_e32 v2, 0
	s_and_saveexec_b64 s[30:31], vcc
	s_cbranch_execz .LBB6_23524
; %bb.23517:                            ;   in Loop: Header=BB6_20708 Depth=3
	v_cmp_ne_u32_e32 vcc, s97, v6
	v_bfrev_b32_e32 v3, 1
	s_and_saveexec_b64 s[34:35], vcc
	s_cbranch_execz .LBB6_23523
; %bb.23518:                            ;   in Loop: Header=BB6_20708 Depth=3
	v_and_b32_e32 v3, 0x7c, v6
	v_and_b32_e32 v7, 3, v6
	v_cmp_ne_u32_e32 vcc, s86, v3
                                        ; implicit-def: $vgpr3
	s_and_saveexec_b64 s[28:29], vcc
	s_xor_b64 s[28:29], exec, s[28:29]
	s_cbranch_execz .LBB6_23520
; %bb.23519:                            ;   in Loop: Header=BB6_20708 Depth=3
	v_ffbh_u32_e32 v16, v7
	v_min_u32_e32 v16, 32, v16
	v_subrev_u32_e32 v17, 29, v16
	v_bfe_u32 v3, v6, 2, 5
	v_lshlrev_b64 v[20:21], v17, v[0:1]
	v_sub_u32_e32 v1, 30, v16
	v_cmp_eq_u32_e32 vcc, 0, v3
	v_lshlrev_b32_e32 v6, 24, v6
	v_and_b32_e32 v16, 3, v20
	v_cndmask_b32_e32 v1, v3, v1, vcc
	v_and_b32_e32 v6, 0x80000000, v6
	v_cndmask_b32_e32 v3, v7, v16, vcc
	v_lshl_add_u32 v1, v1, 23, v6
	v_lshl_or_b32 v1, v3, 21, v1
	v_add_u32_e32 v3, 0x38000000, v1
                                        ; implicit-def: $vgpr7
                                        ; implicit-def: $vgpr6
.LBB6_23520:                            ;   in Loop: Header=BB6_20708 Depth=3
	s_andn2_saveexec_b64 s[36:37], s[28:29]
; %bb.23521:                            ;   in Loop: Header=BB6_20708 Depth=3
	v_and_b32_e32 v1, 0x80, v6
	v_cmp_eq_u32_e64 s[28:29], 0, v1
	v_mov_b32_e32 v1, 0xff800000
	v_mov_b32_e32 v3, 0x7f800000
	v_cmp_eq_u32_e32 vcc, 0, v7
	v_cndmask_b32_e64 v1, v1, v3, s[28:29]
	v_mov_b32_e32 v3, 0x7f800001
	v_cndmask_b32_e32 v3, v3, v1, vcc
; %bb.23522:                            ;   in Loop: Header=BB6_20708 Depth=3
	s_or_b64 exec, exec, s[36:37]
.LBB6_23523:                            ;   in Loop: Header=BB6_20708 Depth=3
	s_or_b64 exec, exec, s[34:35]
.LBB6_23524:                            ;   in Loop: Header=BB6_20708 Depth=3
	s_or_b64 exec, exec, s[30:31]
	v_cmp_ne_u16_sdwa s[62:63], v19, v33 src0_sel:BYTE_0 src1_sel:DWORD
	s_and_saveexec_b64 s[28:29], s[62:63]
	s_cbranch_execz .LBB6_23532
; %bb.23525:                            ;   in Loop: Header=BB6_20708 Depth=3
	v_cmp_ne_u16_sdwa s[62:63], v19, s97 src0_sel:BYTE_0 src1_sel:DWORD
	v_bfrev_b32_e32 v2, 1
	s_and_saveexec_b64 s[30:31], s[62:63]
	s_cbranch_execz .LBB6_23531
; %bb.23526:                            ;   in Loop: Header=BB6_20708 Depth=3
	v_and_b32_e32 v2, 0x7c, v19
	v_and_b32_e32 v1, 3, v19
	v_cmp_ne_u32_e32 vcc, s86, v2
                                        ; implicit-def: $vgpr2
	s_and_saveexec_b64 s[62:63], vcc
	s_xor_b64 s[34:35], exec, s[62:63]
	s_cbranch_execz .LBB6_23528
; %bb.23527:                            ;   in Loop: Header=BB6_20708 Depth=3
	v_ffbh_u32_e32 v16, v1
	v_min_u32_e32 v16, 32, v16
	v_mov_b32_e32 v6, v19
	v_mov_b32_e32 v7, v33
	v_subrev_u32_e32 v17, 29, v16
	v_lshlrev_b64 v[6:7], v17, v[6:7]
	v_bfe_u32 v2, v19, 2, 5
	v_and_b32_e32 v6, 3, v6
	v_cmp_eq_u32_e32 vcc, 0, v2
	v_sub_u32_e32 v7, 30, v16
	v_cndmask_b32_e32 v1, v1, v6, vcc
	v_lshlrev_b32_e32 v6, 24, v19
	v_cndmask_b32_e32 v2, v2, v7, vcc
	v_and_b32_e32 v6, 0x80000000, v6
	v_lshl_add_u32 v2, v2, 23, v6
	v_lshl_or_b32 v1, v1, 21, v2
	v_add_u32_e32 v2, 0x38000000, v1
                                        ; implicit-def: $vgpr1
.LBB6_23528:                            ;   in Loop: Header=BB6_20708 Depth=3
	s_andn2_saveexec_b64 s[34:35], s[34:35]
; %bb.23529:                            ;   in Loop: Header=BB6_20708 Depth=3
	v_mov_b32_e32 v2, -1
	v_cmp_gt_i16_sdwa vcc, sext(v19), v2 src0_sel:BYTE_0 src1_sel:DWORD
	v_mov_b32_e32 v2, 0xff800000
	v_mov_b32_e32 v6, 0x7f800000
	v_cndmask_b32_e32 v2, v2, v6, vcc
	v_cmp_eq_u32_e32 vcc, 0, v1
	v_mov_b32_e32 v1, 0x7f800001
	v_cndmask_b32_e32 v2, v1, v2, vcc
; %bb.23530:                            ;   in Loop: Header=BB6_20708 Depth=3
	s_or_b64 exec, exec, s[34:35]
.LBB6_23531:                            ;   in Loop: Header=BB6_20708 Depth=3
	s_or_b64 exec, exec, s[30:31]
.LBB6_23532:                            ;   in Loop: Header=BB6_20708 Depth=3
	s_or_b64 exec, exec, s[28:29]
	v_add_f32_e32 v3, v3, v2
	v_and_b32_e32 v6, 0x7f800000, v3
	v_mov_b32_e32 v7, v33
	v_cmp_ne_u64_e32 vcc, s[76:77], v[6:7]
	v_and_b32_e32 v1, 0x7fffff, v3
	v_mov_b32_e32 v2, v33
                                        ; implicit-def: $vgpr6
	s_and_saveexec_b64 s[28:29], vcc
	s_xor_b64 s[30:31], exec, s[28:29]
	s_cbranch_execz .LBB6_23546
; %bb.23533:                            ;   in Loop: Header=BB6_20708 Depth=3
	v_and_b32_e32 v6, 0x7fffffff, v3
	v_mov_b32_e32 v7, v33
	v_cmp_gt_u64_e32 vcc, s[78:79], v[6:7]
	v_and_b32_sdwa v20, v3, s97 dst_sel:DWORD dst_unused:UNUSED_PAD src0_sel:BYTE_3 src1_sel:DWORD
                                        ; implicit-def: $vgpr6
	s_and_saveexec_b64 s[28:29], vcc
	s_xor_b64 s[34:35], exec, s[28:29]
	s_cbranch_execz .LBB6_23543
; %bb.23534:                            ;   in Loop: Header=BB6_20708 Depth=3
	v_mov_b32_e32 v6, 0
	v_cmp_ne_u32_e32 vcc, 0, v3
	s_and_saveexec_b64 s[36:37], vcc
	s_cbranch_execz .LBB6_23542
; %bb.23535:                            ;   in Loop: Header=BB6_20708 Depth=3
	v_bfe_u32 v6, v3, 23, 8
	v_cmp_gt_u32_e64 s[28:29], s47, v6
	v_sub_u32_e32 v3, 0x71, v6
	v_cmp_eq_u32_e32 vcc, 0, v6
	v_cndmask_b32_e64 v3, 0, v3, s[28:29]
	v_mov_b32_e32 v16, 0x70
	v_cndmask_b32_e32 v21, v3, v16, vcc
	v_add_u32_e32 v3, 21, v21
	v_or_b32_e32 v7, 0x800000, v1
	v_lshlrev_b64 v[50:51], v3, -1
	v_cndmask_b32_e32 v1, v7, v1, vcc
	v_add_u32_e32 v3, 20, v21
	v_bfi_b32 v50, v50, 0, v1
	v_lshlrev_b64 v[54:55], v3, 1
	v_lshrrev_b64 v[1:2], v21, v[1:2]
	v_bfi_b32 v51, v51, 0, 0
	v_cmp_eq_u64_e64 s[28:29], v[50:51], v[54:55]
	v_mov_b32_e32 v3, v2
	v_mov_b32_e32 v2, v1
	s_and_saveexec_b64 s[38:39], s[28:29]
; %bb.23536:                            ;   in Loop: Header=BB6_20708 Depth=3
	v_bfe_u32 v2, v1, 21, 1
	v_add_co_u32_e64 v2, s[28:29], v1, v2
	v_add_co_u32_e64 v2, s[28:29], -1, v2
; %bb.23537:                            ;   in Loop: Header=BB6_20708 Depth=3
	s_or_b64 exec, exec, s[38:39]
	v_add_u32_e32 v3, 0xffffff81, v6
	v_mov_b32_e32 v6, 0xffffff82
	v_cndmask_b32_e32 v3, v3, v6, vcc
	v_lshrrev_b32_e32 v6, 23, v1
	v_add3_u32 v7, v21, v3, v6
	v_add_u32_e32 v6, 14, v7
	v_and_b32_e32 v2, 0x1fffff, v2
	v_add_u32_e32 v1, v2, v1
	v_mov_b32_e32 v2, v33
	v_cmp_ne_u32_e32 vcc, 0, v6
                                        ; implicit-def: $vgpr3
	s_and_saveexec_b64 s[28:29], vcc
	s_xor_b64 s[28:29], exec, s[28:29]
; %bb.23538:                            ;   in Loop: Header=BB6_20708 Depth=3
	v_cmp_lt_u64_e32 vcc, s[88:89], v[1:2]
	v_add_u32_e32 v3, 15, v7
	v_cndmask_b32_e32 v3, v6, v3, vcc
	v_cndmask_b32_e64 v6, 0, 1, vcc
	v_lshrrev_b64 v[1:2], v6, v[1:2]
; %bb.23539:                            ;   in Loop: Header=BB6_20708 Depth=3
	s_andn2_saveexec_b64 s[28:29], s[28:29]
; %bb.23540:                            ;   in Loop: Header=BB6_20708 Depth=3
	v_bfe_u32 v3, v1, 23, 1
; %bb.23541:                            ;   in Loop: Header=BB6_20708 Depth=3
	s_or_b64 exec, exec, s[28:29]
	v_lshrrev_b64 v[1:2], 21, v[1:2]
	v_cmp_gt_i32_e32 vcc, 32, v3
	v_cndmask_b32_e32 v2, 0, v2, vcc
	v_cndmask_b32_e32 v1, 3, v1, vcc
	v_cmp_eq_u64_e64 s[28:29], 0, v[1:2]
	v_min_i32_e32 v2, 31, v3
	v_lshlrev_b32_e32 v2, 2, v2
	v_cmp_eq_u32_e32 vcc, 0, v3
	v_and_b32_e32 v2, 0xfc, v2
	v_and_or_b32 v1, v1, 3, v2
	s_and_b64 s[28:29], vcc, s[28:29]
	v_cndmask_b32_e64 v1, v1, 0, s[28:29]
	v_or_b32_e32 v6, v1, v20
.LBB6_23542:                            ;   in Loop: Header=BB6_20708 Depth=3
	s_or_b64 exec, exec, s[36:37]
                                        ; implicit-def: $vgpr20
.LBB6_23543:                            ;   in Loop: Header=BB6_20708 Depth=3
	s_andn2_saveexec_b64 s[28:29], s[34:35]
; %bb.23544:                            ;   in Loop: Header=BB6_20708 Depth=3
	v_or_b32_e32 v6, 0x7b, v20
; %bb.23545:                            ;   in Loop: Header=BB6_20708 Depth=3
	s_or_b64 exec, exec, s[28:29]
                                        ; implicit-def: $vgpr3
                                        ; implicit-def: $vgpr1_vgpr2
.LBB6_23546:                            ;   in Loop: Header=BB6_20708 Depth=3
	s_andn2_saveexec_b64 s[28:29], s[30:31]
	s_cbranch_execz .LBB6_23552
; %bb.23547:                            ;   in Loop: Header=BB6_20708 Depth=3
	v_cmp_ne_u64_e32 vcc, 0, v[1:2]
                                        ; implicit-def: $vgpr6
	s_and_saveexec_b64 s[62:63], vcc
	s_xor_b64 vcc, exec, s[62:63]
; %bb.23548:                            ;   in Loop: Header=BB6_20708 Depth=3
	v_or_b32_sdwa v6, v3, s44 dst_sel:DWORD dst_unused:UNUSED_PAD src0_sel:BYTE_3 src1_sel:DWORD
                                        ; implicit-def: $vgpr3
; %bb.23549:                            ;   in Loop: Header=BB6_20708 Depth=3
	s_andn2_saveexec_b64 s[30:31], vcc
; %bb.23550:                            ;   in Loop: Header=BB6_20708 Depth=3
	v_cmp_lt_i32_e32 vcc, -1, v3
	v_bfrev_b32_e32 v1, 0.5
	v_mov_b32_e32 v2, 0x7c
	v_cndmask_b32_e32 v6, v1, v2, vcc
; %bb.23551:                            ;   in Loop: Header=BB6_20708 Depth=3
	s_or_b64 exec, exec, s[30:31]
.LBB6_23552:                            ;   in Loop: Header=BB6_20708 Depth=3
	s_or_b64 exec, exec, s[28:29]
	v_lshrrev_b16_e32 v1, 8, v5
	v_cmp_ne_u16_e32 vcc, 0, v1
	v_mov_b32_e32 v3, 0
	v_mov_b32_e32 v20, 0
	s_and_saveexec_b64 s[28:29], vcc
	s_cbranch_execz .LBB6_23560
; %bb.23553:                            ;   in Loop: Header=BB6_20708 Depth=3
	v_cmp_ne_u16_e32 vcc, s97, v1
	v_bfrev_b32_e32 v20, 1
	s_and_saveexec_b64 s[30:31], vcc
	s_cbranch_execz .LBB6_23559
; %bb.23554:                            ;   in Loop: Header=BB6_20708 Depth=3
	v_and_b32_e32 v2, 0x7c, v1
	v_and_b32_e32 v7, 3, v1
	v_cmp_ne_u32_e32 vcc, s86, v2
                                        ; implicit-def: $vgpr20
	s_and_saveexec_b64 s[62:63], vcc
	s_xor_b64 s[34:35], exec, s[62:63]
	s_cbranch_execz .LBB6_23556
; %bb.23555:                            ;   in Loop: Header=BB6_20708 Depth=3
	v_ffbh_u32_e32 v17, v7
	v_min_u32_e32 v17, 32, v17
	v_mov_b32_e32 v2, v33
	v_subrev_u32_e32 v20, 29, v17
	v_bfe_u32 v16, v1, 2, 5
	v_lshlrev_b64 v[1:2], v20, v[1:2]
	v_sub_u32_e32 v2, 30, v17
	v_cmp_eq_u32_e32 vcc, 0, v16
	v_lshlrev_b32_e32 v5, 16, v5
	v_and_b32_e32 v1, 3, v1
	v_cndmask_b32_e32 v2, v16, v2, vcc
	v_and_b32_e32 v5, 0x80000000, v5
	v_cndmask_b32_e32 v1, v7, v1, vcc
	v_lshl_add_u32 v2, v2, 23, v5
	v_lshl_or_b32 v1, v1, 21, v2
	v_add_u32_e32 v20, 0x38000000, v1
                                        ; implicit-def: $vgpr7
                                        ; implicit-def: $vgpr5
.LBB6_23556:                            ;   in Loop: Header=BB6_20708 Depth=3
	s_andn2_saveexec_b64 s[34:35], s[34:35]
; %bb.23557:                            ;   in Loop: Header=BB6_20708 Depth=3
	v_cmp_lt_i16_e32 vcc, -1, v5
	v_mov_b32_e32 v1, 0xff800000
	v_mov_b32_e32 v2, 0x7f800000
	v_cndmask_b32_e32 v1, v1, v2, vcc
	v_cmp_eq_u32_e32 vcc, 0, v7
	v_mov_b32_e32 v2, 0x7f800001
	v_cndmask_b32_e32 v20, v2, v1, vcc
; %bb.23558:                            ;   in Loop: Header=BB6_20708 Depth=3
	s_or_b64 exec, exec, s[34:35]
.LBB6_23559:                            ;   in Loop: Header=BB6_20708 Depth=3
	s_or_b64 exec, exec, s[30:31]
.LBB6_23560:                            ;   in Loop: Header=BB6_20708 Depth=3
	s_or_b64 exec, exec, s[28:29]
	v_lshrrev_b16_e32 v1, 8, v19
	v_cmp_ne_u16_e32 vcc, 0, v1
	s_and_saveexec_b64 s[28:29], vcc
	s_cbranch_execz .LBB6_23568
; %bb.23561:                            ;   in Loop: Header=BB6_20708 Depth=3
	v_cmp_ne_u16_e32 vcc, s97, v1
	v_bfrev_b32_e32 v3, 1
	s_and_saveexec_b64 s[30:31], vcc
	s_cbranch_execz .LBB6_23567
; %bb.23562:                            ;   in Loop: Header=BB6_20708 Depth=3
	v_and_b32_e32 v2, 0x7c, v1
	v_and_b32_e32 v5, 3, v1
	v_cmp_ne_u32_e32 vcc, s86, v2
                                        ; implicit-def: $vgpr3
	s_and_saveexec_b64 s[62:63], vcc
	s_xor_b64 s[34:35], exec, s[62:63]
	s_cbranch_execz .LBB6_23564
; %bb.23563:                            ;   in Loop: Header=BB6_20708 Depth=3
	v_ffbh_u32_e32 v7, v5
	v_min_u32_e32 v7, 32, v7
	v_mov_b32_e32 v2, v33
	v_subrev_u32_e32 v16, 29, v7
	v_bfe_u32 v3, v1, 2, 5
	v_lshlrev_b64 v[1:2], v16, v[1:2]
	v_sub_u32_e32 v2, 30, v7
	v_cmp_eq_u32_e32 vcc, 0, v3
	v_cndmask_b32_e32 v2, v3, v2, vcc
	v_lshlrev_b32_e32 v3, 16, v19
	v_and_b32_e32 v1, 3, v1
	v_and_b32_e32 v3, 0x80000000, v3
	v_cndmask_b32_e32 v1, v5, v1, vcc
	v_lshl_add_u32 v2, v2, 23, v3
	v_lshl_or_b32 v1, v1, 21, v2
	v_add_u32_e32 v3, 0x38000000, v1
                                        ; implicit-def: $vgpr5
.LBB6_23564:                            ;   in Loop: Header=BB6_20708 Depth=3
	s_andn2_saveexec_b64 s[34:35], s[34:35]
; %bb.23565:                            ;   in Loop: Header=BB6_20708 Depth=3
	v_cmp_lt_i16_e32 vcc, -1, v19
	v_mov_b32_e32 v1, 0xff800000
	v_mov_b32_e32 v2, 0x7f800000
	v_cndmask_b32_e32 v1, v1, v2, vcc
	v_cmp_eq_u32_e32 vcc, 0, v5
	v_mov_b32_e32 v2, 0x7f800001
	v_cndmask_b32_e32 v3, v2, v1, vcc
; %bb.23566:                            ;   in Loop: Header=BB6_20708 Depth=3
	s_or_b64 exec, exec, s[34:35]
.LBB6_23567:                            ;   in Loop: Header=BB6_20708 Depth=3
	s_or_b64 exec, exec, s[30:31]
.LBB6_23568:                            ;   in Loop: Header=BB6_20708 Depth=3
	s_or_b64 exec, exec, s[28:29]
	v_add_f32_e32 v3, v20, v3
	v_and_b32_e32 v20, 0x7f800000, v3
	v_mov_b32_e32 v21, v33
	v_cmp_ne_u64_e32 vcc, s[76:77], v[20:21]
	v_and_b32_e32 v1, 0x7fffff, v3
	v_mov_b32_e32 v2, v33
                                        ; implicit-def: $vgpr51
	s_and_saveexec_b64 s[28:29], vcc
	s_xor_b64 s[30:31], exec, s[28:29]
	s_cbranch_execz .LBB6_23582
; %bb.23569:                            ;   in Loop: Header=BB6_20708 Depth=3
	v_and_b32_e32 v20, 0x7fffffff, v3
	v_mov_b32_e32 v21, v33
	v_cmp_gt_u64_e32 vcc, s[78:79], v[20:21]
	v_and_b32_sdwa v5, v3, s97 dst_sel:DWORD dst_unused:UNUSED_PAD src0_sel:BYTE_3 src1_sel:DWORD
                                        ; implicit-def: $vgpr51
	s_and_saveexec_b64 s[28:29], vcc
	s_xor_b64 s[34:35], exec, s[28:29]
	s_cbranch_execz .LBB6_23579
; %bb.23570:                            ;   in Loop: Header=BB6_20708 Depth=3
	v_mov_b32_e32 v51, 0
	v_cmp_ne_u32_e32 vcc, 0, v3
	s_and_saveexec_b64 s[36:37], vcc
	s_cbranch_execz .LBB6_23578
; %bb.23571:                            ;   in Loop: Header=BB6_20708 Depth=3
	v_bfe_u32 v20, v3, 23, 8
	v_cmp_gt_u32_e64 s[28:29], s47, v20
	v_sub_u32_e32 v3, 0x71, v20
	v_cmp_eq_u32_e32 vcc, 0, v20
	v_cndmask_b32_e64 v3, 0, v3, s[28:29]
	v_mov_b32_e32 v16, 0x70
	v_cndmask_b32_e32 v21, v3, v16, vcc
	v_add_u32_e32 v3, 21, v21
	v_or_b32_e32 v7, 0x800000, v1
	v_lshlrev_b64 v[50:51], v3, -1
	v_cndmask_b32_e32 v1, v7, v1, vcc
	v_add_u32_e32 v3, 20, v21
	v_bfi_b32 v50, v50, 0, v1
	v_lshlrev_b64 v[54:55], v3, 1
	v_lshrrev_b64 v[1:2], v21, v[1:2]
	v_bfi_b32 v51, v51, 0, 0
	v_cmp_eq_u64_e64 s[28:29], v[50:51], v[54:55]
	v_mov_b32_e32 v3, v2
	v_mov_b32_e32 v2, v1
	s_and_saveexec_b64 s[38:39], s[28:29]
; %bb.23572:                            ;   in Loop: Header=BB6_20708 Depth=3
	v_bfe_u32 v2, v1, 21, 1
	v_add_co_u32_e64 v2, s[28:29], v1, v2
	v_add_co_u32_e64 v2, s[28:29], -1, v2
; %bb.23573:                            ;   in Loop: Header=BB6_20708 Depth=3
	s_or_b64 exec, exec, s[38:39]
	v_add_u32_e32 v3, 0xffffff81, v20
	v_mov_b32_e32 v7, 0xffffff82
	v_cndmask_b32_e32 v3, v3, v7, vcc
	v_lshrrev_b32_e32 v7, 23, v1
	v_add3_u32 v20, v21, v3, v7
	v_add_u32_e32 v7, 14, v20
	v_and_b32_e32 v2, 0x1fffff, v2
	v_add_u32_e32 v1, v2, v1
	v_mov_b32_e32 v2, v33
	v_cmp_ne_u32_e32 vcc, 0, v7
                                        ; implicit-def: $vgpr3
	s_and_saveexec_b64 s[28:29], vcc
	s_xor_b64 s[28:29], exec, s[28:29]
; %bb.23574:                            ;   in Loop: Header=BB6_20708 Depth=3
	v_cmp_lt_u64_e32 vcc, s[88:89], v[1:2]
	v_add_u32_e32 v3, 15, v20
	v_cndmask_b32_e32 v3, v7, v3, vcc
	v_cndmask_b32_e64 v7, 0, 1, vcc
	v_lshrrev_b64 v[1:2], v7, v[1:2]
; %bb.23575:                            ;   in Loop: Header=BB6_20708 Depth=3
	s_andn2_saveexec_b64 s[28:29], s[28:29]
; %bb.23576:                            ;   in Loop: Header=BB6_20708 Depth=3
	v_bfe_u32 v3, v1, 23, 1
; %bb.23577:                            ;   in Loop: Header=BB6_20708 Depth=3
	s_or_b64 exec, exec, s[28:29]
	v_lshrrev_b64 v[1:2], 21, v[1:2]
	v_cmp_gt_i32_e32 vcc, 32, v3
	v_cndmask_b32_e32 v2, 0, v2, vcc
	v_cndmask_b32_e32 v1, 3, v1, vcc
	v_cmp_eq_u64_e64 s[28:29], 0, v[1:2]
	v_min_i32_e32 v2, 31, v3
	v_lshlrev_b32_e32 v2, 2, v2
	v_cmp_eq_u32_e32 vcc, 0, v3
	v_and_b32_e32 v2, 0xfc, v2
	v_and_or_b32 v1, v1, 3, v2
	s_and_b64 s[28:29], vcc, s[28:29]
	v_cndmask_b32_e64 v1, v1, 0, s[28:29]
	v_or_b32_e32 v51, v1, v5
.LBB6_23578:                            ;   in Loop: Header=BB6_20708 Depth=3
	s_or_b64 exec, exec, s[36:37]
                                        ; implicit-def: $vgpr5
.LBB6_23579:                            ;   in Loop: Header=BB6_20708 Depth=3
	s_andn2_saveexec_b64 s[28:29], s[34:35]
; %bb.23580:                            ;   in Loop: Header=BB6_20708 Depth=3
	v_or_b32_e32 v51, 0x7b, v5
; %bb.23581:                            ;   in Loop: Header=BB6_20708 Depth=3
	s_or_b64 exec, exec, s[28:29]
                                        ; implicit-def: $vgpr3
                                        ; implicit-def: $vgpr1_vgpr2
.LBB6_23582:                            ;   in Loop: Header=BB6_20708 Depth=3
	s_andn2_saveexec_b64 s[28:29], s[30:31]
	s_cbranch_execz .LBB6_23588
; %bb.23583:                            ;   in Loop: Header=BB6_20708 Depth=3
	v_cmp_ne_u64_e32 vcc, 0, v[1:2]
                                        ; implicit-def: $vgpr51
	s_and_saveexec_b64 s[62:63], vcc
	s_xor_b64 vcc, exec, s[62:63]
; %bb.23584:                            ;   in Loop: Header=BB6_20708 Depth=3
	v_or_b32_sdwa v51, v3, s44 dst_sel:DWORD dst_unused:UNUSED_PAD src0_sel:BYTE_3 src1_sel:DWORD
                                        ; implicit-def: $vgpr3
; %bb.23585:                            ;   in Loop: Header=BB6_20708 Depth=3
	s_andn2_saveexec_b64 s[30:31], vcc
; %bb.23586:                            ;   in Loop: Header=BB6_20708 Depth=3
	v_cmp_lt_i32_e32 vcc, -1, v3
	v_bfrev_b32_e32 v1, 0.5
	v_mov_b32_e32 v2, 0x7c
	v_cndmask_b32_e32 v51, v1, v2, vcc
; %bb.23587:                            ;   in Loop: Header=BB6_20708 Depth=3
	s_or_b64 exec, exec, s[30:31]
.LBB6_23588:                            ;   in Loop: Header=BB6_20708 Depth=3
	s_or_b64 exec, exec, s[28:29]
	v_and_b32_sdwa v5, v0, s96 dst_sel:DWORD dst_unused:UNUSED_PAD src0_sel:WORD_1 src1_sel:DWORD
	v_lshrrev_b32_e32 v1, 16, v0
	v_cmp_ne_u16_e32 vcc, 0, v5
	v_mov_b32_e32 v2, 0
	v_mov_b32_e32 v3, 0
	s_and_saveexec_b64 s[28:29], vcc
	s_cbranch_execz .LBB6_23596
; %bb.23589:                            ;   in Loop: Header=BB6_20708 Depth=3
	v_cmp_ne_u16_e32 vcc, s97, v5
	v_bfrev_b32_e32 v3, 1
	s_and_saveexec_b64 s[30:31], vcc
	s_cbranch_execz .LBB6_23595
; %bb.23590:                            ;   in Loop: Header=BB6_20708 Depth=3
	v_and_b32_e32 v3, 0x7c0000, v0
	v_bfe_u32 v5, v0, 16, 2
	v_cmp_ne_u32_e32 vcc, s45, v3
                                        ; implicit-def: $vgpr3
	s_and_saveexec_b64 s[62:63], vcc
	s_xor_b64 s[34:35], exec, s[62:63]
	s_cbranch_execz .LBB6_23592
; %bb.23591:                            ;   in Loop: Header=BB6_20708 Depth=3
	v_ffbh_u32_e32 v7, v5
	v_min_u32_e32 v7, 32, v7
	v_subrev_u32_e32 v16, 29, v7
	v_lshlrev_b64 v[20:21], v16, v[1:2]
	v_bfe_u32 v3, v0, 18, 5
	v_sub_u32_e32 v1, 30, v7
	v_and_b32_e32 v7, 3, v20
	v_cmp_eq_u32_e32 vcc, 0, v3
	v_cndmask_b32_e32 v1, v3, v1, vcc
	v_cndmask_b32_e32 v3, v5, v7, vcc
	v_lshlrev_b32_e32 v5, 8, v0
	v_and_b32_e32 v5, 0x80000000, v5
	v_lshl_add_u32 v1, v1, 23, v5
	v_lshl_or_b32 v1, v3, 21, v1
	v_add_u32_e32 v3, 0x38000000, v1
                                        ; implicit-def: $vgpr5
                                        ; implicit-def: $vgpr1
.LBB6_23592:                            ;   in Loop: Header=BB6_20708 Depth=3
	s_andn2_saveexec_b64 s[34:35], s[34:35]
; %bb.23593:                            ;   in Loop: Header=BB6_20708 Depth=3
	v_mov_b32_e32 v3, -1
	v_cmp_gt_i16_sdwa vcc, sext(v1), v3 src0_sel:BYTE_0 src1_sel:DWORD
	v_mov_b32_e32 v1, 0xff800000
	v_mov_b32_e32 v3, 0x7f800000
	v_cndmask_b32_e32 v1, v1, v3, vcc
	v_cmp_eq_u32_e32 vcc, 0, v5
	v_mov_b32_e32 v3, 0x7f800001
	v_cndmask_b32_e32 v3, v3, v1, vcc
; %bb.23594:                            ;   in Loop: Header=BB6_20708 Depth=3
	s_or_b64 exec, exec, s[34:35]
.LBB6_23595:                            ;   in Loop: Header=BB6_20708 Depth=3
	s_or_b64 exec, exec, s[30:31]
.LBB6_23596:                            ;   in Loop: Header=BB6_20708 Depth=3
	s_or_b64 exec, exec, s[28:29]
	v_lshrrev_b32_e32 v1, 16, v19
	v_cmp_ne_u16_sdwa s[62:63], v1, v33 src0_sel:BYTE_0 src1_sel:DWORD
	s_and_saveexec_b64 s[28:29], s[62:63]
	s_cbranch_execz .LBB6_23604
; %bb.23597:                            ;   in Loop: Header=BB6_20708 Depth=3
	v_cmp_ne_u16_sdwa s[62:63], v1, s97 src0_sel:BYTE_0 src1_sel:DWORD
	v_bfrev_b32_e32 v2, 1
	s_and_saveexec_b64 s[30:31], s[62:63]
	s_cbranch_execz .LBB6_23603
; %bb.23598:                            ;   in Loop: Header=BB6_20708 Depth=3
	v_and_b32_e32 v2, 0x7c0000, v19
	v_bfe_u32 v5, v19, 16, 2
	v_cmp_ne_u32_e32 vcc, s45, v2
                                        ; implicit-def: $vgpr2
	s_and_saveexec_b64 s[62:63], vcc
	s_xor_b64 s[34:35], exec, s[62:63]
	s_cbranch_execz .LBB6_23600
; %bb.23599:                            ;   in Loop: Header=BB6_20708 Depth=3
	v_ffbh_u32_e32 v2, v5
	v_min_u32_e32 v16, 32, v2
	v_subrev_u32_e32 v2, 29, v16
	v_lshlrev_b64 v[1:2], v2, v[1:2]
	v_bfe_u32 v7, v19, 18, 5
	v_and_b32_e32 v1, 3, v1
	v_cmp_eq_u32_e32 vcc, 0, v7
	v_sub_u32_e32 v2, 30, v16
	v_cndmask_b32_e32 v1, v5, v1, vcc
	v_lshlrev_b32_e32 v5, 8, v19
	v_cndmask_b32_e32 v2, v7, v2, vcc
	v_and_b32_e32 v5, 0x80000000, v5
	v_lshl_add_u32 v2, v2, 23, v5
	v_lshl_or_b32 v1, v1, 21, v2
	v_add_u32_e32 v2, 0x38000000, v1
                                        ; implicit-def: $vgpr5
                                        ; implicit-def: $vgpr1
.LBB6_23600:                            ;   in Loop: Header=BB6_20708 Depth=3
	s_andn2_saveexec_b64 s[34:35], s[34:35]
; %bb.23601:                            ;   in Loop: Header=BB6_20708 Depth=3
	v_mov_b32_e32 v2, -1
	v_cmp_gt_i16_sdwa vcc, sext(v1), v2 src0_sel:BYTE_0 src1_sel:DWORD
	v_mov_b32_e32 v1, 0xff800000
	v_mov_b32_e32 v2, 0x7f800000
	v_cndmask_b32_e32 v1, v1, v2, vcc
	v_cmp_eq_u32_e32 vcc, 0, v5
	v_mov_b32_e32 v2, 0x7f800001
	v_cndmask_b32_e32 v2, v2, v1, vcc
; %bb.23602:                            ;   in Loop: Header=BB6_20708 Depth=3
	s_or_b64 exec, exec, s[34:35]
.LBB6_23603:                            ;   in Loop: Header=BB6_20708 Depth=3
	s_or_b64 exec, exec, s[30:31]
.LBB6_23604:                            ;   in Loop: Header=BB6_20708 Depth=3
	s_or_b64 exec, exec, s[28:29]
	v_add_f32_e32 v3, v3, v2
	v_and_b32_e32 v20, 0x7f800000, v3
	v_mov_b32_e32 v21, v33
	v_cmp_ne_u64_e32 vcc, s[76:77], v[20:21]
	v_and_b32_e32 v1, 0x7fffff, v3
	v_mov_b32_e32 v2, v33
                                        ; implicit-def: $vgpr52
	s_and_saveexec_b64 s[28:29], vcc
	s_xor_b64 s[30:31], exec, s[28:29]
	s_cbranch_execz .LBB6_23618
; %bb.23605:                            ;   in Loop: Header=BB6_20708 Depth=3
	v_and_b32_e32 v20, 0x7fffffff, v3
	v_mov_b32_e32 v21, v33
	v_cmp_gt_u64_e32 vcc, s[78:79], v[20:21]
	v_and_b32_sdwa v5, v3, s97 dst_sel:DWORD dst_unused:UNUSED_PAD src0_sel:BYTE_3 src1_sel:DWORD
                                        ; implicit-def: $vgpr52
	s_and_saveexec_b64 s[28:29], vcc
	s_xor_b64 s[34:35], exec, s[28:29]
	s_cbranch_execz .LBB6_23615
; %bb.23606:                            ;   in Loop: Header=BB6_20708 Depth=3
	v_mov_b32_e32 v52, 0
	v_cmp_ne_u32_e32 vcc, 0, v3
	s_and_saveexec_b64 s[36:37], vcc
	s_cbranch_execz .LBB6_23614
; %bb.23607:                            ;   in Loop: Header=BB6_20708 Depth=3
	v_bfe_u32 v20, v3, 23, 8
	v_cmp_gt_u32_e64 s[28:29], s47, v20
	v_sub_u32_e32 v3, 0x71, v20
	v_cmp_eq_u32_e32 vcc, 0, v20
	v_cndmask_b32_e64 v3, 0, v3, s[28:29]
	v_mov_b32_e32 v16, 0x70
	v_cndmask_b32_e32 v21, v3, v16, vcc
	v_add_u32_e32 v3, 21, v21
	v_or_b32_e32 v7, 0x800000, v1
	v_lshlrev_b64 v[54:55], v3, -1
	v_cndmask_b32_e32 v1, v7, v1, vcc
	v_add_u32_e32 v3, 20, v21
	v_bfi_b32 v54, v54, 0, v1
	v_lshlrev_b64 v[40:41], v3, 1
	v_lshrrev_b64 v[1:2], v21, v[1:2]
	v_bfi_b32 v55, v55, 0, 0
	v_cmp_eq_u64_e64 s[28:29], v[54:55], v[40:41]
	v_mov_b32_e32 v3, v2
	v_mov_b32_e32 v2, v1
	s_and_saveexec_b64 s[38:39], s[28:29]
; %bb.23608:                            ;   in Loop: Header=BB6_20708 Depth=3
	v_bfe_u32 v2, v1, 21, 1
	v_add_co_u32_e64 v2, s[28:29], v1, v2
	v_add_co_u32_e64 v2, s[28:29], -1, v2
; %bb.23609:                            ;   in Loop: Header=BB6_20708 Depth=3
	s_or_b64 exec, exec, s[38:39]
	v_add_u32_e32 v3, 0xffffff81, v20
	v_mov_b32_e32 v7, 0xffffff82
	v_cndmask_b32_e32 v3, v3, v7, vcc
	v_lshrrev_b32_e32 v7, 23, v1
	v_add3_u32 v20, v21, v3, v7
	v_add_u32_e32 v7, 14, v20
	v_and_b32_e32 v2, 0x1fffff, v2
	v_add_u32_e32 v1, v2, v1
	v_mov_b32_e32 v2, v33
	v_cmp_ne_u32_e32 vcc, 0, v7
                                        ; implicit-def: $vgpr3
	s_and_saveexec_b64 s[28:29], vcc
	s_xor_b64 s[28:29], exec, s[28:29]
; %bb.23610:                            ;   in Loop: Header=BB6_20708 Depth=3
	v_cmp_lt_u64_e32 vcc, s[88:89], v[1:2]
	v_add_u32_e32 v3, 15, v20
	v_cndmask_b32_e32 v3, v7, v3, vcc
	v_cndmask_b32_e64 v7, 0, 1, vcc
	v_lshrrev_b64 v[1:2], v7, v[1:2]
; %bb.23611:                            ;   in Loop: Header=BB6_20708 Depth=3
	s_andn2_saveexec_b64 s[28:29], s[28:29]
; %bb.23612:                            ;   in Loop: Header=BB6_20708 Depth=3
	v_bfe_u32 v3, v1, 23, 1
; %bb.23613:                            ;   in Loop: Header=BB6_20708 Depth=3
	s_or_b64 exec, exec, s[28:29]
	v_lshrrev_b64 v[1:2], 21, v[1:2]
	v_cmp_gt_i32_e32 vcc, 32, v3
	v_cndmask_b32_e32 v2, 0, v2, vcc
	v_cndmask_b32_e32 v1, 3, v1, vcc
	v_cmp_eq_u64_e64 s[28:29], 0, v[1:2]
	v_min_i32_e32 v2, 31, v3
	v_lshlrev_b32_e32 v2, 2, v2
	v_cmp_eq_u32_e32 vcc, 0, v3
	v_and_b32_e32 v2, 0xfc, v2
	v_and_or_b32 v1, v1, 3, v2
	s_and_b64 s[28:29], vcc, s[28:29]
	v_cndmask_b32_e64 v1, v1, 0, s[28:29]
	v_or_b32_e32 v52, v1, v5
.LBB6_23614:                            ;   in Loop: Header=BB6_20708 Depth=3
	s_or_b64 exec, exec, s[36:37]
                                        ; implicit-def: $vgpr5
.LBB6_23615:                            ;   in Loop: Header=BB6_20708 Depth=3
	s_andn2_saveexec_b64 s[28:29], s[34:35]
; %bb.23616:                            ;   in Loop: Header=BB6_20708 Depth=3
	v_or_b32_e32 v52, 0x7b, v5
; %bb.23617:                            ;   in Loop: Header=BB6_20708 Depth=3
	s_or_b64 exec, exec, s[28:29]
                                        ; implicit-def: $vgpr3
                                        ; implicit-def: $vgpr1_vgpr2
.LBB6_23618:                            ;   in Loop: Header=BB6_20708 Depth=3
	s_andn2_saveexec_b64 s[28:29], s[30:31]
	s_cbranch_execz .LBB6_23624
; %bb.23619:                            ;   in Loop: Header=BB6_20708 Depth=3
	v_cmp_ne_u64_e32 vcc, 0, v[1:2]
                                        ; implicit-def: $vgpr52
	s_and_saveexec_b64 s[62:63], vcc
	s_xor_b64 vcc, exec, s[62:63]
; %bb.23620:                            ;   in Loop: Header=BB6_20708 Depth=3
	v_or_b32_sdwa v52, v3, s44 dst_sel:DWORD dst_unused:UNUSED_PAD src0_sel:BYTE_3 src1_sel:DWORD
                                        ; implicit-def: $vgpr3
; %bb.23621:                            ;   in Loop: Header=BB6_20708 Depth=3
	s_andn2_saveexec_b64 s[30:31], vcc
; %bb.23622:                            ;   in Loop: Header=BB6_20708 Depth=3
	v_cmp_lt_i32_e32 vcc, -1, v3
	v_bfrev_b32_e32 v1, 0.5
	v_mov_b32_e32 v2, 0x7c
	v_cndmask_b32_e32 v52, v1, v2, vcc
; %bb.23623:                            ;   in Loop: Header=BB6_20708 Depth=3
	s_or_b64 exec, exec, s[30:31]
.LBB6_23624:                            ;   in Loop: Header=BB6_20708 Depth=3
	s_or_b64 exec, exec, s[28:29]
	v_cmp_lt_u32_e32 vcc, s57, v0
	v_mov_b32_e32 v2, 0
	v_mov_b32_e32 v3, 0
	s_and_saveexec_b64 s[28:29], vcc
	s_cbranch_execz .LBB6_23632
; %bb.23625:                            ;   in Loop: Header=BB6_20708 Depth=3
	v_lshrrev_b32_e32 v1, 24, v0
	v_cmp_ne_u32_e32 vcc, s97, v1
	v_bfrev_b32_e32 v3, 1
	s_and_saveexec_b64 s[30:31], vcc
	s_cbranch_execz .LBB6_23631
; %bb.23626:                            ;   in Loop: Header=BB6_20708 Depth=3
	v_and_b32_e32 v3, 0x7c000000, v0
	v_bfe_u32 v5, v0, 24, 2
	v_cmp_ne_u32_e32 vcc, s68, v3
                                        ; implicit-def: $vgpr3
	s_and_saveexec_b64 s[62:63], vcc
	s_xor_b64 s[34:35], exec, s[62:63]
	s_cbranch_execz .LBB6_23628
; %bb.23627:                            ;   in Loop: Header=BB6_20708 Depth=3
	v_ffbh_u32_e32 v7, v5
	v_min_u32_e32 v7, 32, v7
	v_subrev_u32_e32 v16, 29, v7
	v_bfe_u32 v3, v0, 26, 5
	v_lshlrev_b64 v[20:21], v16, v[1:2]
	v_sub_u32_e32 v1, 30, v7
	v_cmp_eq_u32_e32 vcc, 0, v3
	v_and_b32_e32 v7, 3, v20
	v_cndmask_b32_e32 v1, v3, v1, vcc
	v_and_b32_e32 v0, 0x80000000, v0
	v_cndmask_b32_e32 v3, v5, v7, vcc
	v_lshl_add_u32 v0, v1, 23, v0
	v_lshl_or_b32 v0, v3, 21, v0
	v_add_u32_e32 v3, 0x38000000, v0
                                        ; implicit-def: $vgpr5
                                        ; implicit-def: $vgpr0_vgpr1
.LBB6_23628:                            ;   in Loop: Header=BB6_20708 Depth=3
	s_andn2_saveexec_b64 s[34:35], s[34:35]
; %bb.23629:                            ;   in Loop: Header=BB6_20708 Depth=3
	v_cmp_lt_i32_e32 vcc, -1, v0
	v_mov_b32_e32 v0, 0xff800000
	v_mov_b32_e32 v1, 0x7f800000
	v_cndmask_b32_e32 v0, v0, v1, vcc
	v_cmp_eq_u32_e32 vcc, 0, v5
	v_mov_b32_e32 v1, 0x7f800001
	v_cndmask_b32_e32 v3, v1, v0, vcc
; %bb.23630:                            ;   in Loop: Header=BB6_20708 Depth=3
	s_or_b64 exec, exec, s[34:35]
.LBB6_23631:                            ;   in Loop: Header=BB6_20708 Depth=3
	s_or_b64 exec, exec, s[30:31]
.LBB6_23632:                            ;   in Loop: Header=BB6_20708 Depth=3
	s_or_b64 exec, exec, s[28:29]
	v_cmp_lt_u64_e32 vcc, s[56:57], v[18:19]
	s_and_saveexec_b64 s[28:29], vcc
	s_cbranch_execz .LBB6_23640
; %bb.23633:                            ;   in Loop: Header=BB6_20708 Depth=3
	v_lshrrev_b32_e32 v0, 24, v19
	v_cmp_ne_u32_e32 vcc, s97, v0
	v_bfrev_b32_e32 v2, 1
	s_and_saveexec_b64 s[30:31], vcc
	s_cbranch_execz .LBB6_23639
; %bb.23634:                            ;   in Loop: Header=BB6_20708 Depth=3
	v_and_b32_e32 v2, 0x7c000000, v19
	v_bfe_u32 v1, v19, 24, 2
	v_cmp_ne_u32_e32 vcc, s68, v2
                                        ; implicit-def: $vgpr2
	s_and_saveexec_b64 s[62:63], vcc
	s_xor_b64 s[34:35], exec, s[62:63]
	s_cbranch_execz .LBB6_23636
; %bb.23635:                            ;   in Loop: Header=BB6_20708 Depth=3
	v_ffbh_u32_e32 v5, v1
	v_min_u32_e32 v5, 32, v5
	v_subrev_u32_e32 v7, 29, v5
	v_bfe_u32 v2, v19, 26, 5
	v_lshlrev_b64 v[20:21], v7, v[0:1]
	v_sub_u32_e32 v0, 30, v5
	v_cmp_eq_u32_e32 vcc, 0, v2
	v_and_b32_e32 v5, 3, v20
	v_cndmask_b32_e32 v0, v2, v0, vcc
	v_and_b32_e32 v2, 0x80000000, v19
	v_cndmask_b32_e32 v1, v1, v5, vcc
	v_lshl_add_u32 v0, v0, 23, v2
	v_lshl_or_b32 v0, v1, 21, v0
	v_add_u32_e32 v2, 0x38000000, v0
                                        ; implicit-def: $vgpr1
                                        ; implicit-def: $vgpr18_vgpr19
.LBB6_23636:                            ;   in Loop: Header=BB6_20708 Depth=3
	s_andn2_saveexec_b64 s[34:35], s[34:35]
; %bb.23637:                            ;   in Loop: Header=BB6_20708 Depth=3
	v_cmp_lt_i64_e32 vcc, -1, v[18:19]
	v_mov_b32_e32 v0, 0xff800000
	v_mov_b32_e32 v2, 0x7f800000
	v_cndmask_b32_e32 v0, v0, v2, vcc
	v_cmp_eq_u32_e32 vcc, 0, v1
	v_mov_b32_e32 v1, 0x7f800001
	v_cndmask_b32_e32 v2, v1, v0, vcc
; %bb.23638:                            ;   in Loop: Header=BB6_20708 Depth=3
	s_or_b64 exec, exec, s[34:35]
.LBB6_23639:                            ;   in Loop: Header=BB6_20708 Depth=3
	s_or_b64 exec, exec, s[30:31]
.LBB6_23640:                            ;   in Loop: Header=BB6_20708 Depth=3
	s_or_b64 exec, exec, s[28:29]
	v_add_f32_e32 v2, v3, v2
	v_and_b32_e32 v18, 0x7f800000, v2
	v_mov_b32_e32 v19, v33
	v_cmp_ne_u64_e32 vcc, s[76:77], v[18:19]
	v_and_b32_e32 v0, 0x7fffff, v2
	v_mov_b32_e32 v1, v33
                                        ; implicit-def: $vgpr18
	s_and_saveexec_b64 s[28:29], vcc
	s_xor_b64 s[30:31], exec, s[28:29]
	s_cbranch_execz .LBB6_23654
; %bb.23641:                            ;   in Loop: Header=BB6_20708 Depth=3
	v_and_b32_e32 v18, 0x7fffffff, v2
	v_mov_b32_e32 v19, v33
	v_cmp_gt_u64_e32 vcc, s[78:79], v[18:19]
	v_and_b32_sdwa v3, v2, s97 dst_sel:DWORD dst_unused:UNUSED_PAD src0_sel:BYTE_3 src1_sel:DWORD
                                        ; implicit-def: $vgpr18
	s_and_saveexec_b64 s[28:29], vcc
	s_xor_b64 s[34:35], exec, s[28:29]
	s_cbranch_execz .LBB6_23651
; %bb.23642:                            ;   in Loop: Header=BB6_20708 Depth=3
	v_mov_b32_e32 v18, 0
	v_cmp_ne_u32_e32 vcc, 0, v2
	s_and_saveexec_b64 s[36:37], vcc
	s_cbranch_execz .LBB6_23650
; %bb.23643:                            ;   in Loop: Header=BB6_20708 Depth=3
	v_bfe_u32 v5, v2, 23, 8
	v_cmp_gt_u32_e64 s[28:29], s47, v5
	v_sub_u32_e32 v2, 0x71, v5
	v_cmp_eq_u32_e32 vcc, 0, v5
	v_cndmask_b32_e64 v2, 0, v2, s[28:29]
	v_mov_b32_e32 v16, 0x70
	v_cndmask_b32_e32 v18, v2, v16, vcc
	v_add_u32_e32 v2, 21, v18
	v_or_b32_e32 v7, 0x800000, v0
	v_lshlrev_b64 v[19:20], v2, -1
	v_cndmask_b32_e32 v0, v7, v0, vcc
	v_add_u32_e32 v2, 20, v18
	v_bfi_b32 v19, v19, 0, v0
	v_lshlrev_b64 v[21:22], v2, 1
	v_lshrrev_b64 v[0:1], v18, v[0:1]
	v_bfi_b32 v20, v20, 0, 0
	v_cmp_eq_u64_e64 s[28:29], v[19:20], v[21:22]
	v_mov_b32_e32 v2, v1
	v_mov_b32_e32 v1, v0
	s_and_saveexec_b64 s[38:39], s[28:29]
; %bb.23644:                            ;   in Loop: Header=BB6_20708 Depth=3
	v_bfe_u32 v1, v0, 21, 1
	v_add_co_u32_e64 v1, s[28:29], v0, v1
	v_add_co_u32_e64 v1, s[28:29], -1, v1
; %bb.23645:                            ;   in Loop: Header=BB6_20708 Depth=3
	s_or_b64 exec, exec, s[38:39]
	v_add_u32_e32 v2, 0xffffff81, v5
	v_mov_b32_e32 v5, 0xffffff82
	v_cndmask_b32_e32 v2, v2, v5, vcc
	v_lshrrev_b32_e32 v5, 23, v0
	v_add3_u32 v7, v18, v2, v5
	v_add_u32_e32 v5, 14, v7
	v_and_b32_e32 v1, 0x1fffff, v1
	v_add_u32_e32 v0, v1, v0
	v_mov_b32_e32 v1, v33
	v_cmp_ne_u32_e32 vcc, 0, v5
                                        ; implicit-def: $vgpr2
	s_and_saveexec_b64 s[28:29], vcc
	s_xor_b64 s[28:29], exec, s[28:29]
; %bb.23646:                            ;   in Loop: Header=BB6_20708 Depth=3
	v_cmp_lt_u64_e32 vcc, s[88:89], v[0:1]
	v_add_u32_e32 v2, 15, v7
	v_cndmask_b32_e32 v2, v5, v2, vcc
	v_cndmask_b32_e64 v5, 0, 1, vcc
	v_lshrrev_b64 v[0:1], v5, v[0:1]
; %bb.23647:                            ;   in Loop: Header=BB6_20708 Depth=3
	s_andn2_saveexec_b64 s[28:29], s[28:29]
; %bb.23648:                            ;   in Loop: Header=BB6_20708 Depth=3
	v_bfe_u32 v2, v0, 23, 1
; %bb.23649:                            ;   in Loop: Header=BB6_20708 Depth=3
	s_or_b64 exec, exec, s[28:29]
	v_lshrrev_b64 v[0:1], 21, v[0:1]
	v_cmp_gt_i32_e32 vcc, 32, v2
	v_cndmask_b32_e32 v1, 0, v1, vcc
	v_cndmask_b32_e32 v0, 3, v0, vcc
	v_cmp_eq_u64_e64 s[28:29], 0, v[0:1]
	v_min_i32_e32 v1, 31, v2
	v_lshlrev_b32_e32 v1, 2, v1
	v_cmp_eq_u32_e32 vcc, 0, v2
	v_and_b32_e32 v1, 0xfc, v1
	v_and_or_b32 v0, v0, 3, v1
	s_and_b64 s[28:29], vcc, s[28:29]
	v_cndmask_b32_e64 v0, v0, 0, s[28:29]
	v_or_b32_e32 v18, v0, v3
.LBB6_23650:                            ;   in Loop: Header=BB6_20708 Depth=3
	s_or_b64 exec, exec, s[36:37]
                                        ; implicit-def: $vgpr3
.LBB6_23651:                            ;   in Loop: Header=BB6_20708 Depth=3
	s_andn2_saveexec_b64 s[28:29], s[34:35]
; %bb.23652:                            ;   in Loop: Header=BB6_20708 Depth=3
	v_or_b32_e32 v18, 0x7b, v3
; %bb.23653:                            ;   in Loop: Header=BB6_20708 Depth=3
	s_or_b64 exec, exec, s[28:29]
                                        ; implicit-def: $vgpr2
                                        ; implicit-def: $vgpr0_vgpr1
.LBB6_23654:                            ;   in Loop: Header=BB6_20708 Depth=3
	s_andn2_saveexec_b64 s[28:29], s[30:31]
	s_cbranch_execz .LBB6_23660
; %bb.23655:                            ;   in Loop: Header=BB6_20708 Depth=3
	v_cmp_ne_u64_e32 vcc, 0, v[0:1]
                                        ; implicit-def: $vgpr18
	s_and_saveexec_b64 s[62:63], vcc
	s_xor_b64 vcc, exec, s[62:63]
; %bb.23656:                            ;   in Loop: Header=BB6_20708 Depth=3
	v_or_b32_sdwa v18, v2, s44 dst_sel:DWORD dst_unused:UNUSED_PAD src0_sel:BYTE_3 src1_sel:DWORD
                                        ; implicit-def: $vgpr2
; %bb.23657:                            ;   in Loop: Header=BB6_20708 Depth=3
	s_andn2_saveexec_b64 s[30:31], vcc
; %bb.23658:                            ;   in Loop: Header=BB6_20708 Depth=3
	v_cmp_lt_i32_e32 vcc, -1, v2
	v_bfrev_b32_e32 v0, 0.5
	v_mov_b32_e32 v1, 0x7c
	v_cndmask_b32_e32 v18, v0, v1, vcc
; %bb.23659:                            ;   in Loop: Header=BB6_20708 Depth=3
	s_or_b64 exec, exec, s[30:31]
.LBB6_23660:                            ;   in Loop: Header=BB6_20708 Depth=3
	s_or_b64 exec, exec, s[28:29]
	buffer_load_dword v0, off, s[0:3], s33 offset:304 ; 4-byte Folded Reload
	buffer_load_dword v1, off, s[0:3], s33 offset:316 ; 4-byte Folded Reload
	v_lshl_or_b32 v5, v44, 8, v47
	v_cmp_ne_u32_e32 vcc, 0, v47
	v_mov_b32_e32 v2, 0
	v_mov_b32_e32 v3, 0
	s_waitcnt vmcnt(1)
	v_lshlrev_b32_e32 v0, 16, v0
	s_waitcnt vmcnt(0)
	v_lshlrev_b32_e32 v1, 24, v1
	v_or3_b32 v0, v0, v1, v5
	v_mov_b32_e32 v1, v33
	s_and_saveexec_b64 s[30:31], vcc
	s_cbranch_execz .LBB6_23668
; %bb.23661:                            ;   in Loop: Header=BB6_20708 Depth=3
	v_cmp_ne_u32_e32 vcc, s97, v47
	v_bfrev_b32_e32 v3, 1
	s_and_saveexec_b64 s[34:35], vcc
	s_cbranch_execz .LBB6_23667
; %bb.23662:                            ;   in Loop: Header=BB6_20708 Depth=3
	v_and_b32_e32 v3, 0x7c, v47
	v_and_b32_e32 v7, 3, v47
	v_cmp_ne_u32_e32 vcc, s86, v3
                                        ; implicit-def: $vgpr3
	s_and_saveexec_b64 s[28:29], vcc
	s_xor_b64 s[28:29], exec, s[28:29]
	s_cbranch_execz .LBB6_23664
; %bb.23663:                            ;   in Loop: Header=BB6_20708 Depth=3
	v_ffbh_u32_e32 v16, v7
	v_min_u32_e32 v16, 32, v16
	v_subrev_u32_e32 v17, 29, v16
	v_lshlrev_b64 v[19:20], v17, v[0:1]
	v_bfe_u32 v3, v47, 2, 5
	v_sub_u32_e32 v1, 30, v16
	v_and_b32_e32 v16, 3, v19
	v_cmp_eq_u32_e32 vcc, 0, v3
	v_cndmask_b32_e32 v1, v3, v1, vcc
	v_cndmask_b32_e32 v3, v7, v16, vcc
	v_lshlrev_b32_e32 v7, 24, v47
	v_and_b32_e32 v7, 0x80000000, v7
	v_lshl_add_u32 v1, v1, 23, v7
	v_lshl_or_b32 v1, v3, 21, v1
	v_add_u32_e32 v3, 0x38000000, v1
                                        ; implicit-def: $vgpr7
                                        ; implicit-def: $vgpr47
.LBB6_23664:                            ;   in Loop: Header=BB6_20708 Depth=3
	s_andn2_saveexec_b64 s[36:37], s[28:29]
; %bb.23665:                            ;   in Loop: Header=BB6_20708 Depth=3
	v_and_b32_e32 v1, 0x80, v47
	v_cmp_eq_u32_e64 s[28:29], 0, v1
	v_mov_b32_e32 v1, 0xff800000
	v_mov_b32_e32 v3, 0x7f800000
	v_cmp_eq_u32_e32 vcc, 0, v7
	v_cndmask_b32_e64 v1, v1, v3, s[28:29]
	v_mov_b32_e32 v3, 0x7f800001
	v_cndmask_b32_e32 v3, v3, v1, vcc
; %bb.23666:                            ;   in Loop: Header=BB6_20708 Depth=3
	s_or_b64 exec, exec, s[36:37]
.LBB6_23667:                            ;   in Loop: Header=BB6_20708 Depth=3
	s_or_b64 exec, exec, s[34:35]
.LBB6_23668:                            ;   in Loop: Header=BB6_20708 Depth=3
	s_or_b64 exec, exec, s[30:31]
	v_cmp_ne_u16_sdwa s[62:63], v12, v33 src0_sel:BYTE_0 src1_sel:DWORD
	s_and_saveexec_b64 s[28:29], s[62:63]
	s_cbranch_execz .LBB6_23676
; %bb.23669:                            ;   in Loop: Header=BB6_20708 Depth=3
	v_cmp_ne_u16_sdwa s[62:63], sext(v12), s46 src0_sel:BYTE_0 src1_sel:DWORD
	v_bfrev_b32_e32 v2, 1
	s_and_saveexec_b64 s[30:31], s[62:63]
	s_cbranch_execz .LBB6_23675
; %bb.23670:                            ;   in Loop: Header=BB6_20708 Depth=3
	v_and_b32_e32 v2, 0x7c, v12
	v_and_b32_e32 v1, 3, v12
	v_cmp_ne_u32_e32 vcc, s86, v2
                                        ; implicit-def: $vgpr2
	s_and_saveexec_b64 s[62:63], vcc
	s_xor_b64 s[34:35], exec, s[62:63]
	s_cbranch_execz .LBB6_23672
; %bb.23671:                            ;   in Loop: Header=BB6_20708 Depth=3
	v_ffbh_u32_e32 v7, v1
	v_min_u32_e32 v7, 32, v7
	v_bfe_u32 v2, v12, 2, 5
	v_subrev_u32_e32 v16, 29, v7
	v_lshlrev_b64 v[19:20], v16, v[12:13]
	v_sub_u32_e32 v7, 30, v7
	v_cmp_eq_u32_e32 vcc, 0, v2
	v_cndmask_b32_e32 v2, v2, v7, vcc
	v_lshlrev_b32_e32 v7, 24, v12
	v_and_b32_e32 v16, 3, v19
	v_and_b32_e32 v7, 0x80000000, v7
	v_cndmask_b32_e32 v1, v1, v16, vcc
	v_lshl_add_u32 v2, v2, 23, v7
	v_lshl_or_b32 v1, v1, 21, v2
	v_add_u32_e32 v2, 0x38000000, v1
                                        ; implicit-def: $vgpr1
.LBB6_23672:                            ;   in Loop: Header=BB6_20708 Depth=3
	s_andn2_saveexec_b64 s[34:35], s[34:35]
; %bb.23673:                            ;   in Loop: Header=BB6_20708 Depth=3
	v_mov_b32_e32 v2, -1
	v_cmp_gt_i16_sdwa vcc, sext(v12), v2 src0_sel:BYTE_0 src1_sel:DWORD
	v_mov_b32_e32 v2, 0xff800000
	v_mov_b32_e32 v7, 0x7f800000
	v_cndmask_b32_e32 v2, v2, v7, vcc
	v_cmp_eq_u32_e32 vcc, 0, v1
	v_mov_b32_e32 v1, 0x7f800001
	v_cndmask_b32_e32 v2, v1, v2, vcc
; %bb.23674:                            ;   in Loop: Header=BB6_20708 Depth=3
	s_or_b64 exec, exec, s[34:35]
.LBB6_23675:                            ;   in Loop: Header=BB6_20708 Depth=3
	s_or_b64 exec, exec, s[30:31]
.LBB6_23676:                            ;   in Loop: Header=BB6_20708 Depth=3
	s_or_b64 exec, exec, s[28:29]
	v_add_f32_e32 v3, v3, v2
	v_and_b32_e32 v19, 0x7f800000, v3
	v_mov_b32_e32 v20, v33
	v_cmp_ne_u64_e32 vcc, s[76:77], v[19:20]
	v_and_b32_e32 v1, 0x7fffff, v3
	v_mov_b32_e32 v2, v33
                                        ; implicit-def: $vgpr19
	s_and_saveexec_b64 s[28:29], vcc
	s_xor_b64 s[30:31], exec, s[28:29]
	s_cbranch_execz .LBB6_23690
; %bb.23677:                            ;   in Loop: Header=BB6_20708 Depth=3
	v_and_b32_e32 v19, 0x7fffffff, v3
	v_mov_b32_e32 v20, v33
	v_cmp_gt_u64_e32 vcc, s[78:79], v[19:20]
	v_and_b32_sdwa v20, v3, s97 dst_sel:DWORD dst_unused:UNUSED_PAD src0_sel:BYTE_3 src1_sel:DWORD
                                        ; implicit-def: $vgpr19
	s_and_saveexec_b64 s[28:29], vcc
	s_xor_b64 s[34:35], exec, s[28:29]
	s_cbranch_execz .LBB6_23687
; %bb.23678:                            ;   in Loop: Header=BB6_20708 Depth=3
	v_mov_b32_e32 v19, 0
	v_cmp_ne_u32_e32 vcc, 0, v3
	s_and_saveexec_b64 s[36:37], vcc
	s_cbranch_execz .LBB6_23686
; %bb.23679:                            ;   in Loop: Header=BB6_20708 Depth=3
	v_bfe_u32 v19, v3, 23, 8
	v_cmp_gt_u32_e64 s[28:29], s47, v19
	v_sub_u32_e32 v3, 0x71, v19
	v_cmp_eq_u32_e32 vcc, 0, v19
	v_cndmask_b32_e64 v3, 0, v3, s[28:29]
	v_mov_b32_e32 v16, 0x70
	v_cndmask_b32_e32 v21, v3, v16, vcc
	v_add_u32_e32 v3, 21, v21
	v_or_b32_e32 v7, 0x800000, v1
	v_lshlrev_b64 v[54:55], v3, -1
	v_cndmask_b32_e32 v1, v7, v1, vcc
	v_add_u32_e32 v3, 20, v21
	v_bfi_b32 v54, v54, 0, v1
	v_lshlrev_b64 v[40:41], v3, 1
	v_lshrrev_b64 v[1:2], v21, v[1:2]
	v_bfi_b32 v55, v55, 0, 0
	v_cmp_eq_u64_e64 s[28:29], v[54:55], v[40:41]
	v_mov_b32_e32 v3, v2
	v_mov_b32_e32 v2, v1
	s_and_saveexec_b64 s[38:39], s[28:29]
; %bb.23680:                            ;   in Loop: Header=BB6_20708 Depth=3
	v_bfe_u32 v2, v1, 21, 1
	v_add_co_u32_e64 v2, s[28:29], v1, v2
	v_add_co_u32_e64 v2, s[28:29], -1, v2
; %bb.23681:                            ;   in Loop: Header=BB6_20708 Depth=3
	s_or_b64 exec, exec, s[38:39]
	v_add_u32_e32 v3, 0xffffff81, v19
	v_mov_b32_e32 v7, 0xffffff82
	v_cndmask_b32_e32 v3, v3, v7, vcc
	v_lshrrev_b32_e32 v7, 23, v1
	v_add3_u32 v19, v21, v3, v7
	v_add_u32_e32 v7, 14, v19
	v_and_b32_e32 v2, 0x1fffff, v2
	v_add_u32_e32 v1, v2, v1
	v_mov_b32_e32 v2, v33
	v_cmp_ne_u32_e32 vcc, 0, v7
                                        ; implicit-def: $vgpr3
	s_and_saveexec_b64 s[28:29], vcc
	s_xor_b64 s[28:29], exec, s[28:29]
; %bb.23682:                            ;   in Loop: Header=BB6_20708 Depth=3
	v_cmp_lt_u64_e32 vcc, s[88:89], v[1:2]
	v_add_u32_e32 v3, 15, v19
	v_cndmask_b32_e32 v3, v7, v3, vcc
	v_cndmask_b32_e64 v7, 0, 1, vcc
	v_lshrrev_b64 v[1:2], v7, v[1:2]
; %bb.23683:                            ;   in Loop: Header=BB6_20708 Depth=3
	s_andn2_saveexec_b64 s[28:29], s[28:29]
; %bb.23684:                            ;   in Loop: Header=BB6_20708 Depth=3
	v_bfe_u32 v3, v1, 23, 1
; %bb.23685:                            ;   in Loop: Header=BB6_20708 Depth=3
	s_or_b64 exec, exec, s[28:29]
	v_lshrrev_b64 v[1:2], 21, v[1:2]
	v_cmp_gt_i32_e32 vcc, 32, v3
	v_cndmask_b32_e32 v2, 0, v2, vcc
	v_cndmask_b32_e32 v1, 3, v1, vcc
	v_cmp_eq_u64_e64 s[28:29], 0, v[1:2]
	v_min_i32_e32 v2, 31, v3
	v_lshlrev_b32_e32 v2, 2, v2
	v_cmp_eq_u32_e32 vcc, 0, v3
	v_and_b32_e32 v2, 0xfc, v2
	v_and_or_b32 v1, v1, 3, v2
	s_and_b64 s[28:29], vcc, s[28:29]
	v_cndmask_b32_e64 v1, v1, 0, s[28:29]
	v_or_b32_e32 v19, v1, v20
.LBB6_23686:                            ;   in Loop: Header=BB6_20708 Depth=3
	s_or_b64 exec, exec, s[36:37]
                                        ; implicit-def: $vgpr20
.LBB6_23687:                            ;   in Loop: Header=BB6_20708 Depth=3
	s_andn2_saveexec_b64 s[28:29], s[34:35]
; %bb.23688:                            ;   in Loop: Header=BB6_20708 Depth=3
	v_or_b32_e32 v19, 0x7b, v20
; %bb.23689:                            ;   in Loop: Header=BB6_20708 Depth=3
	s_or_b64 exec, exec, s[28:29]
                                        ; implicit-def: $vgpr3
                                        ; implicit-def: $vgpr1_vgpr2
.LBB6_23690:                            ;   in Loop: Header=BB6_20708 Depth=3
	s_andn2_saveexec_b64 s[28:29], s[30:31]
	s_cbranch_execz .LBB6_23696
; %bb.23691:                            ;   in Loop: Header=BB6_20708 Depth=3
	v_cmp_ne_u64_e32 vcc, 0, v[1:2]
                                        ; implicit-def: $vgpr19
	s_and_saveexec_b64 s[62:63], vcc
	s_xor_b64 vcc, exec, s[62:63]
; %bb.23692:                            ;   in Loop: Header=BB6_20708 Depth=3
	v_or_b32_sdwa v19, v3, s44 dst_sel:DWORD dst_unused:UNUSED_PAD src0_sel:BYTE_3 src1_sel:DWORD
                                        ; implicit-def: $vgpr3
; %bb.23693:                            ;   in Loop: Header=BB6_20708 Depth=3
	s_andn2_saveexec_b64 s[30:31], vcc
; %bb.23694:                            ;   in Loop: Header=BB6_20708 Depth=3
	v_cmp_lt_i32_e32 vcc, -1, v3
	v_bfrev_b32_e32 v1, 0.5
	v_mov_b32_e32 v2, 0x7c
	v_cndmask_b32_e32 v19, v1, v2, vcc
; %bb.23695:                            ;   in Loop: Header=BB6_20708 Depth=3
	s_or_b64 exec, exec, s[30:31]
.LBB6_23696:                            ;   in Loop: Header=BB6_20708 Depth=3
	s_or_b64 exec, exec, s[28:29]
	v_lshrrev_b16_e32 v1, 8, v5
	v_cmp_ne_u16_e32 vcc, 0, v1
	v_mov_b32_e32 v3, 0
	v_mov_b32_e32 v20, 0
	s_and_saveexec_b64 s[28:29], vcc
	s_cbranch_execz .LBB6_23704
; %bb.23697:                            ;   in Loop: Header=BB6_20708 Depth=3
	v_cmp_ne_u16_e32 vcc, s97, v1
	v_bfrev_b32_e32 v20, 1
	s_and_saveexec_b64 s[30:31], vcc
	s_cbranch_execz .LBB6_23703
; %bb.23698:                            ;   in Loop: Header=BB6_20708 Depth=3
	v_and_b32_e32 v2, 0x7c, v1
	v_and_b32_e32 v7, 3, v1
	v_cmp_ne_u32_e32 vcc, s86, v2
                                        ; implicit-def: $vgpr20
	s_and_saveexec_b64 s[62:63], vcc
	s_xor_b64 s[34:35], exec, s[62:63]
	s_cbranch_execz .LBB6_23700
; %bb.23699:                            ;   in Loop: Header=BB6_20708 Depth=3
	v_ffbh_u32_e32 v17, v7
	v_min_u32_e32 v17, 32, v17
	v_mov_b32_e32 v2, v33
	v_subrev_u32_e32 v20, 29, v17
	v_bfe_u32 v16, v1, 2, 5
	v_lshlrev_b64 v[1:2], v20, v[1:2]
	v_sub_u32_e32 v2, 30, v17
	v_cmp_eq_u32_e32 vcc, 0, v16
	v_lshlrev_b32_e32 v5, 16, v5
	v_and_b32_e32 v1, 3, v1
	v_cndmask_b32_e32 v2, v16, v2, vcc
	v_and_b32_e32 v5, 0x80000000, v5
	v_cndmask_b32_e32 v1, v7, v1, vcc
	v_lshl_add_u32 v2, v2, 23, v5
	v_lshl_or_b32 v1, v1, 21, v2
	v_add_u32_e32 v20, 0x38000000, v1
                                        ; implicit-def: $vgpr7
                                        ; implicit-def: $vgpr5
.LBB6_23700:                            ;   in Loop: Header=BB6_20708 Depth=3
	s_andn2_saveexec_b64 s[34:35], s[34:35]
; %bb.23701:                            ;   in Loop: Header=BB6_20708 Depth=3
	v_cmp_lt_i16_e32 vcc, -1, v5
	v_mov_b32_e32 v1, 0xff800000
	v_mov_b32_e32 v2, 0x7f800000
	v_cndmask_b32_e32 v1, v1, v2, vcc
	v_cmp_eq_u32_e32 vcc, 0, v7
	v_mov_b32_e32 v2, 0x7f800001
	v_cndmask_b32_e32 v20, v2, v1, vcc
; %bb.23702:                            ;   in Loop: Header=BB6_20708 Depth=3
	s_or_b64 exec, exec, s[34:35]
.LBB6_23703:                            ;   in Loop: Header=BB6_20708 Depth=3
	s_or_b64 exec, exec, s[30:31]
.LBB6_23704:                            ;   in Loop: Header=BB6_20708 Depth=3
	s_or_b64 exec, exec, s[28:29]
	v_lshrrev_b16_e32 v1, 8, v12
	v_cmp_ne_u16_e32 vcc, 0, v1
	s_and_saveexec_b64 s[28:29], vcc
	s_cbranch_execz .LBB6_23712
; %bb.23705:                            ;   in Loop: Header=BB6_20708 Depth=3
	v_cmp_ne_u16_e32 vcc, s97, v1
	v_bfrev_b32_e32 v3, 1
	s_and_saveexec_b64 s[30:31], vcc
	s_cbranch_execz .LBB6_23711
; %bb.23706:                            ;   in Loop: Header=BB6_20708 Depth=3
	v_and_b32_e32 v2, 0x7c, v1
	v_and_b32_e32 v5, 3, v1
	v_cmp_ne_u32_e32 vcc, s86, v2
                                        ; implicit-def: $vgpr3
	s_and_saveexec_b64 s[62:63], vcc
	s_xor_b64 s[34:35], exec, s[62:63]
	s_cbranch_execz .LBB6_23708
; %bb.23707:                            ;   in Loop: Header=BB6_20708 Depth=3
	v_ffbh_u32_e32 v7, v5
	v_min_u32_e32 v7, 32, v7
	v_mov_b32_e32 v2, v33
	v_subrev_u32_e32 v16, 29, v7
	v_bfe_u32 v3, v1, 2, 5
	v_lshlrev_b64 v[1:2], v16, v[1:2]
	v_sub_u32_e32 v2, 30, v7
	v_cmp_eq_u32_e32 vcc, 0, v3
	v_cndmask_b32_e32 v2, v3, v2, vcc
	v_lshlrev_b32_e32 v3, 16, v12
	v_and_b32_e32 v1, 3, v1
	v_and_b32_e32 v3, 0x80000000, v3
	v_cndmask_b32_e32 v1, v5, v1, vcc
	v_lshl_add_u32 v2, v2, 23, v3
	v_lshl_or_b32 v1, v1, 21, v2
	v_add_u32_e32 v3, 0x38000000, v1
                                        ; implicit-def: $vgpr5
.LBB6_23708:                            ;   in Loop: Header=BB6_20708 Depth=3
	s_andn2_saveexec_b64 s[34:35], s[34:35]
; %bb.23709:                            ;   in Loop: Header=BB6_20708 Depth=3
	v_cmp_lt_i16_e32 vcc, -1, v12
	v_mov_b32_e32 v1, 0xff800000
	v_mov_b32_e32 v2, 0x7f800000
	v_cndmask_b32_e32 v1, v1, v2, vcc
	v_cmp_eq_u32_e32 vcc, 0, v5
	v_mov_b32_e32 v2, 0x7f800001
	v_cndmask_b32_e32 v3, v2, v1, vcc
; %bb.23710:                            ;   in Loop: Header=BB6_20708 Depth=3
	s_or_b64 exec, exec, s[34:35]
.LBB6_23711:                            ;   in Loop: Header=BB6_20708 Depth=3
	s_or_b64 exec, exec, s[30:31]
.LBB6_23712:                            ;   in Loop: Header=BB6_20708 Depth=3
	s_or_b64 exec, exec, s[28:29]
	v_add_f32_e32 v3, v20, v3
	v_and_b32_e32 v20, 0x7f800000, v3
	v_mov_b32_e32 v21, v33
	v_cmp_ne_u64_e32 vcc, s[76:77], v[20:21]
	v_and_b32_e32 v1, 0x7fffff, v3
	v_mov_b32_e32 v2, v33
                                        ; implicit-def: $vgpr54
	s_and_saveexec_b64 s[28:29], vcc
	s_xor_b64 s[30:31], exec, s[28:29]
	s_cbranch_execz .LBB6_23726
; %bb.23713:                            ;   in Loop: Header=BB6_20708 Depth=3
	v_and_b32_e32 v20, 0x7fffffff, v3
	v_mov_b32_e32 v21, v33
	v_cmp_gt_u64_e32 vcc, s[78:79], v[20:21]
	v_and_b32_sdwa v5, v3, s97 dst_sel:DWORD dst_unused:UNUSED_PAD src0_sel:BYTE_3 src1_sel:DWORD
                                        ; implicit-def: $vgpr54
	s_and_saveexec_b64 s[28:29], vcc
	s_xor_b64 s[34:35], exec, s[28:29]
	s_cbranch_execz .LBB6_23723
; %bb.23714:                            ;   in Loop: Header=BB6_20708 Depth=3
	v_mov_b32_e32 v54, 0
	v_cmp_ne_u32_e32 vcc, 0, v3
	s_and_saveexec_b64 s[36:37], vcc
	s_cbranch_execz .LBB6_23722
; %bb.23715:                            ;   in Loop: Header=BB6_20708 Depth=3
	v_bfe_u32 v20, v3, 23, 8
	v_cmp_gt_u32_e64 s[28:29], s47, v20
	v_sub_u32_e32 v3, 0x71, v20
	v_cmp_eq_u32_e32 vcc, 0, v20
	v_cndmask_b32_e64 v3, 0, v3, s[28:29]
	v_mov_b32_e32 v16, 0x70
	v_cndmask_b32_e32 v21, v3, v16, vcc
	v_add_u32_e32 v3, 21, v21
	v_or_b32_e32 v7, 0x800000, v1
	v_lshlrev_b64 v[54:55], v3, -1
	v_cndmask_b32_e32 v1, v7, v1, vcc
	v_add_u32_e32 v3, 20, v21
	v_bfi_b32 v54, v54, 0, v1
	v_lshlrev_b64 v[40:41], v3, 1
	v_lshrrev_b64 v[1:2], v21, v[1:2]
	v_bfi_b32 v55, v55, 0, 0
	v_cmp_eq_u64_e64 s[28:29], v[54:55], v[40:41]
	v_mov_b32_e32 v3, v2
	v_mov_b32_e32 v2, v1
	s_and_saveexec_b64 s[38:39], s[28:29]
; %bb.23716:                            ;   in Loop: Header=BB6_20708 Depth=3
	v_bfe_u32 v2, v1, 21, 1
	v_add_co_u32_e64 v2, s[28:29], v1, v2
	v_add_co_u32_e64 v2, s[28:29], -1, v2
; %bb.23717:                            ;   in Loop: Header=BB6_20708 Depth=3
	s_or_b64 exec, exec, s[38:39]
	v_add_u32_e32 v3, 0xffffff81, v20
	v_mov_b32_e32 v7, 0xffffff82
	v_cndmask_b32_e32 v3, v3, v7, vcc
	v_lshrrev_b32_e32 v7, 23, v1
	v_add3_u32 v20, v21, v3, v7
	v_add_u32_e32 v7, 14, v20
	v_and_b32_e32 v2, 0x1fffff, v2
	v_add_u32_e32 v1, v2, v1
	v_mov_b32_e32 v2, v33
	v_cmp_ne_u32_e32 vcc, 0, v7
                                        ; implicit-def: $vgpr3
	s_and_saveexec_b64 s[28:29], vcc
	s_xor_b64 s[28:29], exec, s[28:29]
; %bb.23718:                            ;   in Loop: Header=BB6_20708 Depth=3
	v_cmp_lt_u64_e32 vcc, s[88:89], v[1:2]
	v_add_u32_e32 v3, 15, v20
	v_cndmask_b32_e32 v3, v7, v3, vcc
	v_cndmask_b32_e64 v7, 0, 1, vcc
	v_lshrrev_b64 v[1:2], v7, v[1:2]
; %bb.23719:                            ;   in Loop: Header=BB6_20708 Depth=3
	s_andn2_saveexec_b64 s[28:29], s[28:29]
; %bb.23720:                            ;   in Loop: Header=BB6_20708 Depth=3
	v_bfe_u32 v3, v1, 23, 1
; %bb.23721:                            ;   in Loop: Header=BB6_20708 Depth=3
	s_or_b64 exec, exec, s[28:29]
	v_lshrrev_b64 v[1:2], 21, v[1:2]
	v_cmp_gt_i32_e32 vcc, 32, v3
	v_cndmask_b32_e32 v2, 0, v2, vcc
	v_cndmask_b32_e32 v1, 3, v1, vcc
	v_cmp_eq_u64_e64 s[28:29], 0, v[1:2]
	v_min_i32_e32 v2, 31, v3
	v_lshlrev_b32_e32 v2, 2, v2
	v_cmp_eq_u32_e32 vcc, 0, v3
	v_and_b32_e32 v2, 0xfc, v2
	v_and_or_b32 v1, v1, 3, v2
	s_and_b64 s[28:29], vcc, s[28:29]
	v_cndmask_b32_e64 v1, v1, 0, s[28:29]
	v_or_b32_e32 v54, v1, v5
.LBB6_23722:                            ;   in Loop: Header=BB6_20708 Depth=3
	s_or_b64 exec, exec, s[36:37]
                                        ; implicit-def: $vgpr5
.LBB6_23723:                            ;   in Loop: Header=BB6_20708 Depth=3
	s_andn2_saveexec_b64 s[28:29], s[34:35]
; %bb.23724:                            ;   in Loop: Header=BB6_20708 Depth=3
	v_or_b32_e32 v54, 0x7b, v5
; %bb.23725:                            ;   in Loop: Header=BB6_20708 Depth=3
	s_or_b64 exec, exec, s[28:29]
                                        ; implicit-def: $vgpr3
                                        ; implicit-def: $vgpr1_vgpr2
.LBB6_23726:                            ;   in Loop: Header=BB6_20708 Depth=3
	s_andn2_saveexec_b64 s[28:29], s[30:31]
	s_cbranch_execz .LBB6_23732
; %bb.23727:                            ;   in Loop: Header=BB6_20708 Depth=3
	v_cmp_ne_u64_e32 vcc, 0, v[1:2]
                                        ; implicit-def: $vgpr54
	s_and_saveexec_b64 s[62:63], vcc
	s_xor_b64 vcc, exec, s[62:63]
; %bb.23728:                            ;   in Loop: Header=BB6_20708 Depth=3
	v_or_b32_sdwa v54, v3, s44 dst_sel:DWORD dst_unused:UNUSED_PAD src0_sel:BYTE_3 src1_sel:DWORD
                                        ; implicit-def: $vgpr3
; %bb.23729:                            ;   in Loop: Header=BB6_20708 Depth=3
	s_andn2_saveexec_b64 s[30:31], vcc
; %bb.23730:                            ;   in Loop: Header=BB6_20708 Depth=3
	v_cmp_lt_i32_e32 vcc, -1, v3
	v_bfrev_b32_e32 v1, 0.5
	v_mov_b32_e32 v2, 0x7c
	v_cndmask_b32_e32 v54, v1, v2, vcc
; %bb.23731:                            ;   in Loop: Header=BB6_20708 Depth=3
	s_or_b64 exec, exec, s[30:31]
.LBB6_23732:                            ;   in Loop: Header=BB6_20708 Depth=3
	s_or_b64 exec, exec, s[28:29]
	v_and_b32_sdwa v5, v0, s96 dst_sel:DWORD dst_unused:UNUSED_PAD src0_sel:WORD_1 src1_sel:DWORD
	v_lshrrev_b32_e32 v1, 16, v0
	v_cmp_ne_u16_e32 vcc, 0, v5
	v_mov_b32_e32 v2, 0
	v_mov_b32_e32 v3, 0
	s_and_saveexec_b64 s[28:29], vcc
	s_cbranch_execz .LBB6_23740
; %bb.23733:                            ;   in Loop: Header=BB6_20708 Depth=3
	v_cmp_ne_u16_e32 vcc, s97, v5
	v_bfrev_b32_e32 v3, 1
	s_and_saveexec_b64 s[30:31], vcc
	s_cbranch_execz .LBB6_23739
; %bb.23734:                            ;   in Loop: Header=BB6_20708 Depth=3
	v_and_b32_e32 v3, 0x7c0000, v0
	v_bfe_u32 v5, v0, 16, 2
	v_cmp_ne_u32_e32 vcc, s45, v3
                                        ; implicit-def: $vgpr3
	s_and_saveexec_b64 s[62:63], vcc
	s_xor_b64 s[34:35], exec, s[62:63]
	s_cbranch_execz .LBB6_23736
; %bb.23735:                            ;   in Loop: Header=BB6_20708 Depth=3
	v_ffbh_u32_e32 v7, v5
	v_min_u32_e32 v7, 32, v7
	v_subrev_u32_e32 v16, 29, v7
	v_lshlrev_b64 v[20:21], v16, v[1:2]
	v_bfe_u32 v3, v0, 18, 5
	v_sub_u32_e32 v1, 30, v7
	v_and_b32_e32 v7, 3, v20
	v_cmp_eq_u32_e32 vcc, 0, v3
	v_cndmask_b32_e32 v1, v3, v1, vcc
	v_cndmask_b32_e32 v3, v5, v7, vcc
	v_lshlrev_b32_e32 v5, 8, v0
	v_and_b32_e32 v5, 0x80000000, v5
	v_lshl_add_u32 v1, v1, 23, v5
	v_lshl_or_b32 v1, v3, 21, v1
	v_add_u32_e32 v3, 0x38000000, v1
                                        ; implicit-def: $vgpr5
                                        ; implicit-def: $vgpr1
.LBB6_23736:                            ;   in Loop: Header=BB6_20708 Depth=3
	s_andn2_saveexec_b64 s[34:35], s[34:35]
; %bb.23737:                            ;   in Loop: Header=BB6_20708 Depth=3
	v_mov_b32_e32 v3, -1
	v_cmp_gt_i16_sdwa vcc, sext(v1), v3 src0_sel:BYTE_0 src1_sel:DWORD
	v_mov_b32_e32 v1, 0xff800000
	v_mov_b32_e32 v3, 0x7f800000
	v_cndmask_b32_e32 v1, v1, v3, vcc
	v_cmp_eq_u32_e32 vcc, 0, v5
	v_mov_b32_e32 v3, 0x7f800001
	v_cndmask_b32_e32 v3, v3, v1, vcc
; %bb.23738:                            ;   in Loop: Header=BB6_20708 Depth=3
	s_or_b64 exec, exec, s[34:35]
.LBB6_23739:                            ;   in Loop: Header=BB6_20708 Depth=3
	s_or_b64 exec, exec, s[30:31]
.LBB6_23740:                            ;   in Loop: Header=BB6_20708 Depth=3
	s_or_b64 exec, exec, s[28:29]
	v_lshrrev_b32_e32 v1, 16, v12
	v_cmp_ne_u16_sdwa s[62:63], v1, v33 src0_sel:BYTE_0 src1_sel:DWORD
	s_and_saveexec_b64 s[28:29], s[62:63]
	s_cbranch_execz .LBB6_23748
; %bb.23741:                            ;   in Loop: Header=BB6_20708 Depth=3
	v_cmp_ne_u16_sdwa s[62:63], v1, s97 src0_sel:BYTE_0 src1_sel:DWORD
	v_bfrev_b32_e32 v2, 1
	s_and_saveexec_b64 s[30:31], s[62:63]
	s_cbranch_execz .LBB6_23747
; %bb.23742:                            ;   in Loop: Header=BB6_20708 Depth=3
	v_and_b32_e32 v2, 0x7c0000, v12
	v_bfe_u32 v5, v12, 16, 2
	v_cmp_ne_u32_e32 vcc, s45, v2
                                        ; implicit-def: $vgpr2
	s_and_saveexec_b64 s[62:63], vcc
	s_xor_b64 s[34:35], exec, s[62:63]
	s_cbranch_execz .LBB6_23744
; %bb.23743:                            ;   in Loop: Header=BB6_20708 Depth=3
	v_ffbh_u32_e32 v2, v5
	v_min_u32_e32 v16, 32, v2
	v_subrev_u32_e32 v2, 29, v16
	v_lshlrev_b64 v[1:2], v2, v[1:2]
	v_bfe_u32 v7, v12, 18, 5
	v_and_b32_e32 v1, 3, v1
	v_cmp_eq_u32_e32 vcc, 0, v7
	v_sub_u32_e32 v2, 30, v16
	v_cndmask_b32_e32 v1, v5, v1, vcc
	v_lshlrev_b32_e32 v5, 8, v12
	v_cndmask_b32_e32 v2, v7, v2, vcc
	v_and_b32_e32 v5, 0x80000000, v5
	v_lshl_add_u32 v2, v2, 23, v5
	v_lshl_or_b32 v1, v1, 21, v2
	v_add_u32_e32 v2, 0x38000000, v1
                                        ; implicit-def: $vgpr5
                                        ; implicit-def: $vgpr1
.LBB6_23744:                            ;   in Loop: Header=BB6_20708 Depth=3
	s_andn2_saveexec_b64 s[34:35], s[34:35]
; %bb.23745:                            ;   in Loop: Header=BB6_20708 Depth=3
	v_mov_b32_e32 v2, -1
	v_cmp_gt_i16_sdwa vcc, sext(v1), v2 src0_sel:BYTE_0 src1_sel:DWORD
	v_mov_b32_e32 v1, 0xff800000
	v_mov_b32_e32 v2, 0x7f800000
	v_cndmask_b32_e32 v1, v1, v2, vcc
	v_cmp_eq_u32_e32 vcc, 0, v5
	v_mov_b32_e32 v2, 0x7f800001
	v_cndmask_b32_e32 v2, v2, v1, vcc
; %bb.23746:                            ;   in Loop: Header=BB6_20708 Depth=3
	s_or_b64 exec, exec, s[34:35]
.LBB6_23747:                            ;   in Loop: Header=BB6_20708 Depth=3
	s_or_b64 exec, exec, s[30:31]
.LBB6_23748:                            ;   in Loop: Header=BB6_20708 Depth=3
	s_or_b64 exec, exec, s[28:29]
	v_add_f32_e32 v3, v3, v2
	v_and_b32_e32 v20, 0x7f800000, v3
	v_mov_b32_e32 v21, v33
	v_cmp_ne_u64_e32 vcc, s[76:77], v[20:21]
	v_and_b32_e32 v1, 0x7fffff, v3
	v_mov_b32_e32 v2, v33
                                        ; implicit-def: $vgpr55
	s_and_saveexec_b64 s[28:29], vcc
	s_xor_b64 s[30:31], exec, s[28:29]
	s_cbranch_execz .LBB6_23762
; %bb.23749:                            ;   in Loop: Header=BB6_20708 Depth=3
	v_and_b32_e32 v20, 0x7fffffff, v3
	v_mov_b32_e32 v21, v33
	v_cmp_gt_u64_e32 vcc, s[78:79], v[20:21]
	v_and_b32_sdwa v5, v3, s97 dst_sel:DWORD dst_unused:UNUSED_PAD src0_sel:BYTE_3 src1_sel:DWORD
                                        ; implicit-def: $vgpr55
	s_and_saveexec_b64 s[28:29], vcc
	s_xor_b64 s[34:35], exec, s[28:29]
	s_cbranch_execz .LBB6_23759
; %bb.23750:                            ;   in Loop: Header=BB6_20708 Depth=3
	v_mov_b32_e32 v55, 0
	v_cmp_ne_u32_e32 vcc, 0, v3
	s_and_saveexec_b64 s[36:37], vcc
	s_cbranch_execz .LBB6_23758
; %bb.23751:                            ;   in Loop: Header=BB6_20708 Depth=3
	v_bfe_u32 v20, v3, 23, 8
	v_cmp_gt_u32_e64 s[28:29], s47, v20
	v_sub_u32_e32 v3, 0x71, v20
	v_cmp_eq_u32_e32 vcc, 0, v20
	v_cndmask_b32_e64 v3, 0, v3, s[28:29]
	v_mov_b32_e32 v16, 0x70
	v_cndmask_b32_e32 v21, v3, v16, vcc
	v_add_u32_e32 v3, 21, v21
	v_or_b32_e32 v7, 0x800000, v1
	v_lshlrev_b64 v[40:41], v3, -1
	v_cndmask_b32_e32 v1, v7, v1, vcc
	v_add_u32_e32 v3, 20, v21
	v_bfi_b32 v40, v40, 0, v1
	v_lshlrev_b64 v[43:44], v3, 1
	v_lshrrev_b64 v[1:2], v21, v[1:2]
	v_bfi_b32 v41, v41, 0, 0
	v_cmp_eq_u64_e64 s[28:29], v[40:41], v[43:44]
	v_mov_b32_e32 v3, v2
	v_mov_b32_e32 v2, v1
	s_and_saveexec_b64 s[38:39], s[28:29]
; %bb.23752:                            ;   in Loop: Header=BB6_20708 Depth=3
	v_bfe_u32 v2, v1, 21, 1
	v_add_co_u32_e64 v2, s[28:29], v1, v2
	v_add_co_u32_e64 v2, s[28:29], -1, v2
; %bb.23753:                            ;   in Loop: Header=BB6_20708 Depth=3
	s_or_b64 exec, exec, s[38:39]
	v_add_u32_e32 v3, 0xffffff81, v20
	v_mov_b32_e32 v7, 0xffffff82
	v_cndmask_b32_e32 v3, v3, v7, vcc
	v_lshrrev_b32_e32 v7, 23, v1
	v_add3_u32 v20, v21, v3, v7
	v_add_u32_e32 v7, 14, v20
	v_and_b32_e32 v2, 0x1fffff, v2
	v_add_u32_e32 v1, v2, v1
	v_mov_b32_e32 v2, v33
	v_cmp_ne_u32_e32 vcc, 0, v7
                                        ; implicit-def: $vgpr3
	s_and_saveexec_b64 s[28:29], vcc
	s_xor_b64 s[28:29], exec, s[28:29]
; %bb.23754:                            ;   in Loop: Header=BB6_20708 Depth=3
	v_cmp_lt_u64_e32 vcc, s[88:89], v[1:2]
	v_add_u32_e32 v3, 15, v20
	v_cndmask_b32_e32 v3, v7, v3, vcc
	v_cndmask_b32_e64 v7, 0, 1, vcc
	v_lshrrev_b64 v[1:2], v7, v[1:2]
; %bb.23755:                            ;   in Loop: Header=BB6_20708 Depth=3
	s_andn2_saveexec_b64 s[28:29], s[28:29]
; %bb.23756:                            ;   in Loop: Header=BB6_20708 Depth=3
	v_bfe_u32 v3, v1, 23, 1
; %bb.23757:                            ;   in Loop: Header=BB6_20708 Depth=3
	s_or_b64 exec, exec, s[28:29]
	v_lshrrev_b64 v[1:2], 21, v[1:2]
	v_cmp_gt_i32_e32 vcc, 32, v3
	v_cndmask_b32_e32 v2, 0, v2, vcc
	v_cndmask_b32_e32 v1, 3, v1, vcc
	v_cmp_eq_u64_e64 s[28:29], 0, v[1:2]
	v_min_i32_e32 v2, 31, v3
	v_lshlrev_b32_e32 v2, 2, v2
	v_cmp_eq_u32_e32 vcc, 0, v3
	v_and_b32_e32 v2, 0xfc, v2
	v_and_or_b32 v1, v1, 3, v2
	s_and_b64 s[28:29], vcc, s[28:29]
	v_cndmask_b32_e64 v1, v1, 0, s[28:29]
	v_or_b32_e32 v55, v1, v5
.LBB6_23758:                            ;   in Loop: Header=BB6_20708 Depth=3
	s_or_b64 exec, exec, s[36:37]
                                        ; implicit-def: $vgpr5
.LBB6_23759:                            ;   in Loop: Header=BB6_20708 Depth=3
	s_andn2_saveexec_b64 s[28:29], s[34:35]
; %bb.23760:                            ;   in Loop: Header=BB6_20708 Depth=3
	v_or_b32_e32 v55, 0x7b, v5
; %bb.23761:                            ;   in Loop: Header=BB6_20708 Depth=3
	s_or_b64 exec, exec, s[28:29]
                                        ; implicit-def: $vgpr3
                                        ; implicit-def: $vgpr1_vgpr2
.LBB6_23762:                            ;   in Loop: Header=BB6_20708 Depth=3
	s_andn2_saveexec_b64 s[28:29], s[30:31]
	s_cbranch_execz .LBB6_23768
; %bb.23763:                            ;   in Loop: Header=BB6_20708 Depth=3
	v_cmp_ne_u64_e32 vcc, 0, v[1:2]
                                        ; implicit-def: $vgpr55
	s_and_saveexec_b64 s[62:63], vcc
	s_xor_b64 vcc, exec, s[62:63]
; %bb.23764:                            ;   in Loop: Header=BB6_20708 Depth=3
	v_or_b32_sdwa v55, v3, s44 dst_sel:DWORD dst_unused:UNUSED_PAD src0_sel:BYTE_3 src1_sel:DWORD
                                        ; implicit-def: $vgpr3
; %bb.23765:                            ;   in Loop: Header=BB6_20708 Depth=3
	s_andn2_saveexec_b64 s[30:31], vcc
; %bb.23766:                            ;   in Loop: Header=BB6_20708 Depth=3
	v_cmp_lt_i32_e32 vcc, -1, v3
	v_bfrev_b32_e32 v1, 0.5
	v_mov_b32_e32 v2, 0x7c
	v_cndmask_b32_e32 v55, v1, v2, vcc
; %bb.23767:                            ;   in Loop: Header=BB6_20708 Depth=3
	s_or_b64 exec, exec, s[30:31]
.LBB6_23768:                            ;   in Loop: Header=BB6_20708 Depth=3
	s_or_b64 exec, exec, s[28:29]
	v_cmp_lt_u32_e32 vcc, s57, v0
	v_mov_b32_e32 v2, 0
	v_mov_b32_e32 v3, 0
	s_and_saveexec_b64 s[28:29], vcc
	s_cbranch_execz .LBB6_23776
; %bb.23769:                            ;   in Loop: Header=BB6_20708 Depth=3
	v_lshrrev_b32_e32 v1, 24, v0
	v_cmp_ne_u32_e32 vcc, s97, v1
	v_bfrev_b32_e32 v3, 1
	s_and_saveexec_b64 s[30:31], vcc
	s_cbranch_execz .LBB6_23775
; %bb.23770:                            ;   in Loop: Header=BB6_20708 Depth=3
	v_and_b32_e32 v3, 0x7c000000, v0
	v_bfe_u32 v5, v0, 24, 2
	v_cmp_ne_u32_e32 vcc, s68, v3
                                        ; implicit-def: $vgpr3
	s_and_saveexec_b64 s[62:63], vcc
	s_xor_b64 s[34:35], exec, s[62:63]
	s_cbranch_execz .LBB6_23772
; %bb.23771:                            ;   in Loop: Header=BB6_20708 Depth=3
	v_ffbh_u32_e32 v7, v5
	v_min_u32_e32 v7, 32, v7
	v_subrev_u32_e32 v16, 29, v7
	v_bfe_u32 v3, v0, 26, 5
	v_lshlrev_b64 v[20:21], v16, v[1:2]
	v_sub_u32_e32 v1, 30, v7
	v_cmp_eq_u32_e32 vcc, 0, v3
	v_and_b32_e32 v7, 3, v20
	v_cndmask_b32_e32 v1, v3, v1, vcc
	v_and_b32_e32 v0, 0x80000000, v0
	v_cndmask_b32_e32 v3, v5, v7, vcc
	v_lshl_add_u32 v0, v1, 23, v0
	v_lshl_or_b32 v0, v3, 21, v0
	v_add_u32_e32 v3, 0x38000000, v0
                                        ; implicit-def: $vgpr5
                                        ; implicit-def: $vgpr0_vgpr1
.LBB6_23772:                            ;   in Loop: Header=BB6_20708 Depth=3
	s_andn2_saveexec_b64 s[34:35], s[34:35]
; %bb.23773:                            ;   in Loop: Header=BB6_20708 Depth=3
	v_cmp_lt_i32_e32 vcc, -1, v0
	v_mov_b32_e32 v0, 0xff800000
	v_mov_b32_e32 v1, 0x7f800000
	v_cndmask_b32_e32 v0, v0, v1, vcc
	v_cmp_eq_u32_e32 vcc, 0, v5
	v_mov_b32_e32 v1, 0x7f800001
	v_cndmask_b32_e32 v3, v1, v0, vcc
; %bb.23774:                            ;   in Loop: Header=BB6_20708 Depth=3
	s_or_b64 exec, exec, s[34:35]
.LBB6_23775:                            ;   in Loop: Header=BB6_20708 Depth=3
	s_or_b64 exec, exec, s[30:31]
.LBB6_23776:                            ;   in Loop: Header=BB6_20708 Depth=3
	s_or_b64 exec, exec, s[28:29]
	v_cmp_lt_u32_e32 vcc, s57, v12
	s_and_saveexec_b64 s[28:29], vcc
	s_cbranch_execz .LBB6_23784
; %bb.23777:                            ;   in Loop: Header=BB6_20708 Depth=3
	v_lshrrev_b32_e32 v0, 24, v12
	v_cmp_ne_u32_e32 vcc, s97, v0
	v_bfrev_b32_e32 v2, 1
	s_and_saveexec_b64 s[30:31], vcc
	s_cbranch_execz .LBB6_23783
; %bb.23778:                            ;   in Loop: Header=BB6_20708 Depth=3
	v_and_b32_e32 v2, 0x7c000000, v12
	v_bfe_u32 v1, v12, 24, 2
	v_cmp_ne_u32_e32 vcc, s68, v2
                                        ; implicit-def: $vgpr2
	s_and_saveexec_b64 s[62:63], vcc
	s_xor_b64 s[34:35], exec, s[62:63]
	s_cbranch_execz .LBB6_23780
; %bb.23779:                            ;   in Loop: Header=BB6_20708 Depth=3
	v_ffbh_u32_e32 v5, v1
	v_min_u32_e32 v5, 32, v5
	v_subrev_u32_e32 v7, 29, v5
	v_bfe_u32 v2, v12, 26, 5
	v_lshlrev_b64 v[20:21], v7, v[0:1]
	v_sub_u32_e32 v0, 30, v5
	v_cmp_eq_u32_e32 vcc, 0, v2
	v_and_b32_e32 v5, 3, v20
	v_cndmask_b32_e32 v0, v2, v0, vcc
	v_and_b32_e32 v2, 0x80000000, v12
	v_cndmask_b32_e32 v1, v1, v5, vcc
	v_lshl_add_u32 v0, v0, 23, v2
	v_lshl_or_b32 v0, v1, 21, v0
	v_add_u32_e32 v2, 0x38000000, v0
                                        ; implicit-def: $vgpr1
.LBB6_23780:                            ;   in Loop: Header=BB6_20708 Depth=3
	s_andn2_saveexec_b64 s[34:35], s[34:35]
; %bb.23781:                            ;   in Loop: Header=BB6_20708 Depth=3
	v_cmp_lt_i32_e32 vcc, -1, v12
	v_mov_b32_e32 v0, 0xff800000
	v_mov_b32_e32 v2, 0x7f800000
	v_cndmask_b32_e32 v0, v0, v2, vcc
	v_cmp_eq_u32_e32 vcc, 0, v1
	v_mov_b32_e32 v1, 0x7f800001
	v_cndmask_b32_e32 v2, v1, v0, vcc
; %bb.23782:                            ;   in Loop: Header=BB6_20708 Depth=3
	s_or_b64 exec, exec, s[34:35]
.LBB6_23783:                            ;   in Loop: Header=BB6_20708 Depth=3
	s_or_b64 exec, exec, s[30:31]
.LBB6_23784:                            ;   in Loop: Header=BB6_20708 Depth=3
	s_or_b64 exec, exec, s[28:29]
	v_add_f32_e32 v2, v3, v2
	v_and_b32_e32 v20, 0x7f800000, v2
	v_mov_b32_e32 v21, v33
	v_cmp_ne_u64_e32 vcc, s[76:77], v[20:21]
	v_and_b32_e32 v0, 0x7fffff, v2
	v_mov_b32_e32 v1, v33
                                        ; implicit-def: $vgpr41
	s_and_saveexec_b64 s[28:29], vcc
	s_xor_b64 s[30:31], exec, s[28:29]
	s_cbranch_execz .LBB6_23798
; %bb.23785:                            ;   in Loop: Header=BB6_20708 Depth=3
	v_and_b32_e32 v20, 0x7fffffff, v2
	v_mov_b32_e32 v21, v33
	v_cmp_gt_u64_e32 vcc, s[78:79], v[20:21]
	v_and_b32_sdwa v3, v2, s97 dst_sel:DWORD dst_unused:UNUSED_PAD src0_sel:BYTE_3 src1_sel:DWORD
                                        ; implicit-def: $vgpr41
	s_and_saveexec_b64 s[28:29], vcc
	s_xor_b64 s[34:35], exec, s[28:29]
	s_cbranch_execz .LBB6_23795
; %bb.23786:                            ;   in Loop: Header=BB6_20708 Depth=3
	v_mov_b32_e32 v41, 0
	v_cmp_ne_u32_e32 vcc, 0, v2
	s_and_saveexec_b64 s[36:37], vcc
	s_cbranch_execz .LBB6_23794
; %bb.23787:                            ;   in Loop: Header=BB6_20708 Depth=3
	v_bfe_u32 v5, v2, 23, 8
	v_cmp_gt_u32_e64 s[28:29], s47, v5
	v_sub_u32_e32 v2, 0x71, v5
	v_cmp_eq_u32_e32 vcc, 0, v5
	v_cndmask_b32_e64 v2, 0, v2, s[28:29]
	v_mov_b32_e32 v16, 0x70
	v_cndmask_b32_e32 v20, v2, v16, vcc
	v_add_u32_e32 v2, 21, v20
	v_or_b32_e32 v7, 0x800000, v0
	v_lshlrev_b64 v[21:22], v2, -1
	v_cndmask_b32_e32 v0, v7, v0, vcc
	v_add_u32_e32 v2, 20, v20
	v_bfi_b32 v21, v21, 0, v0
	v_lshlrev_b64 v[40:41], v2, 1
	v_lshrrev_b64 v[0:1], v20, v[0:1]
	v_bfi_b32 v22, v22, 0, 0
	v_cmp_eq_u64_e64 s[28:29], v[21:22], v[40:41]
	v_mov_b32_e32 v2, v1
	v_mov_b32_e32 v1, v0
	s_and_saveexec_b64 s[38:39], s[28:29]
; %bb.23788:                            ;   in Loop: Header=BB6_20708 Depth=3
	v_bfe_u32 v1, v0, 21, 1
	v_add_co_u32_e64 v1, s[28:29], v0, v1
	v_add_co_u32_e64 v1, s[28:29], -1, v1
; %bb.23789:                            ;   in Loop: Header=BB6_20708 Depth=3
	s_or_b64 exec, exec, s[38:39]
	v_add_u32_e32 v2, 0xffffff81, v5
	v_mov_b32_e32 v5, 0xffffff82
	v_cndmask_b32_e32 v2, v2, v5, vcc
	v_lshrrev_b32_e32 v5, 23, v0
	v_add3_u32 v7, v20, v2, v5
	v_add_u32_e32 v5, 14, v7
	v_and_b32_e32 v1, 0x1fffff, v1
	v_add_u32_e32 v0, v1, v0
	v_mov_b32_e32 v1, v33
	v_cmp_ne_u32_e32 vcc, 0, v5
                                        ; implicit-def: $vgpr2
	s_and_saveexec_b64 s[28:29], vcc
	s_xor_b64 s[28:29], exec, s[28:29]
; %bb.23790:                            ;   in Loop: Header=BB6_20708 Depth=3
	v_cmp_lt_u64_e32 vcc, s[88:89], v[0:1]
	v_add_u32_e32 v2, 15, v7
	v_cndmask_b32_e32 v2, v5, v2, vcc
	v_cndmask_b32_e64 v5, 0, 1, vcc
	v_lshrrev_b64 v[0:1], v5, v[0:1]
; %bb.23791:                            ;   in Loop: Header=BB6_20708 Depth=3
	s_andn2_saveexec_b64 s[28:29], s[28:29]
; %bb.23792:                            ;   in Loop: Header=BB6_20708 Depth=3
	v_bfe_u32 v2, v0, 23, 1
; %bb.23793:                            ;   in Loop: Header=BB6_20708 Depth=3
	s_or_b64 exec, exec, s[28:29]
	v_lshrrev_b64 v[0:1], 21, v[0:1]
	v_cmp_gt_i32_e32 vcc, 32, v2
	v_cndmask_b32_e32 v1, 0, v1, vcc
	v_cndmask_b32_e32 v0, 3, v0, vcc
	v_cmp_eq_u64_e64 s[28:29], 0, v[0:1]
	v_min_i32_e32 v1, 31, v2
	v_lshlrev_b32_e32 v1, 2, v1
	v_cmp_eq_u32_e32 vcc, 0, v2
	v_and_b32_e32 v1, 0xfc, v1
	v_and_or_b32 v0, v0, 3, v1
	s_and_b64 s[28:29], vcc, s[28:29]
	v_cndmask_b32_e64 v0, v0, 0, s[28:29]
	v_or_b32_e32 v41, v0, v3
.LBB6_23794:                            ;   in Loop: Header=BB6_20708 Depth=3
	s_or_b64 exec, exec, s[36:37]
                                        ; implicit-def: $vgpr3
.LBB6_23795:                            ;   in Loop: Header=BB6_20708 Depth=3
	s_andn2_saveexec_b64 s[28:29], s[34:35]
; %bb.23796:                            ;   in Loop: Header=BB6_20708 Depth=3
	v_or_b32_e32 v41, 0x7b, v3
; %bb.23797:                            ;   in Loop: Header=BB6_20708 Depth=3
	s_or_b64 exec, exec, s[28:29]
                                        ; implicit-def: $vgpr2
                                        ; implicit-def: $vgpr0_vgpr1
.LBB6_23798:                            ;   in Loop: Header=BB6_20708 Depth=3
	s_andn2_saveexec_b64 s[28:29], s[30:31]
	s_cbranch_execz .LBB6_23804
; %bb.23799:                            ;   in Loop: Header=BB6_20708 Depth=3
	v_cmp_ne_u64_e32 vcc, 0, v[0:1]
                                        ; implicit-def: $vgpr41
	s_and_saveexec_b64 s[62:63], vcc
	s_xor_b64 vcc, exec, s[62:63]
; %bb.23800:                            ;   in Loop: Header=BB6_20708 Depth=3
	v_or_b32_sdwa v41, v2, s44 dst_sel:DWORD dst_unused:UNUSED_PAD src0_sel:BYTE_3 src1_sel:DWORD
                                        ; implicit-def: $vgpr2
; %bb.23801:                            ;   in Loop: Header=BB6_20708 Depth=3
	s_andn2_saveexec_b64 s[30:31], vcc
; %bb.23802:                            ;   in Loop: Header=BB6_20708 Depth=3
	v_cmp_lt_i32_e32 vcc, -1, v2
	v_bfrev_b32_e32 v0, 0.5
	v_mov_b32_e32 v1, 0x7c
	v_cndmask_b32_e32 v41, v0, v1, vcc
; %bb.23803:                            ;   in Loop: Header=BB6_20708 Depth=3
	s_or_b64 exec, exec, s[30:31]
.LBB6_23804:                            ;   in Loop: Header=BB6_20708 Depth=3
	s_or_b64 exec, exec, s[28:29]
	buffer_load_dword v0, off, s[0:3], s33 offset:260 ; 4-byte Folded Reload
	buffer_load_dword v1, off, s[0:3], s33 offset:300 ; 4-byte Folded Reload
	v_cmp_ne_u32_e32 vcc, 0, v42
	v_mov_b32_e32 v2, 0
	v_mov_b32_e32 v3, 0
	s_waitcnt vmcnt(1)
	v_lshl_or_b32 v5, v0, 8, v42
	buffer_load_dword v0, off, s[0:3], s33 offset:296 ; 4-byte Folded Reload
	s_waitcnt vmcnt(1)
	v_lshlrev_b32_e32 v1, 24, v1
	s_waitcnt vmcnt(0)
	v_lshlrev_b32_e32 v0, 16, v0
	v_or3_b32 v0, v0, v1, v5
	v_mov_b32_e32 v1, v33
	s_and_saveexec_b64 s[30:31], vcc
	s_cbranch_execz .LBB6_23812
; %bb.23805:                            ;   in Loop: Header=BB6_20708 Depth=3
	v_cmp_ne_u32_e32 vcc, s97, v42
	v_bfrev_b32_e32 v3, 1
	s_and_saveexec_b64 s[34:35], vcc
	s_cbranch_execz .LBB6_23811
; %bb.23806:                            ;   in Loop: Header=BB6_20708 Depth=3
	v_and_b32_e32 v3, 0x7c, v42
	v_and_b32_e32 v7, 3, v42
	v_cmp_ne_u32_e32 vcc, s86, v3
                                        ; implicit-def: $vgpr3
	s_and_saveexec_b64 s[28:29], vcc
	s_xor_b64 s[28:29], exec, s[28:29]
	s_cbranch_execz .LBB6_23808
; %bb.23807:                            ;   in Loop: Header=BB6_20708 Depth=3
	v_ffbh_u32_e32 v16, v7
	v_min_u32_e32 v16, 32, v16
	v_subrev_u32_e32 v17, 29, v16
	v_lshlrev_b64 v[20:21], v17, v[0:1]
	v_bfe_u32 v3, v42, 2, 5
	v_sub_u32_e32 v1, 30, v16
	v_and_b32_e32 v16, 3, v20
	v_cmp_eq_u32_e32 vcc, 0, v3
	v_cndmask_b32_e32 v1, v3, v1, vcc
	v_cndmask_b32_e32 v3, v7, v16, vcc
	v_lshlrev_b32_e32 v7, 24, v42
	v_and_b32_e32 v7, 0x80000000, v7
	v_lshl_add_u32 v1, v1, 23, v7
	v_lshl_or_b32 v1, v3, 21, v1
	v_add_u32_e32 v3, 0x38000000, v1
                                        ; implicit-def: $vgpr7
                                        ; implicit-def: $vgpr42
.LBB6_23808:                            ;   in Loop: Header=BB6_20708 Depth=3
	s_andn2_saveexec_b64 s[36:37], s[28:29]
; %bb.23809:                            ;   in Loop: Header=BB6_20708 Depth=3
	v_and_b32_e32 v1, 0x80, v42
	v_cmp_eq_u32_e64 s[28:29], 0, v1
	v_mov_b32_e32 v1, 0xff800000
	v_mov_b32_e32 v3, 0x7f800000
	v_cmp_eq_u32_e32 vcc, 0, v7
	v_cndmask_b32_e64 v1, v1, v3, s[28:29]
	v_mov_b32_e32 v3, 0x7f800001
	v_cndmask_b32_e32 v3, v3, v1, vcc
; %bb.23810:                            ;   in Loop: Header=BB6_20708 Depth=3
	s_or_b64 exec, exec, s[36:37]
.LBB6_23811:                            ;   in Loop: Header=BB6_20708 Depth=3
	s_or_b64 exec, exec, s[34:35]
.LBB6_23812:                            ;   in Loop: Header=BB6_20708 Depth=3
	s_or_b64 exec, exec, s[30:31]
	v_cmp_ne_u16_sdwa s[62:63], v13, v33 src0_sel:BYTE_0 src1_sel:DWORD
	s_and_saveexec_b64 s[28:29], s[62:63]
	s_cbranch_execz .LBB6_23820
; %bb.23813:                            ;   in Loop: Header=BB6_20708 Depth=3
	v_cmp_ne_u16_sdwa s[62:63], v13, s97 src0_sel:BYTE_0 src1_sel:DWORD
	v_bfrev_b32_e32 v2, 1
	s_and_saveexec_b64 s[30:31], s[62:63]
	s_cbranch_execz .LBB6_23819
; %bb.23814:                            ;   in Loop: Header=BB6_20708 Depth=3
	v_and_b32_e32 v2, 0x7c, v13
	v_and_b32_e32 v1, 3, v13
	v_cmp_ne_u32_e32 vcc, s86, v2
                                        ; implicit-def: $vgpr2
	s_and_saveexec_b64 s[62:63], vcc
	s_xor_b64 s[34:35], exec, s[62:63]
	s_cbranch_execz .LBB6_23816
; %bb.23815:                            ;   in Loop: Header=BB6_20708 Depth=3
	v_ffbh_u32_e32 v7, v1
	v_min_u32_e32 v7, 32, v7
	v_mov_b32_e32 v20, v13
	v_mov_b32_e32 v21, v33
	v_bfe_u32 v2, v13, 2, 5
	v_subrev_u32_e32 v16, 29, v7
	v_lshlrev_b64 v[20:21], v16, v[20:21]
	v_sub_u32_e32 v7, 30, v7
	v_cmp_eq_u32_e32 vcc, 0, v2
	v_cndmask_b32_e32 v2, v2, v7, vcc
	v_lshlrev_b32_e32 v7, 24, v13
	v_and_b32_e32 v16, 3, v20
	v_and_b32_e32 v7, 0x80000000, v7
	v_cndmask_b32_e32 v1, v1, v16, vcc
	v_lshl_add_u32 v2, v2, 23, v7
	v_lshl_or_b32 v1, v1, 21, v2
	v_add_u32_e32 v2, 0x38000000, v1
                                        ; implicit-def: $vgpr1
.LBB6_23816:                            ;   in Loop: Header=BB6_20708 Depth=3
	s_andn2_saveexec_b64 s[34:35], s[34:35]
; %bb.23817:                            ;   in Loop: Header=BB6_20708 Depth=3
	v_mov_b32_e32 v2, -1
	v_cmp_gt_i16_sdwa vcc, sext(v13), v2 src0_sel:BYTE_0 src1_sel:DWORD
	v_mov_b32_e32 v2, 0xff800000
	v_mov_b32_e32 v7, 0x7f800000
	v_cndmask_b32_e32 v2, v2, v7, vcc
	v_cmp_eq_u32_e32 vcc, 0, v1
	v_mov_b32_e32 v1, 0x7f800001
	v_cndmask_b32_e32 v2, v1, v2, vcc
; %bb.23818:                            ;   in Loop: Header=BB6_20708 Depth=3
	s_or_b64 exec, exec, s[34:35]
.LBB6_23819:                            ;   in Loop: Header=BB6_20708 Depth=3
	s_or_b64 exec, exec, s[30:31]
.LBB6_23820:                            ;   in Loop: Header=BB6_20708 Depth=3
	s_or_b64 exec, exec, s[28:29]
	v_add_f32_e32 v3, v3, v2
	v_and_b32_e32 v20, 0x7f800000, v3
	v_mov_b32_e32 v21, v33
	v_cmp_ne_u64_e32 vcc, s[76:77], v[20:21]
	v_and_b32_e32 v1, 0x7fffff, v3
	v_mov_b32_e32 v2, v33
                                        ; implicit-def: $vgpr42
	s_and_saveexec_b64 s[28:29], vcc
	s_xor_b64 s[30:31], exec, s[28:29]
	s_cbranch_execz .LBB6_23834
; %bb.23821:                            ;   in Loop: Header=BB6_20708 Depth=3
	v_and_b32_e32 v20, 0x7fffffff, v3
	v_mov_b32_e32 v21, v33
	v_cmp_gt_u64_e32 vcc, s[78:79], v[20:21]
	v_and_b32_sdwa v20, v3, s97 dst_sel:DWORD dst_unused:UNUSED_PAD src0_sel:BYTE_3 src1_sel:DWORD
                                        ; implicit-def: $vgpr42
	s_and_saveexec_b64 s[28:29], vcc
	s_xor_b64 s[34:35], exec, s[28:29]
	s_cbranch_execz .LBB6_23831
; %bb.23822:                            ;   in Loop: Header=BB6_20708 Depth=3
	v_mov_b32_e32 v42, 0
	v_cmp_ne_u32_e32 vcc, 0, v3
	s_and_saveexec_b64 s[36:37], vcc
	s_cbranch_execz .LBB6_23830
; %bb.23823:                            ;   in Loop: Header=BB6_20708 Depth=3
	v_bfe_u32 v21, v3, 23, 8
	v_cmp_gt_u32_e64 s[28:29], s47, v21
	v_sub_u32_e32 v3, 0x71, v21
	v_cmp_eq_u32_e32 vcc, 0, v21
	v_cndmask_b32_e64 v3, 0, v3, s[28:29]
	v_mov_b32_e32 v16, 0x70
	v_cndmask_b32_e32 v22, v3, v16, vcc
	v_add_u32_e32 v3, 21, v22
	v_or_b32_e32 v7, 0x800000, v1
	v_lshlrev_b64 v[42:43], v3, -1
	v_cndmask_b32_e32 v1, v7, v1, vcc
	v_add_u32_e32 v3, 20, v22
	v_bfi_b32 v42, v42, 0, v1
	v_lshlrev_b64 v[44:45], v3, 1
	v_lshrrev_b64 v[1:2], v22, v[1:2]
	v_bfi_b32 v43, v43, 0, 0
	v_cmp_eq_u64_e64 s[28:29], v[42:43], v[44:45]
	v_mov_b32_e32 v3, v2
	v_mov_b32_e32 v2, v1
	s_and_saveexec_b64 s[38:39], s[28:29]
; %bb.23824:                            ;   in Loop: Header=BB6_20708 Depth=3
	v_bfe_u32 v2, v1, 21, 1
	v_add_co_u32_e64 v2, s[28:29], v1, v2
	v_add_co_u32_e64 v2, s[28:29], -1, v2
; %bb.23825:                            ;   in Loop: Header=BB6_20708 Depth=3
	s_or_b64 exec, exec, s[38:39]
	v_add_u32_e32 v3, 0xffffff81, v21
	v_mov_b32_e32 v7, 0xffffff82
	v_cndmask_b32_e32 v3, v3, v7, vcc
	v_lshrrev_b32_e32 v7, 23, v1
	v_add3_u32 v21, v22, v3, v7
	v_add_u32_e32 v7, 14, v21
	v_and_b32_e32 v2, 0x1fffff, v2
	v_add_u32_e32 v1, v2, v1
	v_mov_b32_e32 v2, v33
	v_cmp_ne_u32_e32 vcc, 0, v7
                                        ; implicit-def: $vgpr3
	s_and_saveexec_b64 s[28:29], vcc
	s_xor_b64 s[28:29], exec, s[28:29]
; %bb.23826:                            ;   in Loop: Header=BB6_20708 Depth=3
	v_cmp_lt_u64_e32 vcc, s[88:89], v[1:2]
	v_add_u32_e32 v3, 15, v21
	v_cndmask_b32_e32 v3, v7, v3, vcc
	v_cndmask_b32_e64 v7, 0, 1, vcc
	v_lshrrev_b64 v[1:2], v7, v[1:2]
; %bb.23827:                            ;   in Loop: Header=BB6_20708 Depth=3
	s_andn2_saveexec_b64 s[28:29], s[28:29]
; %bb.23828:                            ;   in Loop: Header=BB6_20708 Depth=3
	v_bfe_u32 v3, v1, 23, 1
; %bb.23829:                            ;   in Loop: Header=BB6_20708 Depth=3
	s_or_b64 exec, exec, s[28:29]
	v_lshrrev_b64 v[1:2], 21, v[1:2]
	v_cmp_gt_i32_e32 vcc, 32, v3
	v_cndmask_b32_e32 v2, 0, v2, vcc
	v_cndmask_b32_e32 v1, 3, v1, vcc
	v_cmp_eq_u64_e64 s[28:29], 0, v[1:2]
	v_min_i32_e32 v2, 31, v3
	v_lshlrev_b32_e32 v2, 2, v2
	v_cmp_eq_u32_e32 vcc, 0, v3
	v_and_b32_e32 v2, 0xfc, v2
	v_and_or_b32 v1, v1, 3, v2
	s_and_b64 s[28:29], vcc, s[28:29]
	v_cndmask_b32_e64 v1, v1, 0, s[28:29]
	v_or_b32_e32 v42, v1, v20
.LBB6_23830:                            ;   in Loop: Header=BB6_20708 Depth=3
	s_or_b64 exec, exec, s[36:37]
                                        ; implicit-def: $vgpr20
.LBB6_23831:                            ;   in Loop: Header=BB6_20708 Depth=3
	s_andn2_saveexec_b64 s[28:29], s[34:35]
; %bb.23832:                            ;   in Loop: Header=BB6_20708 Depth=3
	v_or_b32_e32 v42, 0x7b, v20
; %bb.23833:                            ;   in Loop: Header=BB6_20708 Depth=3
	s_or_b64 exec, exec, s[28:29]
                                        ; implicit-def: $vgpr3
                                        ; implicit-def: $vgpr1_vgpr2
.LBB6_23834:                            ;   in Loop: Header=BB6_20708 Depth=3
	s_andn2_saveexec_b64 s[28:29], s[30:31]
	s_cbranch_execz .LBB6_23840
; %bb.23835:                            ;   in Loop: Header=BB6_20708 Depth=3
	v_cmp_ne_u64_e32 vcc, 0, v[1:2]
                                        ; implicit-def: $vgpr42
	s_and_saveexec_b64 s[62:63], vcc
	s_xor_b64 vcc, exec, s[62:63]
; %bb.23836:                            ;   in Loop: Header=BB6_20708 Depth=3
	v_or_b32_sdwa v42, v3, s44 dst_sel:DWORD dst_unused:UNUSED_PAD src0_sel:BYTE_3 src1_sel:DWORD
                                        ; implicit-def: $vgpr3
; %bb.23837:                            ;   in Loop: Header=BB6_20708 Depth=3
	s_andn2_saveexec_b64 s[30:31], vcc
; %bb.23838:                            ;   in Loop: Header=BB6_20708 Depth=3
	v_cmp_lt_i32_e32 vcc, -1, v3
	v_bfrev_b32_e32 v1, 0.5
	v_mov_b32_e32 v2, 0x7c
	v_cndmask_b32_e32 v42, v1, v2, vcc
; %bb.23839:                            ;   in Loop: Header=BB6_20708 Depth=3
	s_or_b64 exec, exec, s[30:31]
.LBB6_23840:                            ;   in Loop: Header=BB6_20708 Depth=3
	s_or_b64 exec, exec, s[28:29]
	v_lshrrev_b16_e32 v1, 8, v5
	v_cmp_ne_u16_e32 vcc, 0, v1
	v_mov_b32_e32 v3, 0
	v_mov_b32_e32 v20, 0
	s_and_saveexec_b64 s[28:29], vcc
	s_cbranch_execz .LBB6_23848
; %bb.23841:                            ;   in Loop: Header=BB6_20708 Depth=3
	v_cmp_ne_u16_e32 vcc, s97, v1
	v_bfrev_b32_e32 v20, 1
	s_and_saveexec_b64 s[30:31], vcc
	s_cbranch_execz .LBB6_23847
; %bb.23842:                            ;   in Loop: Header=BB6_20708 Depth=3
	v_and_b32_e32 v2, 0x7c, v1
	v_and_b32_e32 v7, 3, v1
	v_cmp_ne_u32_e32 vcc, s86, v2
                                        ; implicit-def: $vgpr20
	s_and_saveexec_b64 s[62:63], vcc
	s_xor_b64 s[34:35], exec, s[62:63]
	s_cbranch_execz .LBB6_23844
; %bb.23843:                            ;   in Loop: Header=BB6_20708 Depth=3
	v_ffbh_u32_e32 v17, v7
	v_min_u32_e32 v17, 32, v17
	v_mov_b32_e32 v2, v33
	v_subrev_u32_e32 v20, 29, v17
	v_bfe_u32 v16, v1, 2, 5
	v_lshlrev_b64 v[1:2], v20, v[1:2]
	v_sub_u32_e32 v2, 30, v17
	v_cmp_eq_u32_e32 vcc, 0, v16
	v_lshlrev_b32_e32 v5, 16, v5
	v_and_b32_e32 v1, 3, v1
	v_cndmask_b32_e32 v2, v16, v2, vcc
	v_and_b32_e32 v5, 0x80000000, v5
	v_cndmask_b32_e32 v1, v7, v1, vcc
	v_lshl_add_u32 v2, v2, 23, v5
	v_lshl_or_b32 v1, v1, 21, v2
	v_add_u32_e32 v20, 0x38000000, v1
                                        ; implicit-def: $vgpr7
                                        ; implicit-def: $vgpr5
.LBB6_23844:                            ;   in Loop: Header=BB6_20708 Depth=3
	s_andn2_saveexec_b64 s[34:35], s[34:35]
; %bb.23845:                            ;   in Loop: Header=BB6_20708 Depth=3
	v_cmp_lt_i16_e32 vcc, -1, v5
	v_mov_b32_e32 v1, 0xff800000
	v_mov_b32_e32 v2, 0x7f800000
	v_cndmask_b32_e32 v1, v1, v2, vcc
	v_cmp_eq_u32_e32 vcc, 0, v7
	v_mov_b32_e32 v2, 0x7f800001
	v_cndmask_b32_e32 v20, v2, v1, vcc
; %bb.23846:                            ;   in Loop: Header=BB6_20708 Depth=3
	s_or_b64 exec, exec, s[34:35]
.LBB6_23847:                            ;   in Loop: Header=BB6_20708 Depth=3
	s_or_b64 exec, exec, s[30:31]
.LBB6_23848:                            ;   in Loop: Header=BB6_20708 Depth=3
	s_or_b64 exec, exec, s[28:29]
	v_lshrrev_b16_e32 v1, 8, v13
	v_cmp_ne_u16_e32 vcc, 0, v1
	s_and_saveexec_b64 s[28:29], vcc
	s_cbranch_execz .LBB6_23856
; %bb.23849:                            ;   in Loop: Header=BB6_20708 Depth=3
	v_cmp_ne_u16_e32 vcc, s97, v1
	v_bfrev_b32_e32 v3, 1
	s_and_saveexec_b64 s[30:31], vcc
	s_cbranch_execz .LBB6_23855
; %bb.23850:                            ;   in Loop: Header=BB6_20708 Depth=3
	v_and_b32_e32 v2, 0x7c, v1
	v_and_b32_e32 v5, 3, v1
	v_cmp_ne_u32_e32 vcc, s86, v2
                                        ; implicit-def: $vgpr3
	s_and_saveexec_b64 s[62:63], vcc
	s_xor_b64 s[34:35], exec, s[62:63]
	s_cbranch_execz .LBB6_23852
; %bb.23851:                            ;   in Loop: Header=BB6_20708 Depth=3
	v_ffbh_u32_e32 v7, v5
	v_min_u32_e32 v7, 32, v7
	v_mov_b32_e32 v2, v33
	v_subrev_u32_e32 v16, 29, v7
	v_bfe_u32 v3, v1, 2, 5
	v_lshlrev_b64 v[1:2], v16, v[1:2]
	v_sub_u32_e32 v2, 30, v7
	v_cmp_eq_u32_e32 vcc, 0, v3
	v_cndmask_b32_e32 v2, v3, v2, vcc
	v_lshlrev_b32_e32 v3, 16, v13
	v_and_b32_e32 v1, 3, v1
	v_and_b32_e32 v3, 0x80000000, v3
	v_cndmask_b32_e32 v1, v5, v1, vcc
	v_lshl_add_u32 v2, v2, 23, v3
	v_lshl_or_b32 v1, v1, 21, v2
	v_add_u32_e32 v3, 0x38000000, v1
                                        ; implicit-def: $vgpr5
.LBB6_23852:                            ;   in Loop: Header=BB6_20708 Depth=3
	s_andn2_saveexec_b64 s[34:35], s[34:35]
; %bb.23853:                            ;   in Loop: Header=BB6_20708 Depth=3
	v_cmp_lt_i16_e32 vcc, -1, v13
	v_mov_b32_e32 v1, 0xff800000
	v_mov_b32_e32 v2, 0x7f800000
	v_cndmask_b32_e32 v1, v1, v2, vcc
	v_cmp_eq_u32_e32 vcc, 0, v5
	v_mov_b32_e32 v2, 0x7f800001
	v_cndmask_b32_e32 v3, v2, v1, vcc
; %bb.23854:                            ;   in Loop: Header=BB6_20708 Depth=3
	s_or_b64 exec, exec, s[34:35]
.LBB6_23855:                            ;   in Loop: Header=BB6_20708 Depth=3
	s_or_b64 exec, exec, s[30:31]
.LBB6_23856:                            ;   in Loop: Header=BB6_20708 Depth=3
	s_or_b64 exec, exec, s[28:29]
	v_add_f32_e32 v3, v20, v3
	v_and_b32_e32 v20, 0x7f800000, v3
	v_mov_b32_e32 v21, v33
	v_cmp_ne_u64_e32 vcc, s[76:77], v[20:21]
	v_and_b32_e32 v1, 0x7fffff, v3
	v_mov_b32_e32 v2, v33
                                        ; implicit-def: $vgpr43
	s_and_saveexec_b64 s[28:29], vcc
	s_xor_b64 s[30:31], exec, s[28:29]
	s_cbranch_execz .LBB6_23870
; %bb.23857:                            ;   in Loop: Header=BB6_20708 Depth=3
	v_and_b32_e32 v20, 0x7fffffff, v3
	v_mov_b32_e32 v21, v33
	v_cmp_gt_u64_e32 vcc, s[78:79], v[20:21]
	v_and_b32_sdwa v5, v3, s97 dst_sel:DWORD dst_unused:UNUSED_PAD src0_sel:BYTE_3 src1_sel:DWORD
                                        ; implicit-def: $vgpr43
	s_and_saveexec_b64 s[28:29], vcc
	s_xor_b64 s[34:35], exec, s[28:29]
	s_cbranch_execz .LBB6_23867
; %bb.23858:                            ;   in Loop: Header=BB6_20708 Depth=3
	v_mov_b32_e32 v43, 0
	v_cmp_ne_u32_e32 vcc, 0, v3
	s_and_saveexec_b64 s[36:37], vcc
	s_cbranch_execz .LBB6_23866
; %bb.23859:                            ;   in Loop: Header=BB6_20708 Depth=3
	v_bfe_u32 v20, v3, 23, 8
	v_cmp_gt_u32_e64 s[28:29], s47, v20
	v_sub_u32_e32 v3, 0x71, v20
	v_cmp_eq_u32_e32 vcc, 0, v20
	v_cndmask_b32_e64 v3, 0, v3, s[28:29]
	v_mov_b32_e32 v16, 0x70
	v_cndmask_b32_e32 v21, v3, v16, vcc
	v_add_u32_e32 v3, 21, v21
	v_or_b32_e32 v7, 0x800000, v1
	v_lshlrev_b64 v[43:44], v3, -1
	v_cndmask_b32_e32 v1, v7, v1, vcc
	v_add_u32_e32 v3, 20, v21
	v_bfi_b32 v43, v43, 0, v1
	v_lshlrev_b64 v[45:46], v3, 1
	v_lshrrev_b64 v[1:2], v21, v[1:2]
	v_bfi_b32 v44, v44, 0, 0
	v_cmp_eq_u64_e64 s[28:29], v[43:44], v[45:46]
	v_mov_b32_e32 v3, v2
	v_mov_b32_e32 v2, v1
	s_and_saveexec_b64 s[38:39], s[28:29]
; %bb.23860:                            ;   in Loop: Header=BB6_20708 Depth=3
	v_bfe_u32 v2, v1, 21, 1
	v_add_co_u32_e64 v2, s[28:29], v1, v2
	v_add_co_u32_e64 v2, s[28:29], -1, v2
; %bb.23861:                            ;   in Loop: Header=BB6_20708 Depth=3
	s_or_b64 exec, exec, s[38:39]
	v_add_u32_e32 v3, 0xffffff81, v20
	v_mov_b32_e32 v7, 0xffffff82
	v_cndmask_b32_e32 v3, v3, v7, vcc
	v_lshrrev_b32_e32 v7, 23, v1
	v_add3_u32 v20, v21, v3, v7
	v_add_u32_e32 v7, 14, v20
	v_and_b32_e32 v2, 0x1fffff, v2
	v_add_u32_e32 v1, v2, v1
	v_mov_b32_e32 v2, v33
	v_cmp_ne_u32_e32 vcc, 0, v7
                                        ; implicit-def: $vgpr3
	s_and_saveexec_b64 s[28:29], vcc
	s_xor_b64 s[28:29], exec, s[28:29]
; %bb.23862:                            ;   in Loop: Header=BB6_20708 Depth=3
	v_cmp_lt_u64_e32 vcc, s[88:89], v[1:2]
	v_add_u32_e32 v3, 15, v20
	v_cndmask_b32_e32 v3, v7, v3, vcc
	v_cndmask_b32_e64 v7, 0, 1, vcc
	v_lshrrev_b64 v[1:2], v7, v[1:2]
; %bb.23863:                            ;   in Loop: Header=BB6_20708 Depth=3
	s_andn2_saveexec_b64 s[28:29], s[28:29]
; %bb.23864:                            ;   in Loop: Header=BB6_20708 Depth=3
	v_bfe_u32 v3, v1, 23, 1
; %bb.23865:                            ;   in Loop: Header=BB6_20708 Depth=3
	s_or_b64 exec, exec, s[28:29]
	v_lshrrev_b64 v[1:2], 21, v[1:2]
	v_cmp_gt_i32_e32 vcc, 32, v3
	v_cndmask_b32_e32 v2, 0, v2, vcc
	v_cndmask_b32_e32 v1, 3, v1, vcc
	v_cmp_eq_u64_e64 s[28:29], 0, v[1:2]
	v_min_i32_e32 v2, 31, v3
	v_lshlrev_b32_e32 v2, 2, v2
	v_cmp_eq_u32_e32 vcc, 0, v3
	v_and_b32_e32 v2, 0xfc, v2
	v_and_or_b32 v1, v1, 3, v2
	s_and_b64 s[28:29], vcc, s[28:29]
	v_cndmask_b32_e64 v1, v1, 0, s[28:29]
	v_or_b32_e32 v43, v1, v5
.LBB6_23866:                            ;   in Loop: Header=BB6_20708 Depth=3
	s_or_b64 exec, exec, s[36:37]
                                        ; implicit-def: $vgpr5
.LBB6_23867:                            ;   in Loop: Header=BB6_20708 Depth=3
	s_andn2_saveexec_b64 s[28:29], s[34:35]
; %bb.23868:                            ;   in Loop: Header=BB6_20708 Depth=3
	v_or_b32_e32 v43, 0x7b, v5
; %bb.23869:                            ;   in Loop: Header=BB6_20708 Depth=3
	s_or_b64 exec, exec, s[28:29]
                                        ; implicit-def: $vgpr3
                                        ; implicit-def: $vgpr1_vgpr2
.LBB6_23870:                            ;   in Loop: Header=BB6_20708 Depth=3
	s_andn2_saveexec_b64 s[28:29], s[30:31]
	s_cbranch_execz .LBB6_23876
; %bb.23871:                            ;   in Loop: Header=BB6_20708 Depth=3
	v_cmp_ne_u64_e32 vcc, 0, v[1:2]
                                        ; implicit-def: $vgpr43
	s_and_saveexec_b64 s[62:63], vcc
	s_xor_b64 vcc, exec, s[62:63]
; %bb.23872:                            ;   in Loop: Header=BB6_20708 Depth=3
	v_or_b32_sdwa v43, v3, s44 dst_sel:DWORD dst_unused:UNUSED_PAD src0_sel:BYTE_3 src1_sel:DWORD
                                        ; implicit-def: $vgpr3
; %bb.23873:                            ;   in Loop: Header=BB6_20708 Depth=3
	s_andn2_saveexec_b64 s[30:31], vcc
; %bb.23874:                            ;   in Loop: Header=BB6_20708 Depth=3
	v_cmp_lt_i32_e32 vcc, -1, v3
	v_bfrev_b32_e32 v1, 0.5
	v_mov_b32_e32 v2, 0x7c
	v_cndmask_b32_e32 v43, v1, v2, vcc
; %bb.23875:                            ;   in Loop: Header=BB6_20708 Depth=3
	s_or_b64 exec, exec, s[30:31]
.LBB6_23876:                            ;   in Loop: Header=BB6_20708 Depth=3
	s_or_b64 exec, exec, s[28:29]
	v_and_b32_sdwa v5, v0, s96 dst_sel:DWORD dst_unused:UNUSED_PAD src0_sel:WORD_1 src1_sel:DWORD
	v_lshrrev_b32_e32 v1, 16, v0
	v_cmp_ne_u16_e32 vcc, 0, v5
	v_mov_b32_e32 v2, 0
	v_mov_b32_e32 v3, 0
	s_and_saveexec_b64 s[28:29], vcc
	s_cbranch_execz .LBB6_23884
; %bb.23877:                            ;   in Loop: Header=BB6_20708 Depth=3
	v_cmp_ne_u16_e32 vcc, s97, v5
	v_bfrev_b32_e32 v3, 1
	s_and_saveexec_b64 s[30:31], vcc
	s_cbranch_execz .LBB6_23883
; %bb.23878:                            ;   in Loop: Header=BB6_20708 Depth=3
	v_and_b32_e32 v3, 0x7c0000, v0
	v_bfe_u32 v5, v0, 16, 2
	v_cmp_ne_u32_e32 vcc, s45, v3
                                        ; implicit-def: $vgpr3
	s_and_saveexec_b64 s[62:63], vcc
	s_xor_b64 s[34:35], exec, s[62:63]
	s_cbranch_execz .LBB6_23880
; %bb.23879:                            ;   in Loop: Header=BB6_20708 Depth=3
	v_ffbh_u32_e32 v7, v5
	v_min_u32_e32 v7, 32, v7
	v_subrev_u32_e32 v16, 29, v7
	v_lshlrev_b64 v[20:21], v16, v[1:2]
	v_bfe_u32 v3, v0, 18, 5
	v_sub_u32_e32 v1, 30, v7
	v_and_b32_e32 v7, 3, v20
	v_cmp_eq_u32_e32 vcc, 0, v3
	v_cndmask_b32_e32 v1, v3, v1, vcc
	v_cndmask_b32_e32 v3, v5, v7, vcc
	v_lshlrev_b32_e32 v5, 8, v0
	v_and_b32_e32 v5, 0x80000000, v5
	v_lshl_add_u32 v1, v1, 23, v5
	v_lshl_or_b32 v1, v3, 21, v1
	v_add_u32_e32 v3, 0x38000000, v1
                                        ; implicit-def: $vgpr5
                                        ; implicit-def: $vgpr1
.LBB6_23880:                            ;   in Loop: Header=BB6_20708 Depth=3
	s_andn2_saveexec_b64 s[34:35], s[34:35]
; %bb.23881:                            ;   in Loop: Header=BB6_20708 Depth=3
	v_mov_b32_e32 v3, -1
	v_cmp_gt_i16_sdwa vcc, sext(v1), v3 src0_sel:BYTE_0 src1_sel:DWORD
	v_mov_b32_e32 v1, 0xff800000
	v_mov_b32_e32 v3, 0x7f800000
	v_cndmask_b32_e32 v1, v1, v3, vcc
	v_cmp_eq_u32_e32 vcc, 0, v5
	v_mov_b32_e32 v3, 0x7f800001
	v_cndmask_b32_e32 v3, v3, v1, vcc
; %bb.23882:                            ;   in Loop: Header=BB6_20708 Depth=3
	s_or_b64 exec, exec, s[34:35]
.LBB6_23883:                            ;   in Loop: Header=BB6_20708 Depth=3
	s_or_b64 exec, exec, s[30:31]
.LBB6_23884:                            ;   in Loop: Header=BB6_20708 Depth=3
	s_or_b64 exec, exec, s[28:29]
	v_lshrrev_b32_e32 v1, 16, v13
	v_cmp_ne_u16_sdwa s[62:63], v1, v33 src0_sel:BYTE_0 src1_sel:DWORD
	s_and_saveexec_b64 s[28:29], s[62:63]
	s_cbranch_execz .LBB6_23892
; %bb.23885:                            ;   in Loop: Header=BB6_20708 Depth=3
	v_cmp_ne_u16_sdwa s[62:63], v1, s97 src0_sel:BYTE_0 src1_sel:DWORD
	v_bfrev_b32_e32 v2, 1
	s_and_saveexec_b64 s[30:31], s[62:63]
	s_cbranch_execz .LBB6_23891
; %bb.23886:                            ;   in Loop: Header=BB6_20708 Depth=3
	v_and_b32_e32 v2, 0x7c0000, v13
	v_bfe_u32 v5, v13, 16, 2
	v_cmp_ne_u32_e32 vcc, s45, v2
                                        ; implicit-def: $vgpr2
	s_and_saveexec_b64 s[62:63], vcc
	s_xor_b64 s[34:35], exec, s[62:63]
	s_cbranch_execz .LBB6_23888
; %bb.23887:                            ;   in Loop: Header=BB6_20708 Depth=3
	v_ffbh_u32_e32 v2, v5
	v_min_u32_e32 v16, 32, v2
	v_subrev_u32_e32 v2, 29, v16
	v_lshlrev_b64 v[1:2], v2, v[1:2]
	v_bfe_u32 v7, v13, 18, 5
	v_and_b32_e32 v1, 3, v1
	v_cmp_eq_u32_e32 vcc, 0, v7
	v_sub_u32_e32 v2, 30, v16
	v_cndmask_b32_e32 v1, v5, v1, vcc
	v_lshlrev_b32_e32 v5, 8, v13
	v_cndmask_b32_e32 v2, v7, v2, vcc
	v_and_b32_e32 v5, 0x80000000, v5
	v_lshl_add_u32 v2, v2, 23, v5
	v_lshl_or_b32 v1, v1, 21, v2
	v_add_u32_e32 v2, 0x38000000, v1
                                        ; implicit-def: $vgpr5
                                        ; implicit-def: $vgpr1
.LBB6_23888:                            ;   in Loop: Header=BB6_20708 Depth=3
	s_andn2_saveexec_b64 s[34:35], s[34:35]
; %bb.23889:                            ;   in Loop: Header=BB6_20708 Depth=3
	v_mov_b32_e32 v2, -1
	v_cmp_gt_i16_sdwa vcc, sext(v1), v2 src0_sel:BYTE_0 src1_sel:DWORD
	v_mov_b32_e32 v1, 0xff800000
	v_mov_b32_e32 v2, 0x7f800000
	v_cndmask_b32_e32 v1, v1, v2, vcc
	v_cmp_eq_u32_e32 vcc, 0, v5
	v_mov_b32_e32 v2, 0x7f800001
	v_cndmask_b32_e32 v2, v2, v1, vcc
; %bb.23890:                            ;   in Loop: Header=BB6_20708 Depth=3
	s_or_b64 exec, exec, s[34:35]
.LBB6_23891:                            ;   in Loop: Header=BB6_20708 Depth=3
	s_or_b64 exec, exec, s[30:31]
.LBB6_23892:                            ;   in Loop: Header=BB6_20708 Depth=3
	s_or_b64 exec, exec, s[28:29]
	v_add_f32_e32 v3, v3, v2
	v_and_b32_e32 v20, 0x7f800000, v3
	v_mov_b32_e32 v21, v33
	v_cmp_ne_u64_e32 vcc, s[76:77], v[20:21]
	v_and_b32_e32 v1, 0x7fffff, v3
	v_mov_b32_e32 v2, v33
                                        ; implicit-def: $vgpr44
	s_and_saveexec_b64 s[28:29], vcc
	s_xor_b64 s[30:31], exec, s[28:29]
	s_cbranch_execz .LBB6_23906
; %bb.23893:                            ;   in Loop: Header=BB6_20708 Depth=3
	v_and_b32_e32 v20, 0x7fffffff, v3
	v_mov_b32_e32 v21, v33
	v_cmp_gt_u64_e32 vcc, s[78:79], v[20:21]
	v_and_b32_sdwa v5, v3, s97 dst_sel:DWORD dst_unused:UNUSED_PAD src0_sel:BYTE_3 src1_sel:DWORD
                                        ; implicit-def: $vgpr44
	s_and_saveexec_b64 s[28:29], vcc
	s_xor_b64 s[34:35], exec, s[28:29]
	s_cbranch_execz .LBB6_23903
; %bb.23894:                            ;   in Loop: Header=BB6_20708 Depth=3
	v_mov_b32_e32 v44, 0
	v_cmp_ne_u32_e32 vcc, 0, v3
	s_and_saveexec_b64 s[36:37], vcc
	s_cbranch_execz .LBB6_23902
; %bb.23895:                            ;   in Loop: Header=BB6_20708 Depth=3
	v_bfe_u32 v20, v3, 23, 8
	v_cmp_gt_u32_e64 s[28:29], s47, v20
	v_sub_u32_e32 v3, 0x71, v20
	v_cmp_eq_u32_e32 vcc, 0, v20
	v_cndmask_b32_e64 v3, 0, v3, s[28:29]
	v_mov_b32_e32 v16, 0x70
	v_cndmask_b32_e32 v21, v3, v16, vcc
	v_add_u32_e32 v3, 21, v21
	v_or_b32_e32 v7, 0x800000, v1
	v_lshlrev_b64 v[44:45], v3, -1
	v_cndmask_b32_e32 v1, v7, v1, vcc
	v_add_u32_e32 v3, 20, v21
	v_bfi_b32 v44, v44, 0, v1
	v_lshlrev_b64 v[46:47], v3, 1
	v_lshrrev_b64 v[1:2], v21, v[1:2]
	v_bfi_b32 v45, v45, 0, 0
	v_cmp_eq_u64_e64 s[28:29], v[44:45], v[46:47]
	v_mov_b32_e32 v3, v2
	v_mov_b32_e32 v2, v1
	s_and_saveexec_b64 s[38:39], s[28:29]
; %bb.23896:                            ;   in Loop: Header=BB6_20708 Depth=3
	v_bfe_u32 v2, v1, 21, 1
	v_add_co_u32_e64 v2, s[28:29], v1, v2
	v_add_co_u32_e64 v2, s[28:29], -1, v2
; %bb.23897:                            ;   in Loop: Header=BB6_20708 Depth=3
	s_or_b64 exec, exec, s[38:39]
	v_add_u32_e32 v3, 0xffffff81, v20
	v_mov_b32_e32 v7, 0xffffff82
	v_cndmask_b32_e32 v3, v3, v7, vcc
	v_lshrrev_b32_e32 v7, 23, v1
	v_add3_u32 v20, v21, v3, v7
	v_add_u32_e32 v7, 14, v20
	v_and_b32_e32 v2, 0x1fffff, v2
	v_add_u32_e32 v1, v2, v1
	v_mov_b32_e32 v2, v33
	v_cmp_ne_u32_e32 vcc, 0, v7
                                        ; implicit-def: $vgpr3
	s_and_saveexec_b64 s[28:29], vcc
	s_xor_b64 s[28:29], exec, s[28:29]
; %bb.23898:                            ;   in Loop: Header=BB6_20708 Depth=3
	v_cmp_lt_u64_e32 vcc, s[88:89], v[1:2]
	v_add_u32_e32 v3, 15, v20
	v_cndmask_b32_e32 v3, v7, v3, vcc
	v_cndmask_b32_e64 v7, 0, 1, vcc
	v_lshrrev_b64 v[1:2], v7, v[1:2]
; %bb.23899:                            ;   in Loop: Header=BB6_20708 Depth=3
	s_andn2_saveexec_b64 s[28:29], s[28:29]
; %bb.23900:                            ;   in Loop: Header=BB6_20708 Depth=3
	v_bfe_u32 v3, v1, 23, 1
; %bb.23901:                            ;   in Loop: Header=BB6_20708 Depth=3
	s_or_b64 exec, exec, s[28:29]
	v_lshrrev_b64 v[1:2], 21, v[1:2]
	v_cmp_gt_i32_e32 vcc, 32, v3
	v_cndmask_b32_e32 v2, 0, v2, vcc
	v_cndmask_b32_e32 v1, 3, v1, vcc
	v_cmp_eq_u64_e64 s[28:29], 0, v[1:2]
	v_min_i32_e32 v2, 31, v3
	v_lshlrev_b32_e32 v2, 2, v2
	v_cmp_eq_u32_e32 vcc, 0, v3
	v_and_b32_e32 v2, 0xfc, v2
	v_and_or_b32 v1, v1, 3, v2
	s_and_b64 s[28:29], vcc, s[28:29]
	v_cndmask_b32_e64 v1, v1, 0, s[28:29]
	v_or_b32_e32 v44, v1, v5
.LBB6_23902:                            ;   in Loop: Header=BB6_20708 Depth=3
	s_or_b64 exec, exec, s[36:37]
                                        ; implicit-def: $vgpr5
.LBB6_23903:                            ;   in Loop: Header=BB6_20708 Depth=3
	s_andn2_saveexec_b64 s[28:29], s[34:35]
; %bb.23904:                            ;   in Loop: Header=BB6_20708 Depth=3
	v_or_b32_e32 v44, 0x7b, v5
; %bb.23905:                            ;   in Loop: Header=BB6_20708 Depth=3
	s_or_b64 exec, exec, s[28:29]
                                        ; implicit-def: $vgpr3
                                        ; implicit-def: $vgpr1_vgpr2
.LBB6_23906:                            ;   in Loop: Header=BB6_20708 Depth=3
	s_andn2_saveexec_b64 s[28:29], s[30:31]
	s_cbranch_execz .LBB6_23912
; %bb.23907:                            ;   in Loop: Header=BB6_20708 Depth=3
	v_cmp_ne_u64_e32 vcc, 0, v[1:2]
                                        ; implicit-def: $vgpr44
	s_and_saveexec_b64 s[62:63], vcc
	s_xor_b64 vcc, exec, s[62:63]
; %bb.23908:                            ;   in Loop: Header=BB6_20708 Depth=3
	v_or_b32_sdwa v44, v3, s44 dst_sel:DWORD dst_unused:UNUSED_PAD src0_sel:BYTE_3 src1_sel:DWORD
                                        ; implicit-def: $vgpr3
; %bb.23909:                            ;   in Loop: Header=BB6_20708 Depth=3
	s_andn2_saveexec_b64 s[30:31], vcc
; %bb.23910:                            ;   in Loop: Header=BB6_20708 Depth=3
	v_cmp_lt_i32_e32 vcc, -1, v3
	v_bfrev_b32_e32 v1, 0.5
	v_mov_b32_e32 v2, 0x7c
	v_cndmask_b32_e32 v44, v1, v2, vcc
; %bb.23911:                            ;   in Loop: Header=BB6_20708 Depth=3
	s_or_b64 exec, exec, s[30:31]
.LBB6_23912:                            ;   in Loop: Header=BB6_20708 Depth=3
	s_or_b64 exec, exec, s[28:29]
	v_cmp_lt_u32_e32 vcc, s57, v0
	v_mov_b32_e32 v2, 0
	v_mov_b32_e32 v3, 0
	s_and_saveexec_b64 s[28:29], vcc
	s_cbranch_execz .LBB6_23920
; %bb.23913:                            ;   in Loop: Header=BB6_20708 Depth=3
	v_lshrrev_b32_e32 v1, 24, v0
	v_cmp_ne_u32_e32 vcc, s97, v1
	v_bfrev_b32_e32 v3, 1
	s_and_saveexec_b64 s[30:31], vcc
	s_cbranch_execz .LBB6_23919
; %bb.23914:                            ;   in Loop: Header=BB6_20708 Depth=3
	v_and_b32_e32 v3, 0x7c000000, v0
	v_bfe_u32 v5, v0, 24, 2
	v_cmp_ne_u32_e32 vcc, s68, v3
                                        ; implicit-def: $vgpr3
	s_and_saveexec_b64 s[62:63], vcc
	s_xor_b64 s[34:35], exec, s[62:63]
	s_cbranch_execz .LBB6_23916
; %bb.23915:                            ;   in Loop: Header=BB6_20708 Depth=3
	v_ffbh_u32_e32 v7, v5
	v_min_u32_e32 v7, 32, v7
	v_subrev_u32_e32 v16, 29, v7
	v_bfe_u32 v3, v0, 26, 5
	v_lshlrev_b64 v[20:21], v16, v[1:2]
	v_sub_u32_e32 v1, 30, v7
	v_cmp_eq_u32_e32 vcc, 0, v3
	v_and_b32_e32 v7, 3, v20
	v_cndmask_b32_e32 v1, v3, v1, vcc
	v_and_b32_e32 v0, 0x80000000, v0
	v_cndmask_b32_e32 v3, v5, v7, vcc
	v_lshl_add_u32 v0, v1, 23, v0
	v_lshl_or_b32 v0, v3, 21, v0
	v_add_u32_e32 v3, 0x38000000, v0
                                        ; implicit-def: $vgpr5
                                        ; implicit-def: $vgpr0_vgpr1
.LBB6_23916:                            ;   in Loop: Header=BB6_20708 Depth=3
	s_andn2_saveexec_b64 s[34:35], s[34:35]
; %bb.23917:                            ;   in Loop: Header=BB6_20708 Depth=3
	v_cmp_lt_i32_e32 vcc, -1, v0
	v_mov_b32_e32 v0, 0xff800000
	v_mov_b32_e32 v1, 0x7f800000
	v_cndmask_b32_e32 v0, v0, v1, vcc
	v_cmp_eq_u32_e32 vcc, 0, v5
	v_mov_b32_e32 v1, 0x7f800001
	v_cndmask_b32_e32 v3, v1, v0, vcc
; %bb.23918:                            ;   in Loop: Header=BB6_20708 Depth=3
	s_or_b64 exec, exec, s[34:35]
.LBB6_23919:                            ;   in Loop: Header=BB6_20708 Depth=3
	s_or_b64 exec, exec, s[30:31]
.LBB6_23920:                            ;   in Loop: Header=BB6_20708 Depth=3
	s_or_b64 exec, exec, s[28:29]
	v_cmp_lt_u64_e32 vcc, s[56:57], v[12:13]
	s_and_saveexec_b64 s[28:29], vcc
	s_cbranch_execz .LBB6_23928
; %bb.23921:                            ;   in Loop: Header=BB6_20708 Depth=3
	v_lshrrev_b32_e32 v0, 24, v13
	v_cmp_ne_u32_e32 vcc, s97, v0
	v_bfrev_b32_e32 v2, 1
	s_and_saveexec_b64 s[30:31], vcc
	s_cbranch_execz .LBB6_23927
; %bb.23922:                            ;   in Loop: Header=BB6_20708 Depth=3
	v_and_b32_e32 v2, 0x7c000000, v13
	v_bfe_u32 v1, v13, 24, 2
	v_cmp_ne_u32_e32 vcc, s68, v2
                                        ; implicit-def: $vgpr2
	s_and_saveexec_b64 s[62:63], vcc
	s_xor_b64 s[34:35], exec, s[62:63]
	s_cbranch_execz .LBB6_23924
; %bb.23923:                            ;   in Loop: Header=BB6_20708 Depth=3
	v_ffbh_u32_e32 v5, v1
	v_min_u32_e32 v5, 32, v5
	v_subrev_u32_e32 v7, 29, v5
	v_bfe_u32 v2, v13, 26, 5
	v_lshlrev_b64 v[20:21], v7, v[0:1]
	v_sub_u32_e32 v0, 30, v5
	v_cmp_eq_u32_e32 vcc, 0, v2
	v_and_b32_e32 v5, 3, v20
	v_cndmask_b32_e32 v0, v2, v0, vcc
	v_and_b32_e32 v2, 0x80000000, v13
	v_cndmask_b32_e32 v1, v1, v5, vcc
	v_lshl_add_u32 v0, v0, 23, v2
	v_lshl_or_b32 v0, v1, 21, v0
	v_add_u32_e32 v2, 0x38000000, v0
                                        ; implicit-def: $vgpr1
.LBB6_23924:                            ;   in Loop: Header=BB6_20708 Depth=3
	s_andn2_saveexec_b64 s[34:35], s[34:35]
; %bb.23925:                            ;   in Loop: Header=BB6_20708 Depth=3
	v_cmp_lt_i64_e32 vcc, -1, v[12:13]
	v_mov_b32_e32 v0, 0xff800000
	v_mov_b32_e32 v2, 0x7f800000
	v_cndmask_b32_e32 v0, v0, v2, vcc
	v_cmp_eq_u32_e32 vcc, 0, v1
	v_mov_b32_e32 v1, 0x7f800001
	v_cndmask_b32_e32 v2, v1, v0, vcc
; %bb.23926:                            ;   in Loop: Header=BB6_20708 Depth=3
	s_or_b64 exec, exec, s[34:35]
.LBB6_23927:                            ;   in Loop: Header=BB6_20708 Depth=3
	s_or_b64 exec, exec, s[30:31]
.LBB6_23928:                            ;   in Loop: Header=BB6_20708 Depth=3
	s_or_b64 exec, exec, s[28:29]
	v_add_f32_e32 v2, v3, v2
	v_and_b32_e32 v12, 0x7f800000, v2
	v_mov_b32_e32 v13, v33
	v_cmp_ne_u64_e32 vcc, s[76:77], v[12:13]
	v_and_b32_e32 v0, 0x7fffff, v2
	v_mov_b32_e32 v1, v33
                                        ; implicit-def: $vgpr12
	s_and_saveexec_b64 s[28:29], vcc
	s_xor_b64 s[30:31], exec, s[28:29]
	s_cbranch_execz .LBB6_23942
; %bb.23929:                            ;   in Loop: Header=BB6_20708 Depth=3
	v_and_b32_e32 v12, 0x7fffffff, v2
	v_mov_b32_e32 v13, v33
	v_cmp_gt_u64_e32 vcc, s[78:79], v[12:13]
	v_and_b32_sdwa v3, v2, s97 dst_sel:DWORD dst_unused:UNUSED_PAD src0_sel:BYTE_3 src1_sel:DWORD
                                        ; implicit-def: $vgpr12
	s_and_saveexec_b64 s[28:29], vcc
	s_xor_b64 s[34:35], exec, s[28:29]
	s_cbranch_execz .LBB6_23939
; %bb.23930:                            ;   in Loop: Header=BB6_20708 Depth=3
	v_mov_b32_e32 v12, 0
	v_cmp_ne_u32_e32 vcc, 0, v2
	s_and_saveexec_b64 s[36:37], vcc
	s_cbranch_execz .LBB6_23938
; %bb.23931:                            ;   in Loop: Header=BB6_20708 Depth=3
	v_bfe_u32 v5, v2, 23, 8
	v_cmp_gt_u32_e64 s[28:29], s47, v5
	v_sub_u32_e32 v2, 0x71, v5
	v_cmp_eq_u32_e32 vcc, 0, v5
	v_cndmask_b32_e64 v2, 0, v2, s[28:29]
	v_mov_b32_e32 v12, 0x70
	v_cndmask_b32_e32 v12, v2, v12, vcc
	v_add_u32_e32 v2, 21, v12
	v_or_b32_e32 v7, 0x800000, v0
	v_lshlrev_b64 v[20:21], v2, -1
	v_cndmask_b32_e32 v0, v7, v0, vcc
	v_add_u32_e32 v2, 20, v12
	v_bfi_b32 v20, v20, 0, v0
	v_lshlrev_b64 v[45:46], v2, 1
	v_lshrrev_b64 v[0:1], v12, v[0:1]
	v_bfi_b32 v21, v21, 0, 0
	v_cmp_eq_u64_e64 s[28:29], v[20:21], v[45:46]
	v_mov_b32_e32 v2, v1
	v_mov_b32_e32 v1, v0
	s_and_saveexec_b64 s[38:39], s[28:29]
; %bb.23932:                            ;   in Loop: Header=BB6_20708 Depth=3
	v_bfe_u32 v1, v0, 21, 1
	v_add_co_u32_e64 v1, s[28:29], v0, v1
	v_add_co_u32_e64 v1, s[28:29], -1, v1
; %bb.23933:                            ;   in Loop: Header=BB6_20708 Depth=3
	s_or_b64 exec, exec, s[38:39]
	v_add_u32_e32 v2, 0xffffff81, v5
	v_mov_b32_e32 v5, 0xffffff82
	v_cndmask_b32_e32 v2, v2, v5, vcc
	v_lshrrev_b32_e32 v5, 23, v0
	v_add3_u32 v7, v12, v2, v5
	v_add_u32_e32 v5, 14, v7
	v_and_b32_e32 v1, 0x1fffff, v1
	v_add_u32_e32 v0, v1, v0
	v_mov_b32_e32 v1, v33
	v_cmp_ne_u32_e32 vcc, 0, v5
                                        ; implicit-def: $vgpr2
	s_and_saveexec_b64 s[28:29], vcc
	s_xor_b64 s[28:29], exec, s[28:29]
; %bb.23934:                            ;   in Loop: Header=BB6_20708 Depth=3
	v_cmp_lt_u64_e32 vcc, s[88:89], v[0:1]
	v_add_u32_e32 v2, 15, v7
	v_cndmask_b32_e32 v2, v5, v2, vcc
	v_cndmask_b32_e64 v5, 0, 1, vcc
	v_lshrrev_b64 v[0:1], v5, v[0:1]
; %bb.23935:                            ;   in Loop: Header=BB6_20708 Depth=3
	s_andn2_saveexec_b64 s[28:29], s[28:29]
; %bb.23936:                            ;   in Loop: Header=BB6_20708 Depth=3
	v_bfe_u32 v2, v0, 23, 1
; %bb.23937:                            ;   in Loop: Header=BB6_20708 Depth=3
	s_or_b64 exec, exec, s[28:29]
	v_lshrrev_b64 v[0:1], 21, v[0:1]
	v_cmp_gt_i32_e32 vcc, 32, v2
	v_cndmask_b32_e32 v1, 0, v1, vcc
	v_cndmask_b32_e32 v0, 3, v0, vcc
	v_cmp_eq_u64_e64 s[28:29], 0, v[0:1]
	v_min_i32_e32 v1, 31, v2
	v_lshlrev_b32_e32 v1, 2, v1
	v_cmp_eq_u32_e32 vcc, 0, v2
	v_and_b32_e32 v1, 0xfc, v1
	v_and_or_b32 v0, v0, 3, v1
	s_and_b64 s[28:29], vcc, s[28:29]
	v_cndmask_b32_e64 v0, v0, 0, s[28:29]
	v_or_b32_e32 v12, v0, v3
.LBB6_23938:                            ;   in Loop: Header=BB6_20708 Depth=3
	s_or_b64 exec, exec, s[36:37]
                                        ; implicit-def: $vgpr3
.LBB6_23939:                            ;   in Loop: Header=BB6_20708 Depth=3
	s_andn2_saveexec_b64 s[28:29], s[34:35]
; %bb.23940:                            ;   in Loop: Header=BB6_20708 Depth=3
	v_or_b32_e32 v12, 0x7b, v3
; %bb.23941:                            ;   in Loop: Header=BB6_20708 Depth=3
	s_or_b64 exec, exec, s[28:29]
                                        ; implicit-def: $vgpr2
                                        ; implicit-def: $vgpr0_vgpr1
.LBB6_23942:                            ;   in Loop: Header=BB6_20708 Depth=3
	s_andn2_saveexec_b64 s[28:29], s[30:31]
	s_cbranch_execz .LBB6_23948
; %bb.23943:                            ;   in Loop: Header=BB6_20708 Depth=3
	v_cmp_ne_u64_e32 vcc, 0, v[0:1]
                                        ; implicit-def: $vgpr12
	s_and_saveexec_b64 s[62:63], vcc
	s_xor_b64 vcc, exec, s[62:63]
; %bb.23944:                            ;   in Loop: Header=BB6_20708 Depth=3
	v_or_b32_sdwa v12, v2, s44 dst_sel:DWORD dst_unused:UNUSED_PAD src0_sel:BYTE_3 src1_sel:DWORD
                                        ; implicit-def: $vgpr2
; %bb.23945:                            ;   in Loop: Header=BB6_20708 Depth=3
	s_andn2_saveexec_b64 s[30:31], vcc
; %bb.23946:                            ;   in Loop: Header=BB6_20708 Depth=3
	v_cmp_lt_i32_e32 vcc, -1, v2
	v_bfrev_b32_e32 v0, 0.5
	v_mov_b32_e32 v1, 0x7c
	v_cndmask_b32_e32 v12, v0, v1, vcc
; %bb.23947:                            ;   in Loop: Header=BB6_20708 Depth=3
	s_or_b64 exec, exec, s[30:31]
.LBB6_23948:                            ;   in Loop: Header=BB6_20708 Depth=3
	s_or_b64 exec, exec, s[28:29]
	buffer_load_dword v0, off, s[0:3], s33 offset:228 ; 4-byte Folded Reload
	buffer_load_dword v1, off, s[0:3], s33 offset:268 ; 4-byte Folded Reload
	v_cmp_ne_u32_e32 vcc, 0, v53
	v_mov_b32_e32 v2, 0
	v_mov_b32_e32 v3, 0
	s_waitcnt vmcnt(1)
	v_lshl_or_b32 v5, v0, 8, v53
	buffer_load_dword v0, off, s[0:3], s33 offset:244 ; 4-byte Folded Reload
	s_waitcnt vmcnt(1)
	v_lshlrev_b32_e32 v1, 24, v1
	s_waitcnt vmcnt(0)
	v_lshlrev_b32_e32 v0, 16, v0
	v_or3_b32 v0, v0, v1, v5
	v_mov_b32_e32 v1, v33
	s_and_saveexec_b64 s[30:31], vcc
	s_cbranch_execz .LBB6_23956
; %bb.23949:                            ;   in Loop: Header=BB6_20708 Depth=3
	v_cmp_ne_u32_e32 vcc, s97, v53
	v_bfrev_b32_e32 v3, 1
	s_and_saveexec_b64 s[34:35], vcc
	s_cbranch_execz .LBB6_23955
; %bb.23950:                            ;   in Loop: Header=BB6_20708 Depth=3
	v_and_b32_e32 v3, 0x7c, v53
	v_and_b32_e32 v7, 3, v53
	v_cmp_ne_u32_e32 vcc, s86, v3
                                        ; implicit-def: $vgpr3
	s_and_saveexec_b64 s[28:29], vcc
	s_xor_b64 s[28:29], exec, s[28:29]
	s_cbranch_execz .LBB6_23952
; %bb.23951:                            ;   in Loop: Header=BB6_20708 Depth=3
	v_ffbh_u32_e32 v13, v7
	v_min_u32_e32 v13, 32, v13
	v_subrev_u32_e32 v16, 29, v13
	v_lshlrev_b64 v[20:21], v16, v[0:1]
	v_bfe_u32 v3, v53, 2, 5
	v_sub_u32_e32 v1, 30, v13
	v_and_b32_e32 v13, 3, v20
	v_cmp_eq_u32_e32 vcc, 0, v3
	v_cndmask_b32_e32 v1, v3, v1, vcc
	v_cndmask_b32_e32 v3, v7, v13, vcc
	v_lshlrev_b32_e32 v7, 24, v53
	v_and_b32_e32 v7, 0x80000000, v7
	v_lshl_add_u32 v1, v1, 23, v7
	v_lshl_or_b32 v1, v3, 21, v1
	v_add_u32_e32 v3, 0x38000000, v1
                                        ; implicit-def: $vgpr7
                                        ; implicit-def: $vgpr53
.LBB6_23952:                            ;   in Loop: Header=BB6_20708 Depth=3
	s_andn2_saveexec_b64 s[36:37], s[28:29]
; %bb.23953:                            ;   in Loop: Header=BB6_20708 Depth=3
	v_and_b32_e32 v1, 0x80, v53
	v_cmp_eq_u32_e64 s[28:29], 0, v1
	v_mov_b32_e32 v1, 0xff800000
	v_mov_b32_e32 v3, 0x7f800000
	v_cmp_eq_u32_e32 vcc, 0, v7
	v_cndmask_b32_e64 v1, v1, v3, s[28:29]
	v_mov_b32_e32 v3, 0x7f800001
	v_cndmask_b32_e32 v3, v3, v1, vcc
; %bb.23954:                            ;   in Loop: Header=BB6_20708 Depth=3
	s_or_b64 exec, exec, s[36:37]
.LBB6_23955:                            ;   in Loop: Header=BB6_20708 Depth=3
	s_or_b64 exec, exec, s[34:35]
.LBB6_23956:                            ;   in Loop: Header=BB6_20708 Depth=3
	s_or_b64 exec, exec, s[30:31]
	v_cmp_ne_u16_sdwa s[62:63], v14, v33 src0_sel:BYTE_0 src1_sel:DWORD
	s_and_saveexec_b64 s[28:29], s[62:63]
	s_cbranch_execz .LBB6_23964
; %bb.23957:                            ;   in Loop: Header=BB6_20708 Depth=3
	v_cmp_ne_u16_sdwa s[62:63], sext(v14), s46 src0_sel:BYTE_0 src1_sel:DWORD
	v_bfrev_b32_e32 v2, 1
	s_and_saveexec_b64 s[30:31], s[62:63]
	s_cbranch_execz .LBB6_23963
; %bb.23958:                            ;   in Loop: Header=BB6_20708 Depth=3
	v_and_b32_e32 v2, 0x7c, v14
	v_and_b32_e32 v1, 3, v14
	v_cmp_ne_u32_e32 vcc, s86, v2
                                        ; implicit-def: $vgpr2
	s_and_saveexec_b64 s[62:63], vcc
	s_xor_b64 s[34:35], exec, s[62:63]
	s_cbranch_execz .LBB6_23960
; %bb.23959:                            ;   in Loop: Header=BB6_20708 Depth=3
	v_ffbh_u32_e32 v7, v1
	v_min_u32_e32 v7, 32, v7
	v_bfe_u32 v2, v14, 2, 5
	v_subrev_u32_e32 v13, 29, v7
	v_lshlrev_b64 v[20:21], v13, v[14:15]
	v_sub_u32_e32 v7, 30, v7
	v_cmp_eq_u32_e32 vcc, 0, v2
	v_cndmask_b32_e32 v2, v2, v7, vcc
	v_lshlrev_b32_e32 v7, 24, v14
	v_and_b32_e32 v13, 3, v20
	v_and_b32_e32 v7, 0x80000000, v7
	v_cndmask_b32_e32 v1, v1, v13, vcc
	v_lshl_add_u32 v2, v2, 23, v7
	v_lshl_or_b32 v1, v1, 21, v2
	v_add_u32_e32 v2, 0x38000000, v1
                                        ; implicit-def: $vgpr1
.LBB6_23960:                            ;   in Loop: Header=BB6_20708 Depth=3
	s_andn2_saveexec_b64 s[34:35], s[34:35]
; %bb.23961:                            ;   in Loop: Header=BB6_20708 Depth=3
	v_mov_b32_e32 v2, -1
	v_cmp_gt_i16_sdwa vcc, sext(v14), v2 src0_sel:BYTE_0 src1_sel:DWORD
	v_mov_b32_e32 v2, 0xff800000
	v_mov_b32_e32 v7, 0x7f800000
	v_cndmask_b32_e32 v2, v2, v7, vcc
	v_cmp_eq_u32_e32 vcc, 0, v1
	v_mov_b32_e32 v1, 0x7f800001
	v_cndmask_b32_e32 v2, v1, v2, vcc
; %bb.23962:                            ;   in Loop: Header=BB6_20708 Depth=3
	s_or_b64 exec, exec, s[34:35]
.LBB6_23963:                            ;   in Loop: Header=BB6_20708 Depth=3
	s_or_b64 exec, exec, s[30:31]
.LBB6_23964:                            ;   in Loop: Header=BB6_20708 Depth=3
	s_or_b64 exec, exec, s[28:29]
	v_add_f32_e32 v3, v3, v2
	v_and_b32_e32 v20, 0x7f800000, v3
	v_mov_b32_e32 v21, v33
	v_cmp_ne_u64_e32 vcc, s[76:77], v[20:21]
	v_and_b32_e32 v1, 0x7fffff, v3
	v_mov_b32_e32 v2, v33
                                        ; implicit-def: $vgpr13
	s_and_saveexec_b64 s[28:29], vcc
	s_xor_b64 s[30:31], exec, s[28:29]
	s_cbranch_execz .LBB6_23978
; %bb.23965:                            ;   in Loop: Header=BB6_20708 Depth=3
	v_and_b32_e32 v20, 0x7fffffff, v3
	v_mov_b32_e32 v21, v33
	v_cmp_gt_u64_e32 vcc, s[78:79], v[20:21]
	v_and_b32_sdwa v20, v3, s97 dst_sel:DWORD dst_unused:UNUSED_PAD src0_sel:BYTE_3 src1_sel:DWORD
                                        ; implicit-def: $vgpr13
	s_and_saveexec_b64 s[28:29], vcc
	s_xor_b64 s[34:35], exec, s[28:29]
	s_cbranch_execz .LBB6_23975
; %bb.23966:                            ;   in Loop: Header=BB6_20708 Depth=3
	v_mov_b32_e32 v13, 0
	v_cmp_ne_u32_e32 vcc, 0, v3
	s_and_saveexec_b64 s[36:37], vcc
	s_cbranch_execz .LBB6_23974
; %bb.23967:                            ;   in Loop: Header=BB6_20708 Depth=3
	v_bfe_u32 v13, v3, 23, 8
	v_cmp_gt_u32_e64 s[28:29], s47, v13
	v_sub_u32_e32 v3, 0x71, v13
	v_cmp_eq_u32_e32 vcc, 0, v13
	v_cndmask_b32_e64 v3, 0, v3, s[28:29]
	v_mov_b32_e32 v16, 0x70
	v_cndmask_b32_e32 v21, v3, v16, vcc
	v_add_u32_e32 v3, 21, v21
	v_or_b32_e32 v7, 0x800000, v1
	v_lshlrev_b64 v[45:46], v3, -1
	v_cndmask_b32_e32 v1, v7, v1, vcc
	v_add_u32_e32 v3, 20, v21
	v_mov_b32_e32 v22, v56
	v_mov_b32_e32 v17, v57
	v_bfi_b32 v45, v45, 0, v1
	v_lshlrev_b64 v[56:57], v3, 1
	v_lshrrev_b64 v[1:2], v21, v[1:2]
	v_bfi_b32 v46, v46, 0, 0
	v_cmp_eq_u64_e64 s[28:29], v[45:46], v[56:57]
	v_mov_b32_e32 v3, v2
	v_mov_b32_e32 v2, v1
	s_and_saveexec_b64 s[38:39], s[28:29]
; %bb.23968:                            ;   in Loop: Header=BB6_20708 Depth=3
	v_bfe_u32 v2, v1, 21, 1
	v_add_co_u32_e64 v2, s[28:29], v1, v2
	v_add_co_u32_e64 v2, s[28:29], -1, v2
; %bb.23969:                            ;   in Loop: Header=BB6_20708 Depth=3
	s_or_b64 exec, exec, s[38:39]
	v_add_u32_e32 v3, 0xffffff81, v13
	v_mov_b32_e32 v7, 0xffffff82
	v_cndmask_b32_e32 v3, v3, v7, vcc
	v_lshrrev_b32_e32 v7, 23, v1
	v_add3_u32 v13, v21, v3, v7
	v_add_u32_e32 v7, 14, v13
	v_and_b32_e32 v2, 0x1fffff, v2
	v_add_u32_e32 v1, v2, v1
	v_mov_b32_e32 v2, v33
	v_cmp_ne_u32_e32 vcc, 0, v7
                                        ; implicit-def: $vgpr3
	s_and_saveexec_b64 s[28:29], vcc
	s_xor_b64 s[28:29], exec, s[28:29]
; %bb.23970:                            ;   in Loop: Header=BB6_20708 Depth=3
	v_cmp_lt_u64_e32 vcc, s[88:89], v[1:2]
	v_add_u32_e32 v3, 15, v13
	v_cndmask_b32_e32 v3, v7, v3, vcc
	v_cndmask_b32_e64 v7, 0, 1, vcc
	v_lshrrev_b64 v[1:2], v7, v[1:2]
; %bb.23971:                            ;   in Loop: Header=BB6_20708 Depth=3
	s_or_saveexec_b64 s[28:29], s[28:29]
	v_mov_b32_e32 v57, v17
	v_mov_b32_e32 v56, v22
	s_xor_b64 exec, exec, s[28:29]
; %bb.23972:                            ;   in Loop: Header=BB6_20708 Depth=3
	v_bfe_u32 v3, v1, 23, 1
; %bb.23973:                            ;   in Loop: Header=BB6_20708 Depth=3
	s_or_b64 exec, exec, s[28:29]
	v_lshrrev_b64 v[1:2], 21, v[1:2]
	v_cmp_gt_i32_e32 vcc, 32, v3
	v_cndmask_b32_e32 v2, 0, v2, vcc
	v_cndmask_b32_e32 v1, 3, v1, vcc
	v_cmp_eq_u64_e64 s[28:29], 0, v[1:2]
	v_min_i32_e32 v2, 31, v3
	v_lshlrev_b32_e32 v2, 2, v2
	v_cmp_eq_u32_e32 vcc, 0, v3
	v_and_b32_e32 v2, 0xfc, v2
	v_and_or_b32 v1, v1, 3, v2
	s_and_b64 s[28:29], vcc, s[28:29]
	v_cndmask_b32_e64 v1, v1, 0, s[28:29]
	v_or_b32_e32 v13, v1, v20
.LBB6_23974:                            ;   in Loop: Header=BB6_20708 Depth=3
	s_or_b64 exec, exec, s[36:37]
                                        ; implicit-def: $vgpr20
.LBB6_23975:                            ;   in Loop: Header=BB6_20708 Depth=3
	s_andn2_saveexec_b64 s[28:29], s[34:35]
; %bb.23976:                            ;   in Loop: Header=BB6_20708 Depth=3
	v_or_b32_e32 v13, 0x7b, v20
; %bb.23977:                            ;   in Loop: Header=BB6_20708 Depth=3
	s_or_b64 exec, exec, s[28:29]
                                        ; implicit-def: $vgpr3
                                        ; implicit-def: $vgpr1_vgpr2
.LBB6_23978:                            ;   in Loop: Header=BB6_20708 Depth=3
	s_andn2_saveexec_b64 s[28:29], s[30:31]
	s_cbranch_execz .LBB6_23984
; %bb.23979:                            ;   in Loop: Header=BB6_20708 Depth=3
	v_cmp_ne_u64_e32 vcc, 0, v[1:2]
                                        ; implicit-def: $vgpr13
	s_and_saveexec_b64 s[62:63], vcc
	s_xor_b64 vcc, exec, s[62:63]
; %bb.23980:                            ;   in Loop: Header=BB6_20708 Depth=3
	v_or_b32_sdwa v13, v3, s44 dst_sel:DWORD dst_unused:UNUSED_PAD src0_sel:BYTE_3 src1_sel:DWORD
                                        ; implicit-def: $vgpr3
; %bb.23981:                            ;   in Loop: Header=BB6_20708 Depth=3
	s_andn2_saveexec_b64 s[30:31], vcc
; %bb.23982:                            ;   in Loop: Header=BB6_20708 Depth=3
	v_cmp_lt_i32_e32 vcc, -1, v3
	v_bfrev_b32_e32 v1, 0.5
	v_mov_b32_e32 v2, 0x7c
	v_cndmask_b32_e32 v13, v1, v2, vcc
; %bb.23983:                            ;   in Loop: Header=BB6_20708 Depth=3
	s_or_b64 exec, exec, s[30:31]
.LBB6_23984:                            ;   in Loop: Header=BB6_20708 Depth=3
	s_or_b64 exec, exec, s[28:29]
	v_lshrrev_b16_e32 v1, 8, v5
	v_cmp_ne_u16_e32 vcc, 0, v1
	v_mov_b32_e32 v3, 0
	v_mov_b32_e32 v20, 0
	s_and_saveexec_b64 s[28:29], vcc
	s_cbranch_execz .LBB6_23992
; %bb.23985:                            ;   in Loop: Header=BB6_20708 Depth=3
	v_cmp_ne_u16_e32 vcc, s97, v1
	v_bfrev_b32_e32 v20, 1
	s_and_saveexec_b64 s[30:31], vcc
	s_cbranch_execz .LBB6_23991
; %bb.23986:                            ;   in Loop: Header=BB6_20708 Depth=3
	v_and_b32_e32 v2, 0x7c, v1
	v_and_b32_e32 v7, 3, v1
	v_cmp_ne_u32_e32 vcc, s86, v2
                                        ; implicit-def: $vgpr20
	s_and_saveexec_b64 s[62:63], vcc
	s_xor_b64 s[34:35], exec, s[62:63]
	s_cbranch_execz .LBB6_23988
; %bb.23987:                            ;   in Loop: Header=BB6_20708 Depth=3
	v_ffbh_u32_e32 v17, v7
	v_min_u32_e32 v17, 32, v17
	v_mov_b32_e32 v2, v33
	v_subrev_u32_e32 v20, 29, v17
	v_bfe_u32 v16, v1, 2, 5
	v_lshlrev_b64 v[1:2], v20, v[1:2]
	v_sub_u32_e32 v2, 30, v17
	v_cmp_eq_u32_e32 vcc, 0, v16
	v_lshlrev_b32_e32 v5, 16, v5
	v_and_b32_e32 v1, 3, v1
	v_cndmask_b32_e32 v2, v16, v2, vcc
	v_and_b32_e32 v5, 0x80000000, v5
	v_cndmask_b32_e32 v1, v7, v1, vcc
	v_lshl_add_u32 v2, v2, 23, v5
	v_lshl_or_b32 v1, v1, 21, v2
	v_add_u32_e32 v20, 0x38000000, v1
                                        ; implicit-def: $vgpr7
                                        ; implicit-def: $vgpr5
.LBB6_23988:                            ;   in Loop: Header=BB6_20708 Depth=3
	s_andn2_saveexec_b64 s[34:35], s[34:35]
; %bb.23989:                            ;   in Loop: Header=BB6_20708 Depth=3
	v_cmp_lt_i16_e32 vcc, -1, v5
	v_mov_b32_e32 v1, 0xff800000
	v_mov_b32_e32 v2, 0x7f800000
	v_cndmask_b32_e32 v1, v1, v2, vcc
	v_cmp_eq_u32_e32 vcc, 0, v7
	v_mov_b32_e32 v2, 0x7f800001
	v_cndmask_b32_e32 v20, v2, v1, vcc
; %bb.23990:                            ;   in Loop: Header=BB6_20708 Depth=3
	s_or_b64 exec, exec, s[34:35]
.LBB6_23991:                            ;   in Loop: Header=BB6_20708 Depth=3
	s_or_b64 exec, exec, s[30:31]
.LBB6_23992:                            ;   in Loop: Header=BB6_20708 Depth=3
	s_or_b64 exec, exec, s[28:29]
	v_lshrrev_b16_e32 v1, 8, v14
	v_cmp_ne_u16_e32 vcc, 0, v1
	s_and_saveexec_b64 s[28:29], vcc
	s_cbranch_execz .LBB6_24000
; %bb.23993:                            ;   in Loop: Header=BB6_20708 Depth=3
	v_cmp_ne_u16_e32 vcc, s97, v1
	v_bfrev_b32_e32 v3, 1
	s_and_saveexec_b64 s[30:31], vcc
	s_cbranch_execz .LBB6_23999
; %bb.23994:                            ;   in Loop: Header=BB6_20708 Depth=3
	v_and_b32_e32 v2, 0x7c, v1
	v_and_b32_e32 v5, 3, v1
	v_cmp_ne_u32_e32 vcc, s86, v2
                                        ; implicit-def: $vgpr3
	s_and_saveexec_b64 s[62:63], vcc
	s_xor_b64 s[34:35], exec, s[62:63]
	s_cbranch_execz .LBB6_23996
; %bb.23995:                            ;   in Loop: Header=BB6_20708 Depth=3
	v_ffbh_u32_e32 v7, v5
	v_min_u32_e32 v7, 32, v7
	v_mov_b32_e32 v2, v33
	v_subrev_u32_e32 v16, 29, v7
	v_bfe_u32 v3, v1, 2, 5
	v_lshlrev_b64 v[1:2], v16, v[1:2]
	v_sub_u32_e32 v2, 30, v7
	v_cmp_eq_u32_e32 vcc, 0, v3
	v_cndmask_b32_e32 v2, v3, v2, vcc
	v_lshlrev_b32_e32 v3, 16, v14
	v_and_b32_e32 v1, 3, v1
	v_and_b32_e32 v3, 0x80000000, v3
	v_cndmask_b32_e32 v1, v5, v1, vcc
	v_lshl_add_u32 v2, v2, 23, v3
	v_lshl_or_b32 v1, v1, 21, v2
	v_add_u32_e32 v3, 0x38000000, v1
                                        ; implicit-def: $vgpr5
.LBB6_23996:                            ;   in Loop: Header=BB6_20708 Depth=3
	s_andn2_saveexec_b64 s[34:35], s[34:35]
; %bb.23997:                            ;   in Loop: Header=BB6_20708 Depth=3
	v_cmp_lt_i16_e32 vcc, -1, v14
	v_mov_b32_e32 v1, 0xff800000
	v_mov_b32_e32 v2, 0x7f800000
	v_cndmask_b32_e32 v1, v1, v2, vcc
	v_cmp_eq_u32_e32 vcc, 0, v5
	v_mov_b32_e32 v2, 0x7f800001
	v_cndmask_b32_e32 v3, v2, v1, vcc
; %bb.23998:                            ;   in Loop: Header=BB6_20708 Depth=3
	s_or_b64 exec, exec, s[34:35]
.LBB6_23999:                            ;   in Loop: Header=BB6_20708 Depth=3
	s_or_b64 exec, exec, s[30:31]
.LBB6_24000:                            ;   in Loop: Header=BB6_20708 Depth=3
	s_or_b64 exec, exec, s[28:29]
	v_add_f32_e32 v3, v20, v3
	v_and_b32_e32 v20, 0x7f800000, v3
	v_mov_b32_e32 v21, v33
	v_cmp_ne_u64_e32 vcc, s[76:77], v[20:21]
	v_and_b32_e32 v1, 0x7fffff, v3
	v_mov_b32_e32 v2, v33
                                        ; implicit-def: $vgpr53
	s_and_saveexec_b64 s[28:29], vcc
	s_xor_b64 s[30:31], exec, s[28:29]
	s_cbranch_execz .LBB6_24014
; %bb.24001:                            ;   in Loop: Header=BB6_20708 Depth=3
	v_and_b32_e32 v20, 0x7fffffff, v3
	v_mov_b32_e32 v21, v33
	v_cmp_gt_u64_e32 vcc, s[78:79], v[20:21]
	v_and_b32_sdwa v5, v3, s97 dst_sel:DWORD dst_unused:UNUSED_PAD src0_sel:BYTE_3 src1_sel:DWORD
                                        ; implicit-def: $vgpr53
	s_and_saveexec_b64 s[28:29], vcc
	s_xor_b64 s[34:35], exec, s[28:29]
	s_cbranch_execz .LBB6_24011
; %bb.24002:                            ;   in Loop: Header=BB6_20708 Depth=3
	v_mov_b32_e32 v53, 0
	v_cmp_ne_u32_e32 vcc, 0, v3
	s_and_saveexec_b64 s[36:37], vcc
	s_cbranch_execz .LBB6_24010
; %bb.24003:                            ;   in Loop: Header=BB6_20708 Depth=3
	v_bfe_u32 v20, v3, 23, 8
	v_cmp_gt_u32_e64 s[28:29], s47, v20
	v_sub_u32_e32 v3, 0x71, v20
	v_cmp_eq_u32_e32 vcc, 0, v20
	v_cndmask_b32_e64 v3, 0, v3, s[28:29]
	v_mov_b32_e32 v16, 0x70
	v_cndmask_b32_e32 v21, v3, v16, vcc
	v_add_u32_e32 v3, 21, v21
	v_or_b32_e32 v7, 0x800000, v1
	v_lshlrev_b64 v[45:46], v3, -1
	v_cndmask_b32_e32 v1, v7, v1, vcc
	v_add_u32_e32 v3, 20, v21
	v_mov_b32_e32 v22, v56
	v_mov_b32_e32 v17, v57
	v_bfi_b32 v45, v45, 0, v1
	v_lshlrev_b64 v[56:57], v3, 1
	v_lshrrev_b64 v[1:2], v21, v[1:2]
	v_bfi_b32 v46, v46, 0, 0
	v_cmp_eq_u64_e64 s[28:29], v[45:46], v[56:57]
	v_mov_b32_e32 v3, v2
	v_mov_b32_e32 v2, v1
	s_and_saveexec_b64 s[38:39], s[28:29]
; %bb.24004:                            ;   in Loop: Header=BB6_20708 Depth=3
	v_bfe_u32 v2, v1, 21, 1
	v_add_co_u32_e64 v2, s[28:29], v1, v2
	v_add_co_u32_e64 v2, s[28:29], -1, v2
; %bb.24005:                            ;   in Loop: Header=BB6_20708 Depth=3
	s_or_b64 exec, exec, s[38:39]
	v_add_u32_e32 v3, 0xffffff81, v20
	v_mov_b32_e32 v7, 0xffffff82
	v_cndmask_b32_e32 v3, v3, v7, vcc
	v_lshrrev_b32_e32 v7, 23, v1
	v_add3_u32 v20, v21, v3, v7
	v_add_u32_e32 v7, 14, v20
	v_and_b32_e32 v2, 0x1fffff, v2
	v_add_u32_e32 v1, v2, v1
	v_mov_b32_e32 v2, v33
	v_cmp_ne_u32_e32 vcc, 0, v7
                                        ; implicit-def: $vgpr3
	s_and_saveexec_b64 s[28:29], vcc
	s_xor_b64 s[28:29], exec, s[28:29]
; %bb.24006:                            ;   in Loop: Header=BB6_20708 Depth=3
	v_cmp_lt_u64_e32 vcc, s[88:89], v[1:2]
	v_add_u32_e32 v3, 15, v20
	v_cndmask_b32_e32 v3, v7, v3, vcc
	v_cndmask_b32_e64 v7, 0, 1, vcc
	v_lshrrev_b64 v[1:2], v7, v[1:2]
; %bb.24007:                            ;   in Loop: Header=BB6_20708 Depth=3
	s_or_saveexec_b64 s[28:29], s[28:29]
	v_mov_b32_e32 v57, v17
	v_mov_b32_e32 v56, v22
	s_xor_b64 exec, exec, s[28:29]
; %bb.24008:                            ;   in Loop: Header=BB6_20708 Depth=3
	v_bfe_u32 v3, v1, 23, 1
; %bb.24009:                            ;   in Loop: Header=BB6_20708 Depth=3
	s_or_b64 exec, exec, s[28:29]
	v_lshrrev_b64 v[1:2], 21, v[1:2]
	v_cmp_gt_i32_e32 vcc, 32, v3
	v_cndmask_b32_e32 v2, 0, v2, vcc
	v_cndmask_b32_e32 v1, 3, v1, vcc
	v_cmp_eq_u64_e64 s[28:29], 0, v[1:2]
	v_min_i32_e32 v2, 31, v3
	v_lshlrev_b32_e32 v2, 2, v2
	v_cmp_eq_u32_e32 vcc, 0, v3
	v_and_b32_e32 v2, 0xfc, v2
	v_and_or_b32 v1, v1, 3, v2
	s_and_b64 s[28:29], vcc, s[28:29]
	v_cndmask_b32_e64 v1, v1, 0, s[28:29]
	v_or_b32_e32 v53, v1, v5
.LBB6_24010:                            ;   in Loop: Header=BB6_20708 Depth=3
	s_or_b64 exec, exec, s[36:37]
                                        ; implicit-def: $vgpr5
.LBB6_24011:                            ;   in Loop: Header=BB6_20708 Depth=3
	s_andn2_saveexec_b64 s[28:29], s[34:35]
; %bb.24012:                            ;   in Loop: Header=BB6_20708 Depth=3
	v_or_b32_e32 v53, 0x7b, v5
; %bb.24013:                            ;   in Loop: Header=BB6_20708 Depth=3
	s_or_b64 exec, exec, s[28:29]
                                        ; implicit-def: $vgpr3
                                        ; implicit-def: $vgpr1_vgpr2
.LBB6_24014:                            ;   in Loop: Header=BB6_20708 Depth=3
	s_andn2_saveexec_b64 s[28:29], s[30:31]
	s_cbranch_execz .LBB6_24020
; %bb.24015:                            ;   in Loop: Header=BB6_20708 Depth=3
	v_cmp_ne_u64_e32 vcc, 0, v[1:2]
                                        ; implicit-def: $vgpr53
	s_and_saveexec_b64 s[62:63], vcc
	s_xor_b64 vcc, exec, s[62:63]
; %bb.24016:                            ;   in Loop: Header=BB6_20708 Depth=3
	v_or_b32_sdwa v53, v3, s44 dst_sel:DWORD dst_unused:UNUSED_PAD src0_sel:BYTE_3 src1_sel:DWORD
                                        ; implicit-def: $vgpr3
; %bb.24017:                            ;   in Loop: Header=BB6_20708 Depth=3
	s_andn2_saveexec_b64 s[30:31], vcc
; %bb.24018:                            ;   in Loop: Header=BB6_20708 Depth=3
	v_cmp_lt_i32_e32 vcc, -1, v3
	v_bfrev_b32_e32 v1, 0.5
	v_mov_b32_e32 v2, 0x7c
	v_cndmask_b32_e32 v53, v1, v2, vcc
; %bb.24019:                            ;   in Loop: Header=BB6_20708 Depth=3
	s_or_b64 exec, exec, s[30:31]
.LBB6_24020:                            ;   in Loop: Header=BB6_20708 Depth=3
	s_or_b64 exec, exec, s[28:29]
	v_and_b32_sdwa v5, v0, s96 dst_sel:DWORD dst_unused:UNUSED_PAD src0_sel:WORD_1 src1_sel:DWORD
	v_lshrrev_b32_e32 v1, 16, v0
	v_cmp_ne_u16_e32 vcc, 0, v5
	v_mov_b32_e32 v2, 0
	v_mov_b32_e32 v3, 0
	s_and_saveexec_b64 s[28:29], vcc
	s_cbranch_execz .LBB6_24028
; %bb.24021:                            ;   in Loop: Header=BB6_20708 Depth=3
	v_cmp_ne_u16_e32 vcc, s97, v5
	v_bfrev_b32_e32 v3, 1
	s_and_saveexec_b64 s[30:31], vcc
	s_cbranch_execz .LBB6_24027
; %bb.24022:                            ;   in Loop: Header=BB6_20708 Depth=3
	v_and_b32_e32 v3, 0x7c0000, v0
	v_bfe_u32 v5, v0, 16, 2
	v_cmp_ne_u32_e32 vcc, s45, v3
                                        ; implicit-def: $vgpr3
	s_and_saveexec_b64 s[62:63], vcc
	s_xor_b64 s[34:35], exec, s[62:63]
	s_cbranch_execz .LBB6_24024
; %bb.24023:                            ;   in Loop: Header=BB6_20708 Depth=3
	v_ffbh_u32_e32 v7, v5
	v_min_u32_e32 v7, 32, v7
	v_subrev_u32_e32 v16, 29, v7
	v_lshlrev_b64 v[20:21], v16, v[1:2]
	v_bfe_u32 v3, v0, 18, 5
	v_sub_u32_e32 v1, 30, v7
	v_and_b32_e32 v7, 3, v20
	v_cmp_eq_u32_e32 vcc, 0, v3
	v_cndmask_b32_e32 v1, v3, v1, vcc
	v_cndmask_b32_e32 v3, v5, v7, vcc
	v_lshlrev_b32_e32 v5, 8, v0
	v_and_b32_e32 v5, 0x80000000, v5
	v_lshl_add_u32 v1, v1, 23, v5
	v_lshl_or_b32 v1, v3, 21, v1
	v_add_u32_e32 v3, 0x38000000, v1
                                        ; implicit-def: $vgpr5
                                        ; implicit-def: $vgpr1
.LBB6_24024:                            ;   in Loop: Header=BB6_20708 Depth=3
	s_andn2_saveexec_b64 s[34:35], s[34:35]
; %bb.24025:                            ;   in Loop: Header=BB6_20708 Depth=3
	v_mov_b32_e32 v3, -1
	v_cmp_gt_i16_sdwa vcc, sext(v1), v3 src0_sel:BYTE_0 src1_sel:DWORD
	v_mov_b32_e32 v1, 0xff800000
	v_mov_b32_e32 v3, 0x7f800000
	v_cndmask_b32_e32 v1, v1, v3, vcc
	v_cmp_eq_u32_e32 vcc, 0, v5
	v_mov_b32_e32 v3, 0x7f800001
	v_cndmask_b32_e32 v3, v3, v1, vcc
; %bb.24026:                            ;   in Loop: Header=BB6_20708 Depth=3
	s_or_b64 exec, exec, s[34:35]
.LBB6_24027:                            ;   in Loop: Header=BB6_20708 Depth=3
	s_or_b64 exec, exec, s[30:31]
.LBB6_24028:                            ;   in Loop: Header=BB6_20708 Depth=3
	s_or_b64 exec, exec, s[28:29]
	v_lshrrev_b32_e32 v1, 16, v14
	v_cmp_ne_u16_sdwa s[62:63], v1, v33 src0_sel:BYTE_0 src1_sel:DWORD
	s_and_saveexec_b64 s[28:29], s[62:63]
	s_cbranch_execz .LBB6_24036
; %bb.24029:                            ;   in Loop: Header=BB6_20708 Depth=3
	v_cmp_ne_u16_sdwa s[62:63], v1, s97 src0_sel:BYTE_0 src1_sel:DWORD
	v_bfrev_b32_e32 v2, 1
	s_and_saveexec_b64 s[30:31], s[62:63]
	s_cbranch_execz .LBB6_24035
; %bb.24030:                            ;   in Loop: Header=BB6_20708 Depth=3
	v_and_b32_e32 v2, 0x7c0000, v14
	v_bfe_u32 v5, v14, 16, 2
	v_cmp_ne_u32_e32 vcc, s45, v2
                                        ; implicit-def: $vgpr2
	s_and_saveexec_b64 s[62:63], vcc
	s_xor_b64 s[34:35], exec, s[62:63]
	s_cbranch_execz .LBB6_24032
; %bb.24031:                            ;   in Loop: Header=BB6_20708 Depth=3
	v_ffbh_u32_e32 v2, v5
	v_min_u32_e32 v16, 32, v2
	v_subrev_u32_e32 v2, 29, v16
	v_lshlrev_b64 v[1:2], v2, v[1:2]
	v_bfe_u32 v7, v14, 18, 5
	v_and_b32_e32 v1, 3, v1
	v_cmp_eq_u32_e32 vcc, 0, v7
	v_sub_u32_e32 v2, 30, v16
	v_cndmask_b32_e32 v1, v5, v1, vcc
	v_lshlrev_b32_e32 v5, 8, v14
	v_cndmask_b32_e32 v2, v7, v2, vcc
	v_and_b32_e32 v5, 0x80000000, v5
	v_lshl_add_u32 v2, v2, 23, v5
	v_lshl_or_b32 v1, v1, 21, v2
	v_add_u32_e32 v2, 0x38000000, v1
                                        ; implicit-def: $vgpr5
                                        ; implicit-def: $vgpr1
.LBB6_24032:                            ;   in Loop: Header=BB6_20708 Depth=3
	s_andn2_saveexec_b64 s[34:35], s[34:35]
; %bb.24033:                            ;   in Loop: Header=BB6_20708 Depth=3
	v_mov_b32_e32 v2, -1
	v_cmp_gt_i16_sdwa vcc, sext(v1), v2 src0_sel:BYTE_0 src1_sel:DWORD
	v_mov_b32_e32 v1, 0xff800000
	v_mov_b32_e32 v2, 0x7f800000
	v_cndmask_b32_e32 v1, v1, v2, vcc
	v_cmp_eq_u32_e32 vcc, 0, v5
	v_mov_b32_e32 v2, 0x7f800001
	v_cndmask_b32_e32 v2, v2, v1, vcc
; %bb.24034:                            ;   in Loop: Header=BB6_20708 Depth=3
	s_or_b64 exec, exec, s[34:35]
.LBB6_24035:                            ;   in Loop: Header=BB6_20708 Depth=3
	s_or_b64 exec, exec, s[30:31]
.LBB6_24036:                            ;   in Loop: Header=BB6_20708 Depth=3
	s_or_b64 exec, exec, s[28:29]
	v_add_f32_e32 v3, v3, v2
	v_and_b32_e32 v20, 0x7f800000, v3
	v_mov_b32_e32 v21, v33
	v_cmp_ne_u64_e32 vcc, s[76:77], v[20:21]
	v_and_b32_e32 v1, 0x7fffff, v3
	v_mov_b32_e32 v2, v33
                                        ; implicit-def: $vgpr45
	s_and_saveexec_b64 s[28:29], vcc
	s_xor_b64 s[30:31], exec, s[28:29]
	s_cbranch_execz .LBB6_24050
; %bb.24037:                            ;   in Loop: Header=BB6_20708 Depth=3
	v_and_b32_e32 v20, 0x7fffffff, v3
	v_mov_b32_e32 v21, v33
	v_cmp_gt_u64_e32 vcc, s[78:79], v[20:21]
	v_and_b32_sdwa v5, v3, s97 dst_sel:DWORD dst_unused:UNUSED_PAD src0_sel:BYTE_3 src1_sel:DWORD
                                        ; implicit-def: $vgpr45
	s_and_saveexec_b64 s[28:29], vcc
	s_xor_b64 s[34:35], exec, s[28:29]
	s_cbranch_execz .LBB6_24047
; %bb.24038:                            ;   in Loop: Header=BB6_20708 Depth=3
	v_mov_b32_e32 v45, 0
	v_cmp_ne_u32_e32 vcc, 0, v3
	s_and_saveexec_b64 s[36:37], vcc
	s_cbranch_execz .LBB6_24046
; %bb.24039:                            ;   in Loop: Header=BB6_20708 Depth=3
	v_bfe_u32 v20, v3, 23, 8
	v_cmp_gt_u32_e64 s[28:29], s47, v20
	v_sub_u32_e32 v3, 0x71, v20
	v_cmp_eq_u32_e32 vcc, 0, v20
	v_cndmask_b32_e64 v3, 0, v3, s[28:29]
	v_mov_b32_e32 v16, 0x70
	v_cndmask_b32_e32 v21, v3, v16, vcc
	v_add_u32_e32 v3, 21, v21
	v_or_b32_e32 v7, 0x800000, v1
	v_lshlrev_b64 v[45:46], v3, -1
	v_cndmask_b32_e32 v1, v7, v1, vcc
	v_add_u32_e32 v3, 20, v21
	v_mov_b32_e32 v22, v56
	v_mov_b32_e32 v17, v57
	v_bfi_b32 v45, v45, 0, v1
	v_lshlrev_b64 v[56:57], v3, 1
	v_lshrrev_b64 v[1:2], v21, v[1:2]
	v_bfi_b32 v46, v46, 0, 0
	v_cmp_eq_u64_e64 s[28:29], v[45:46], v[56:57]
	v_mov_b32_e32 v3, v2
	v_mov_b32_e32 v2, v1
	s_and_saveexec_b64 s[38:39], s[28:29]
; %bb.24040:                            ;   in Loop: Header=BB6_20708 Depth=3
	v_bfe_u32 v2, v1, 21, 1
	v_add_co_u32_e64 v2, s[28:29], v1, v2
	v_add_co_u32_e64 v2, s[28:29], -1, v2
; %bb.24041:                            ;   in Loop: Header=BB6_20708 Depth=3
	s_or_b64 exec, exec, s[38:39]
	v_add_u32_e32 v3, 0xffffff81, v20
	v_mov_b32_e32 v7, 0xffffff82
	v_cndmask_b32_e32 v3, v3, v7, vcc
	v_lshrrev_b32_e32 v7, 23, v1
	v_add3_u32 v20, v21, v3, v7
	v_add_u32_e32 v7, 14, v20
	v_and_b32_e32 v2, 0x1fffff, v2
	v_add_u32_e32 v1, v2, v1
	v_mov_b32_e32 v2, v33
	v_cmp_ne_u32_e32 vcc, 0, v7
                                        ; implicit-def: $vgpr3
	s_and_saveexec_b64 s[28:29], vcc
	s_xor_b64 s[28:29], exec, s[28:29]
; %bb.24042:                            ;   in Loop: Header=BB6_20708 Depth=3
	v_cmp_lt_u64_e32 vcc, s[88:89], v[1:2]
	v_add_u32_e32 v3, 15, v20
	v_cndmask_b32_e32 v3, v7, v3, vcc
	v_cndmask_b32_e64 v7, 0, 1, vcc
	v_lshrrev_b64 v[1:2], v7, v[1:2]
; %bb.24043:                            ;   in Loop: Header=BB6_20708 Depth=3
	s_or_saveexec_b64 s[28:29], s[28:29]
	v_mov_b32_e32 v57, v17
	v_mov_b32_e32 v56, v22
	s_xor_b64 exec, exec, s[28:29]
; %bb.24044:                            ;   in Loop: Header=BB6_20708 Depth=3
	v_bfe_u32 v3, v1, 23, 1
; %bb.24045:                            ;   in Loop: Header=BB6_20708 Depth=3
	s_or_b64 exec, exec, s[28:29]
	v_lshrrev_b64 v[1:2], 21, v[1:2]
	v_cmp_gt_i32_e32 vcc, 32, v3
	v_cndmask_b32_e32 v2, 0, v2, vcc
	v_cndmask_b32_e32 v1, 3, v1, vcc
	v_cmp_eq_u64_e64 s[28:29], 0, v[1:2]
	v_min_i32_e32 v2, 31, v3
	v_lshlrev_b32_e32 v2, 2, v2
	v_cmp_eq_u32_e32 vcc, 0, v3
	v_and_b32_e32 v2, 0xfc, v2
	v_and_or_b32 v1, v1, 3, v2
	s_and_b64 s[28:29], vcc, s[28:29]
	v_cndmask_b32_e64 v1, v1, 0, s[28:29]
	v_or_b32_e32 v45, v1, v5
.LBB6_24046:                            ;   in Loop: Header=BB6_20708 Depth=3
	s_or_b64 exec, exec, s[36:37]
                                        ; implicit-def: $vgpr5
.LBB6_24047:                            ;   in Loop: Header=BB6_20708 Depth=3
	s_andn2_saveexec_b64 s[28:29], s[34:35]
; %bb.24048:                            ;   in Loop: Header=BB6_20708 Depth=3
	v_or_b32_e32 v45, 0x7b, v5
; %bb.24049:                            ;   in Loop: Header=BB6_20708 Depth=3
	s_or_b64 exec, exec, s[28:29]
                                        ; implicit-def: $vgpr3
                                        ; implicit-def: $vgpr1_vgpr2
.LBB6_24050:                            ;   in Loop: Header=BB6_20708 Depth=3
	s_andn2_saveexec_b64 s[28:29], s[30:31]
	s_cbranch_execz .LBB6_24056
; %bb.24051:                            ;   in Loop: Header=BB6_20708 Depth=3
	v_cmp_ne_u64_e32 vcc, 0, v[1:2]
                                        ; implicit-def: $vgpr45
	s_and_saveexec_b64 s[62:63], vcc
	s_xor_b64 vcc, exec, s[62:63]
; %bb.24052:                            ;   in Loop: Header=BB6_20708 Depth=3
	v_or_b32_sdwa v45, v3, s44 dst_sel:DWORD dst_unused:UNUSED_PAD src0_sel:BYTE_3 src1_sel:DWORD
                                        ; implicit-def: $vgpr3
; %bb.24053:                            ;   in Loop: Header=BB6_20708 Depth=3
	s_andn2_saveexec_b64 s[30:31], vcc
; %bb.24054:                            ;   in Loop: Header=BB6_20708 Depth=3
	v_cmp_lt_i32_e32 vcc, -1, v3
	v_bfrev_b32_e32 v1, 0.5
	v_mov_b32_e32 v2, 0x7c
	v_cndmask_b32_e32 v45, v1, v2, vcc
; %bb.24055:                            ;   in Loop: Header=BB6_20708 Depth=3
	s_or_b64 exec, exec, s[30:31]
.LBB6_24056:                            ;   in Loop: Header=BB6_20708 Depth=3
	s_or_b64 exec, exec, s[28:29]
	v_cmp_lt_u32_e32 vcc, s57, v0
	v_mov_b32_e32 v2, 0
	v_mov_b32_e32 v3, 0
	s_and_saveexec_b64 s[28:29], vcc
	s_cbranch_execz .LBB6_24064
; %bb.24057:                            ;   in Loop: Header=BB6_20708 Depth=3
	v_lshrrev_b32_e32 v1, 24, v0
	v_cmp_ne_u32_e32 vcc, s97, v1
	v_bfrev_b32_e32 v3, 1
	s_and_saveexec_b64 s[30:31], vcc
	s_cbranch_execz .LBB6_24063
; %bb.24058:                            ;   in Loop: Header=BB6_20708 Depth=3
	v_and_b32_e32 v3, 0x7c000000, v0
	v_bfe_u32 v5, v0, 24, 2
	v_cmp_ne_u32_e32 vcc, s68, v3
                                        ; implicit-def: $vgpr3
	s_and_saveexec_b64 s[62:63], vcc
	s_xor_b64 s[34:35], exec, s[62:63]
	s_cbranch_execz .LBB6_24060
; %bb.24059:                            ;   in Loop: Header=BB6_20708 Depth=3
	v_ffbh_u32_e32 v7, v5
	v_min_u32_e32 v7, 32, v7
	v_subrev_u32_e32 v16, 29, v7
	v_bfe_u32 v3, v0, 26, 5
	v_lshlrev_b64 v[20:21], v16, v[1:2]
	v_sub_u32_e32 v1, 30, v7
	v_cmp_eq_u32_e32 vcc, 0, v3
	v_and_b32_e32 v7, 3, v20
	v_cndmask_b32_e32 v1, v3, v1, vcc
	v_and_b32_e32 v0, 0x80000000, v0
	v_cndmask_b32_e32 v3, v5, v7, vcc
	v_lshl_add_u32 v0, v1, 23, v0
	v_lshl_or_b32 v0, v3, 21, v0
	v_add_u32_e32 v3, 0x38000000, v0
                                        ; implicit-def: $vgpr5
                                        ; implicit-def: $vgpr0_vgpr1
.LBB6_24060:                            ;   in Loop: Header=BB6_20708 Depth=3
	s_andn2_saveexec_b64 s[34:35], s[34:35]
; %bb.24061:                            ;   in Loop: Header=BB6_20708 Depth=3
	v_cmp_lt_i32_e32 vcc, -1, v0
	v_mov_b32_e32 v0, 0xff800000
	v_mov_b32_e32 v1, 0x7f800000
	v_cndmask_b32_e32 v0, v0, v1, vcc
	v_cmp_eq_u32_e32 vcc, 0, v5
	v_mov_b32_e32 v1, 0x7f800001
	v_cndmask_b32_e32 v3, v1, v0, vcc
; %bb.24062:                            ;   in Loop: Header=BB6_20708 Depth=3
	s_or_b64 exec, exec, s[34:35]
.LBB6_24063:                            ;   in Loop: Header=BB6_20708 Depth=3
	s_or_b64 exec, exec, s[30:31]
.LBB6_24064:                            ;   in Loop: Header=BB6_20708 Depth=3
	s_or_b64 exec, exec, s[28:29]
	v_cmp_lt_u32_e32 vcc, s57, v14
	s_and_saveexec_b64 s[28:29], vcc
	s_cbranch_execz .LBB6_24072
; %bb.24065:                            ;   in Loop: Header=BB6_20708 Depth=3
	v_lshrrev_b32_e32 v0, 24, v14
	v_cmp_ne_u32_e32 vcc, s97, v0
	v_bfrev_b32_e32 v2, 1
	s_and_saveexec_b64 s[30:31], vcc
	s_cbranch_execz .LBB6_24071
; %bb.24066:                            ;   in Loop: Header=BB6_20708 Depth=3
	v_and_b32_e32 v2, 0x7c000000, v14
	v_bfe_u32 v1, v14, 24, 2
	v_cmp_ne_u32_e32 vcc, s68, v2
                                        ; implicit-def: $vgpr2
	s_and_saveexec_b64 s[62:63], vcc
	s_xor_b64 s[34:35], exec, s[62:63]
	s_cbranch_execz .LBB6_24068
; %bb.24067:                            ;   in Loop: Header=BB6_20708 Depth=3
	v_ffbh_u32_e32 v5, v1
	v_min_u32_e32 v5, 32, v5
	v_subrev_u32_e32 v7, 29, v5
	v_bfe_u32 v2, v14, 26, 5
	v_lshlrev_b64 v[20:21], v7, v[0:1]
	v_sub_u32_e32 v0, 30, v5
	v_cmp_eq_u32_e32 vcc, 0, v2
	v_and_b32_e32 v5, 3, v20
	v_cndmask_b32_e32 v0, v2, v0, vcc
	v_and_b32_e32 v2, 0x80000000, v14
	v_cndmask_b32_e32 v1, v1, v5, vcc
	v_lshl_add_u32 v0, v0, 23, v2
	v_lshl_or_b32 v0, v1, 21, v0
	v_add_u32_e32 v2, 0x38000000, v0
                                        ; implicit-def: $vgpr1
.LBB6_24068:                            ;   in Loop: Header=BB6_20708 Depth=3
	s_andn2_saveexec_b64 s[34:35], s[34:35]
; %bb.24069:                            ;   in Loop: Header=BB6_20708 Depth=3
	v_cmp_lt_i32_e32 vcc, -1, v14
	v_mov_b32_e32 v0, 0xff800000
	v_mov_b32_e32 v2, 0x7f800000
	v_cndmask_b32_e32 v0, v0, v2, vcc
	v_cmp_eq_u32_e32 vcc, 0, v1
	v_mov_b32_e32 v1, 0x7f800001
	v_cndmask_b32_e32 v2, v1, v0, vcc
; %bb.24070:                            ;   in Loop: Header=BB6_20708 Depth=3
	s_or_b64 exec, exec, s[34:35]
.LBB6_24071:                            ;   in Loop: Header=BB6_20708 Depth=3
	s_or_b64 exec, exec, s[30:31]
.LBB6_24072:                            ;   in Loop: Header=BB6_20708 Depth=3
	s_or_b64 exec, exec, s[28:29]
	v_add_f32_e32 v2, v3, v2
	v_and_b32_e32 v20, 0x7f800000, v2
	v_mov_b32_e32 v21, v33
	v_cmp_ne_u64_e32 vcc, s[76:77], v[20:21]
	v_and_b32_e32 v0, 0x7fffff, v2
	v_mov_b32_e32 v1, v33
                                        ; implicit-def: $vgpr47
	s_and_saveexec_b64 s[28:29], vcc
	s_xor_b64 s[30:31], exec, s[28:29]
	s_cbranch_execz .LBB6_24086
; %bb.24073:                            ;   in Loop: Header=BB6_20708 Depth=3
	v_and_b32_e32 v20, 0x7fffffff, v2
	v_mov_b32_e32 v21, v33
	v_cmp_gt_u64_e32 vcc, s[78:79], v[20:21]
	v_and_b32_sdwa v3, v2, s97 dst_sel:DWORD dst_unused:UNUSED_PAD src0_sel:BYTE_3 src1_sel:DWORD
                                        ; implicit-def: $vgpr47
	s_and_saveexec_b64 s[28:29], vcc
	s_xor_b64 s[34:35], exec, s[28:29]
	s_cbranch_execz .LBB6_24083
; %bb.24074:                            ;   in Loop: Header=BB6_20708 Depth=3
	v_mov_b32_e32 v47, 0
	v_cmp_ne_u32_e32 vcc, 0, v2
	s_and_saveexec_b64 s[36:37], vcc
	s_cbranch_execz .LBB6_24082
; %bb.24075:                            ;   in Loop: Header=BB6_20708 Depth=3
	v_bfe_u32 v5, v2, 23, 8
	v_cmp_gt_u32_e64 s[28:29], s47, v5
	v_sub_u32_e32 v2, 0x71, v5
	v_cmp_eq_u32_e32 vcc, 0, v5
	v_cndmask_b32_e64 v2, 0, v2, s[28:29]
	v_mov_b32_e32 v16, 0x70
	v_cndmask_b32_e32 v20, v2, v16, vcc
	v_add_u32_e32 v2, 21, v20
	v_or_b32_e32 v7, 0x800000, v0
	v_lshlrev_b64 v[21:22], v2, -1
	v_cndmask_b32_e32 v0, v7, v0, vcc
	v_add_u32_e32 v2, 20, v20
	v_bfi_b32 v21, v21, 0, v0
	v_lshlrev_b64 v[46:47], v2, 1
	v_lshrrev_b64 v[0:1], v20, v[0:1]
	v_bfi_b32 v22, v22, 0, 0
	v_cmp_eq_u64_e64 s[28:29], v[21:22], v[46:47]
	v_mov_b32_e32 v2, v1
	v_mov_b32_e32 v1, v0
	s_and_saveexec_b64 s[38:39], s[28:29]
; %bb.24076:                            ;   in Loop: Header=BB6_20708 Depth=3
	v_bfe_u32 v1, v0, 21, 1
	v_add_co_u32_e64 v1, s[28:29], v0, v1
	v_add_co_u32_e64 v1, s[28:29], -1, v1
; %bb.24077:                            ;   in Loop: Header=BB6_20708 Depth=3
	s_or_b64 exec, exec, s[38:39]
	v_add_u32_e32 v2, 0xffffff81, v5
	v_mov_b32_e32 v5, 0xffffff82
	v_cndmask_b32_e32 v2, v2, v5, vcc
	v_lshrrev_b32_e32 v5, 23, v0
	v_add3_u32 v7, v20, v2, v5
	v_add_u32_e32 v5, 14, v7
	v_and_b32_e32 v1, 0x1fffff, v1
	v_add_u32_e32 v0, v1, v0
	v_mov_b32_e32 v1, v33
	v_cmp_ne_u32_e32 vcc, 0, v5
                                        ; implicit-def: $vgpr2
	s_and_saveexec_b64 s[28:29], vcc
	s_xor_b64 s[28:29], exec, s[28:29]
; %bb.24078:                            ;   in Loop: Header=BB6_20708 Depth=3
	v_cmp_lt_u64_e32 vcc, s[88:89], v[0:1]
	v_add_u32_e32 v2, 15, v7
	v_cndmask_b32_e32 v2, v5, v2, vcc
	v_cndmask_b32_e64 v5, 0, 1, vcc
	v_lshrrev_b64 v[0:1], v5, v[0:1]
; %bb.24079:                            ;   in Loop: Header=BB6_20708 Depth=3
	s_andn2_saveexec_b64 s[28:29], s[28:29]
; %bb.24080:                            ;   in Loop: Header=BB6_20708 Depth=3
	v_bfe_u32 v2, v0, 23, 1
; %bb.24081:                            ;   in Loop: Header=BB6_20708 Depth=3
	s_or_b64 exec, exec, s[28:29]
	v_lshrrev_b64 v[0:1], 21, v[0:1]
	v_cmp_gt_i32_e32 vcc, 32, v2
	v_cndmask_b32_e32 v1, 0, v1, vcc
	v_cndmask_b32_e32 v0, 3, v0, vcc
	v_cmp_eq_u64_e64 s[28:29], 0, v[0:1]
	v_min_i32_e32 v1, 31, v2
	v_lshlrev_b32_e32 v1, 2, v1
	v_cmp_eq_u32_e32 vcc, 0, v2
	v_and_b32_e32 v1, 0xfc, v1
	v_and_or_b32 v0, v0, 3, v1
	s_and_b64 s[28:29], vcc, s[28:29]
	v_cndmask_b32_e64 v0, v0, 0, s[28:29]
	v_or_b32_e32 v47, v0, v3
.LBB6_24082:                            ;   in Loop: Header=BB6_20708 Depth=3
	s_or_b64 exec, exec, s[36:37]
                                        ; implicit-def: $vgpr3
.LBB6_24083:                            ;   in Loop: Header=BB6_20708 Depth=3
	s_andn2_saveexec_b64 s[28:29], s[34:35]
; %bb.24084:                            ;   in Loop: Header=BB6_20708 Depth=3
	v_or_b32_e32 v47, 0x7b, v3
; %bb.24085:                            ;   in Loop: Header=BB6_20708 Depth=3
	s_or_b64 exec, exec, s[28:29]
                                        ; implicit-def: $vgpr2
                                        ; implicit-def: $vgpr0_vgpr1
.LBB6_24086:                            ;   in Loop: Header=BB6_20708 Depth=3
	s_andn2_saveexec_b64 s[28:29], s[30:31]
	s_cbranch_execz .LBB6_24092
; %bb.24087:                            ;   in Loop: Header=BB6_20708 Depth=3
	v_cmp_ne_u64_e32 vcc, 0, v[0:1]
                                        ; implicit-def: $vgpr47
	s_and_saveexec_b64 s[62:63], vcc
	s_xor_b64 vcc, exec, s[62:63]
; %bb.24088:                            ;   in Loop: Header=BB6_20708 Depth=3
	v_or_b32_sdwa v47, v2, s44 dst_sel:DWORD dst_unused:UNUSED_PAD src0_sel:BYTE_3 src1_sel:DWORD
                                        ; implicit-def: $vgpr2
; %bb.24089:                            ;   in Loop: Header=BB6_20708 Depth=3
	s_andn2_saveexec_b64 s[30:31], vcc
; %bb.24090:                            ;   in Loop: Header=BB6_20708 Depth=3
	v_cmp_lt_i32_e32 vcc, -1, v2
	v_bfrev_b32_e32 v0, 0.5
	v_mov_b32_e32 v1, 0x7c
	v_cndmask_b32_e32 v47, v0, v1, vcc
; %bb.24091:                            ;   in Loop: Header=BB6_20708 Depth=3
	s_or_b64 exec, exec, s[30:31]
.LBB6_24092:                            ;   in Loop: Header=BB6_20708 Depth=3
	s_or_b64 exec, exec, s[28:29]
	buffer_load_dword v0, off, s[0:3], s33 offset:252 ; 4-byte Folded Reload
	v_lshlrev_b32_e32 v1, 16, v56
	v_lshl_or_b32 v5, v57, 8, v48
	v_cmp_ne_u32_e32 vcc, 0, v48
	v_mov_b32_e32 v2, 0
	v_mov_b32_e32 v3, 0
	s_waitcnt vmcnt(0)
	v_lshlrev_b32_e32 v0, 24, v0
	v_or3_b32 v0, v1, v0, v5
	v_mov_b32_e32 v1, v33
	s_and_saveexec_b64 s[30:31], vcc
	s_cbranch_execz .LBB6_24100
; %bb.24093:                            ;   in Loop: Header=BB6_20708 Depth=3
	v_cmp_ne_u32_e32 vcc, s97, v48
	v_bfrev_b32_e32 v3, 1
	s_and_saveexec_b64 s[34:35], vcc
	s_cbranch_execz .LBB6_24099
; %bb.24094:                            ;   in Loop: Header=BB6_20708 Depth=3
	v_and_b32_e32 v3, 0x7c, v48
	v_and_b32_e32 v7, 3, v48
	v_cmp_ne_u32_e32 vcc, s86, v3
                                        ; implicit-def: $vgpr3
	s_and_saveexec_b64 s[28:29], vcc
	s_xor_b64 s[28:29], exec, s[28:29]
	s_cbranch_execz .LBB6_24096
; %bb.24095:                            ;   in Loop: Header=BB6_20708 Depth=3
	v_ffbh_u32_e32 v16, v7
	v_min_u32_e32 v16, 32, v16
	v_subrev_u32_e32 v17, 29, v16
	v_lshlrev_b64 v[20:21], v17, v[0:1]
	v_bfe_u32 v3, v48, 2, 5
	v_sub_u32_e32 v1, 30, v16
	v_and_b32_e32 v16, 3, v20
	v_cmp_eq_u32_e32 vcc, 0, v3
	v_cndmask_b32_e32 v1, v3, v1, vcc
	v_cndmask_b32_e32 v3, v7, v16, vcc
	v_lshlrev_b32_e32 v7, 24, v48
	v_and_b32_e32 v7, 0x80000000, v7
	v_lshl_add_u32 v1, v1, 23, v7
	v_lshl_or_b32 v1, v3, 21, v1
	v_add_u32_e32 v3, 0x38000000, v1
                                        ; implicit-def: $vgpr7
                                        ; implicit-def: $vgpr48
.LBB6_24096:                            ;   in Loop: Header=BB6_20708 Depth=3
	s_andn2_saveexec_b64 s[36:37], s[28:29]
; %bb.24097:                            ;   in Loop: Header=BB6_20708 Depth=3
	v_and_b32_e32 v1, 0x80, v48
	v_cmp_eq_u32_e64 s[28:29], 0, v1
	v_mov_b32_e32 v1, 0xff800000
	v_mov_b32_e32 v3, 0x7f800000
	v_cmp_eq_u32_e32 vcc, 0, v7
	v_cndmask_b32_e64 v1, v1, v3, s[28:29]
	v_mov_b32_e32 v3, 0x7f800001
	v_cndmask_b32_e32 v3, v3, v1, vcc
; %bb.24098:                            ;   in Loop: Header=BB6_20708 Depth=3
	s_or_b64 exec, exec, s[36:37]
.LBB6_24099:                            ;   in Loop: Header=BB6_20708 Depth=3
	s_or_b64 exec, exec, s[34:35]
.LBB6_24100:                            ;   in Loop: Header=BB6_20708 Depth=3
	s_or_b64 exec, exec, s[30:31]
	v_cmp_ne_u16_sdwa s[62:63], v15, v33 src0_sel:BYTE_0 src1_sel:DWORD
	s_and_saveexec_b64 s[28:29], s[62:63]
	s_cbranch_execz .LBB6_24108
; %bb.24101:                            ;   in Loop: Header=BB6_20708 Depth=3
	v_cmp_ne_u16_sdwa s[62:63], v15, s97 src0_sel:BYTE_0 src1_sel:DWORD
	v_bfrev_b32_e32 v2, 1
	s_and_saveexec_b64 s[30:31], s[62:63]
	s_cbranch_execz .LBB6_24107
; %bb.24102:                            ;   in Loop: Header=BB6_20708 Depth=3
	v_and_b32_e32 v2, 0x7c, v15
	v_and_b32_e32 v1, 3, v15
	v_cmp_ne_u32_e32 vcc, s86, v2
                                        ; implicit-def: $vgpr2
	s_and_saveexec_b64 s[62:63], vcc
	s_xor_b64 s[34:35], exec, s[62:63]
	s_cbranch_execz .LBB6_24104
; %bb.24103:                            ;   in Loop: Header=BB6_20708 Depth=3
	v_ffbh_u32_e32 v7, v1
	v_min_u32_e32 v7, 32, v7
	v_mov_b32_e32 v20, v15
	v_mov_b32_e32 v21, v33
	v_bfe_u32 v2, v15, 2, 5
	v_subrev_u32_e32 v16, 29, v7
	v_lshlrev_b64 v[20:21], v16, v[20:21]
	v_sub_u32_e32 v7, 30, v7
	v_cmp_eq_u32_e32 vcc, 0, v2
	v_cndmask_b32_e32 v2, v2, v7, vcc
	v_lshlrev_b32_e32 v7, 24, v15
	v_and_b32_e32 v16, 3, v20
	v_and_b32_e32 v7, 0x80000000, v7
	v_cndmask_b32_e32 v1, v1, v16, vcc
	v_lshl_add_u32 v2, v2, 23, v7
	v_lshl_or_b32 v1, v1, 21, v2
	v_add_u32_e32 v2, 0x38000000, v1
                                        ; implicit-def: $vgpr1
.LBB6_24104:                            ;   in Loop: Header=BB6_20708 Depth=3
	s_andn2_saveexec_b64 s[34:35], s[34:35]
; %bb.24105:                            ;   in Loop: Header=BB6_20708 Depth=3
	v_mov_b32_e32 v2, -1
	v_cmp_gt_i16_sdwa vcc, sext(v15), v2 src0_sel:BYTE_0 src1_sel:DWORD
	v_mov_b32_e32 v2, 0xff800000
	v_mov_b32_e32 v7, 0x7f800000
	v_cndmask_b32_e32 v2, v2, v7, vcc
	v_cmp_eq_u32_e32 vcc, 0, v1
	v_mov_b32_e32 v1, 0x7f800001
	v_cndmask_b32_e32 v2, v1, v2, vcc
; %bb.24106:                            ;   in Loop: Header=BB6_20708 Depth=3
	s_or_b64 exec, exec, s[34:35]
.LBB6_24107:                            ;   in Loop: Header=BB6_20708 Depth=3
	s_or_b64 exec, exec, s[30:31]
.LBB6_24108:                            ;   in Loop: Header=BB6_20708 Depth=3
	s_or_b64 exec, exec, s[28:29]
	v_add_f32_e32 v3, v3, v2
	v_and_b32_e32 v20, 0x7f800000, v3
	v_mov_b32_e32 v21, v33
	v_cmp_ne_u64_e32 vcc, s[76:77], v[20:21]
	v_and_b32_e32 v1, 0x7fffff, v3
	v_mov_b32_e32 v2, v33
                                        ; implicit-def: $vgpr48
	s_and_saveexec_b64 s[28:29], vcc
	s_xor_b64 s[30:31], exec, s[28:29]
	s_cbranch_execz .LBB6_24122
; %bb.24109:                            ;   in Loop: Header=BB6_20708 Depth=3
	v_and_b32_e32 v20, 0x7fffffff, v3
	v_mov_b32_e32 v21, v33
	v_cmp_gt_u64_e32 vcc, s[78:79], v[20:21]
	v_and_b32_sdwa v20, v3, s97 dst_sel:DWORD dst_unused:UNUSED_PAD src0_sel:BYTE_3 src1_sel:DWORD
                                        ; implicit-def: $vgpr48
	s_and_saveexec_b64 s[28:29], vcc
	s_xor_b64 s[34:35], exec, s[28:29]
	s_cbranch_execz .LBB6_24119
; %bb.24110:                            ;   in Loop: Header=BB6_20708 Depth=3
	v_mov_b32_e32 v48, 0
	v_cmp_ne_u32_e32 vcc, 0, v3
	s_and_saveexec_b64 s[36:37], vcc
	s_cbranch_execz .LBB6_24118
; %bb.24111:                            ;   in Loop: Header=BB6_20708 Depth=3
	v_bfe_u32 v21, v3, 23, 8
	v_cmp_gt_u32_e64 s[28:29], s47, v21
	v_sub_u32_e32 v3, 0x71, v21
	v_cmp_eq_u32_e32 vcc, 0, v21
	v_cndmask_b32_e64 v3, 0, v3, s[28:29]
	v_mov_b32_e32 v16, 0x70
	v_cndmask_b32_e32 v22, v3, v16, vcc
	v_add_u32_e32 v3, 21, v22
	v_or_b32_e32 v7, 0x800000, v1
	v_lshlrev_b64 v[56:57], v3, -1
	v_cndmask_b32_e32 v1, v7, v1, vcc
	v_add_u32_e32 v3, 20, v22
	v_bfi_b32 v56, v56, 0, v1
	v_lshlrev_b64 v[36:37], v3, 1
	v_lshrrev_b64 v[1:2], v22, v[1:2]
	v_bfi_b32 v57, v57, 0, 0
	v_cmp_eq_u64_e64 s[28:29], v[56:57], v[36:37]
	v_mov_b32_e32 v3, v2
	v_mov_b32_e32 v2, v1
	s_and_saveexec_b64 s[38:39], s[28:29]
; %bb.24112:                            ;   in Loop: Header=BB6_20708 Depth=3
	v_bfe_u32 v2, v1, 21, 1
	v_add_co_u32_e64 v2, s[28:29], v1, v2
	v_add_co_u32_e64 v2, s[28:29], -1, v2
; %bb.24113:                            ;   in Loop: Header=BB6_20708 Depth=3
	s_or_b64 exec, exec, s[38:39]
	v_add_u32_e32 v3, 0xffffff81, v21
	v_mov_b32_e32 v7, 0xffffff82
	v_cndmask_b32_e32 v3, v3, v7, vcc
	v_lshrrev_b32_e32 v7, 23, v1
	v_add3_u32 v21, v22, v3, v7
	v_add_u32_e32 v7, 14, v21
	v_and_b32_e32 v2, 0x1fffff, v2
	v_add_u32_e32 v1, v2, v1
	v_mov_b32_e32 v2, v33
	v_cmp_ne_u32_e32 vcc, 0, v7
                                        ; implicit-def: $vgpr3
	s_and_saveexec_b64 s[28:29], vcc
	s_xor_b64 s[28:29], exec, s[28:29]
; %bb.24114:                            ;   in Loop: Header=BB6_20708 Depth=3
	v_cmp_lt_u64_e32 vcc, s[88:89], v[1:2]
	v_add_u32_e32 v3, 15, v21
	v_cndmask_b32_e32 v3, v7, v3, vcc
	v_cndmask_b32_e64 v7, 0, 1, vcc
	v_lshrrev_b64 v[1:2], v7, v[1:2]
; %bb.24115:                            ;   in Loop: Header=BB6_20708 Depth=3
	s_andn2_saveexec_b64 s[28:29], s[28:29]
; %bb.24116:                            ;   in Loop: Header=BB6_20708 Depth=3
	v_bfe_u32 v3, v1, 23, 1
; %bb.24117:                            ;   in Loop: Header=BB6_20708 Depth=3
	s_or_b64 exec, exec, s[28:29]
	v_lshrrev_b64 v[1:2], 21, v[1:2]
	v_cmp_gt_i32_e32 vcc, 32, v3
	v_cndmask_b32_e32 v2, 0, v2, vcc
	v_cndmask_b32_e32 v1, 3, v1, vcc
	v_cmp_eq_u64_e64 s[28:29], 0, v[1:2]
	v_min_i32_e32 v2, 31, v3
	v_lshlrev_b32_e32 v2, 2, v2
	v_cmp_eq_u32_e32 vcc, 0, v3
	v_and_b32_e32 v2, 0xfc, v2
	v_and_or_b32 v1, v1, 3, v2
	s_and_b64 s[28:29], vcc, s[28:29]
	v_cndmask_b32_e64 v1, v1, 0, s[28:29]
	v_or_b32_e32 v48, v1, v20
.LBB6_24118:                            ;   in Loop: Header=BB6_20708 Depth=3
	s_or_b64 exec, exec, s[36:37]
                                        ; implicit-def: $vgpr20
.LBB6_24119:                            ;   in Loop: Header=BB6_20708 Depth=3
	s_andn2_saveexec_b64 s[28:29], s[34:35]
; %bb.24120:                            ;   in Loop: Header=BB6_20708 Depth=3
	v_or_b32_e32 v48, 0x7b, v20
; %bb.24121:                            ;   in Loop: Header=BB6_20708 Depth=3
	s_or_b64 exec, exec, s[28:29]
                                        ; implicit-def: $vgpr3
                                        ; implicit-def: $vgpr1_vgpr2
.LBB6_24122:                            ;   in Loop: Header=BB6_20708 Depth=3
	s_andn2_saveexec_b64 s[28:29], s[30:31]
	s_cbranch_execz .LBB6_24128
; %bb.24123:                            ;   in Loop: Header=BB6_20708 Depth=3
	v_cmp_ne_u64_e32 vcc, 0, v[1:2]
                                        ; implicit-def: $vgpr48
	s_and_saveexec_b64 s[62:63], vcc
	s_xor_b64 vcc, exec, s[62:63]
; %bb.24124:                            ;   in Loop: Header=BB6_20708 Depth=3
	v_or_b32_sdwa v48, v3, s44 dst_sel:DWORD dst_unused:UNUSED_PAD src0_sel:BYTE_3 src1_sel:DWORD
                                        ; implicit-def: $vgpr3
; %bb.24125:                            ;   in Loop: Header=BB6_20708 Depth=3
	s_andn2_saveexec_b64 s[30:31], vcc
; %bb.24126:                            ;   in Loop: Header=BB6_20708 Depth=3
	v_cmp_lt_i32_e32 vcc, -1, v3
	v_bfrev_b32_e32 v1, 0.5
	v_mov_b32_e32 v2, 0x7c
	v_cndmask_b32_e32 v48, v1, v2, vcc
; %bb.24127:                            ;   in Loop: Header=BB6_20708 Depth=3
	s_or_b64 exec, exec, s[30:31]
.LBB6_24128:                            ;   in Loop: Header=BB6_20708 Depth=3
	s_or_b64 exec, exec, s[28:29]
	v_lshrrev_b16_e32 v1, 8, v5
	v_cmp_ne_u16_e32 vcc, 0, v1
	v_mov_b32_e32 v3, 0
	v_mov_b32_e32 v20, 0
	s_and_saveexec_b64 s[28:29], vcc
	s_cbranch_execz .LBB6_24136
; %bb.24129:                            ;   in Loop: Header=BB6_20708 Depth=3
	v_cmp_ne_u16_e32 vcc, s97, v1
	v_bfrev_b32_e32 v20, 1
	s_and_saveexec_b64 s[30:31], vcc
	s_cbranch_execz .LBB6_24135
; %bb.24130:                            ;   in Loop: Header=BB6_20708 Depth=3
	v_and_b32_e32 v2, 0x7c, v1
	v_and_b32_e32 v7, 3, v1
	v_cmp_ne_u32_e32 vcc, s86, v2
                                        ; implicit-def: $vgpr20
	s_and_saveexec_b64 s[62:63], vcc
	s_xor_b64 s[34:35], exec, s[62:63]
	s_cbranch_execz .LBB6_24132
; %bb.24131:                            ;   in Loop: Header=BB6_20708 Depth=3
	v_ffbh_u32_e32 v17, v7
	v_min_u32_e32 v17, 32, v17
	v_mov_b32_e32 v2, v33
	v_subrev_u32_e32 v20, 29, v17
	v_bfe_u32 v16, v1, 2, 5
	v_lshlrev_b64 v[1:2], v20, v[1:2]
	v_sub_u32_e32 v2, 30, v17
	v_cmp_eq_u32_e32 vcc, 0, v16
	v_lshlrev_b32_e32 v5, 16, v5
	v_and_b32_e32 v1, 3, v1
	v_cndmask_b32_e32 v2, v16, v2, vcc
	v_and_b32_e32 v5, 0x80000000, v5
	v_cndmask_b32_e32 v1, v7, v1, vcc
	v_lshl_add_u32 v2, v2, 23, v5
	v_lshl_or_b32 v1, v1, 21, v2
	v_add_u32_e32 v20, 0x38000000, v1
                                        ; implicit-def: $vgpr7
                                        ; implicit-def: $vgpr5
.LBB6_24132:                            ;   in Loop: Header=BB6_20708 Depth=3
	s_andn2_saveexec_b64 s[34:35], s[34:35]
; %bb.24133:                            ;   in Loop: Header=BB6_20708 Depth=3
	v_cmp_lt_i16_e32 vcc, -1, v5
	v_mov_b32_e32 v1, 0xff800000
	v_mov_b32_e32 v2, 0x7f800000
	v_cndmask_b32_e32 v1, v1, v2, vcc
	v_cmp_eq_u32_e32 vcc, 0, v7
	v_mov_b32_e32 v2, 0x7f800001
	v_cndmask_b32_e32 v20, v2, v1, vcc
; %bb.24134:                            ;   in Loop: Header=BB6_20708 Depth=3
	s_or_b64 exec, exec, s[34:35]
.LBB6_24135:                            ;   in Loop: Header=BB6_20708 Depth=3
	s_or_b64 exec, exec, s[30:31]
.LBB6_24136:                            ;   in Loop: Header=BB6_20708 Depth=3
	s_or_b64 exec, exec, s[28:29]
	v_lshrrev_b16_e32 v1, 8, v15
	v_cmp_ne_u16_e32 vcc, 0, v1
	s_and_saveexec_b64 s[28:29], vcc
	s_cbranch_execz .LBB6_24144
; %bb.24137:                            ;   in Loop: Header=BB6_20708 Depth=3
	v_cmp_ne_u16_e32 vcc, s97, v1
	v_bfrev_b32_e32 v3, 1
	s_and_saveexec_b64 s[30:31], vcc
	s_cbranch_execz .LBB6_24143
; %bb.24138:                            ;   in Loop: Header=BB6_20708 Depth=3
	v_and_b32_e32 v2, 0x7c, v1
	v_and_b32_e32 v5, 3, v1
	v_cmp_ne_u32_e32 vcc, s86, v2
                                        ; implicit-def: $vgpr3
	s_and_saveexec_b64 s[62:63], vcc
	s_xor_b64 s[34:35], exec, s[62:63]
	s_cbranch_execz .LBB6_24140
; %bb.24139:                            ;   in Loop: Header=BB6_20708 Depth=3
	v_ffbh_u32_e32 v7, v5
	v_min_u32_e32 v7, 32, v7
	v_mov_b32_e32 v2, v33
	v_subrev_u32_e32 v16, 29, v7
	v_bfe_u32 v3, v1, 2, 5
	v_lshlrev_b64 v[1:2], v16, v[1:2]
	v_sub_u32_e32 v2, 30, v7
	v_cmp_eq_u32_e32 vcc, 0, v3
	v_cndmask_b32_e32 v2, v3, v2, vcc
	v_lshlrev_b32_e32 v3, 16, v15
	v_and_b32_e32 v1, 3, v1
	v_and_b32_e32 v3, 0x80000000, v3
	v_cndmask_b32_e32 v1, v5, v1, vcc
	v_lshl_add_u32 v2, v2, 23, v3
	v_lshl_or_b32 v1, v1, 21, v2
	v_add_u32_e32 v3, 0x38000000, v1
                                        ; implicit-def: $vgpr5
.LBB6_24140:                            ;   in Loop: Header=BB6_20708 Depth=3
	s_andn2_saveexec_b64 s[34:35], s[34:35]
; %bb.24141:                            ;   in Loop: Header=BB6_20708 Depth=3
	v_cmp_lt_i16_e32 vcc, -1, v15
	v_mov_b32_e32 v1, 0xff800000
	v_mov_b32_e32 v2, 0x7f800000
	v_cndmask_b32_e32 v1, v1, v2, vcc
	v_cmp_eq_u32_e32 vcc, 0, v5
	v_mov_b32_e32 v2, 0x7f800001
	v_cndmask_b32_e32 v3, v2, v1, vcc
; %bb.24142:                            ;   in Loop: Header=BB6_20708 Depth=3
	s_or_b64 exec, exec, s[34:35]
.LBB6_24143:                            ;   in Loop: Header=BB6_20708 Depth=3
	s_or_b64 exec, exec, s[30:31]
.LBB6_24144:                            ;   in Loop: Header=BB6_20708 Depth=3
	s_or_b64 exec, exec, s[28:29]
	v_add_f32_e32 v3, v20, v3
	v_and_b32_e32 v20, 0x7f800000, v3
	v_mov_b32_e32 v21, v33
	v_cmp_ne_u64_e32 vcc, s[76:77], v[20:21]
	v_and_b32_e32 v1, 0x7fffff, v3
	v_mov_b32_e32 v2, v33
                                        ; implicit-def: $vgpr56
	s_and_saveexec_b64 s[28:29], vcc
	s_xor_b64 s[30:31], exec, s[28:29]
	s_cbranch_execz .LBB6_24158
; %bb.24145:                            ;   in Loop: Header=BB6_20708 Depth=3
	v_and_b32_e32 v20, 0x7fffffff, v3
	v_mov_b32_e32 v21, v33
	v_cmp_gt_u64_e32 vcc, s[78:79], v[20:21]
	v_and_b32_sdwa v5, v3, s97 dst_sel:DWORD dst_unused:UNUSED_PAD src0_sel:BYTE_3 src1_sel:DWORD
                                        ; implicit-def: $vgpr56
	s_and_saveexec_b64 s[28:29], vcc
	s_xor_b64 s[34:35], exec, s[28:29]
	s_cbranch_execz .LBB6_24155
; %bb.24146:                            ;   in Loop: Header=BB6_20708 Depth=3
	v_mov_b32_e32 v56, 0
	v_cmp_ne_u32_e32 vcc, 0, v3
	s_and_saveexec_b64 s[36:37], vcc
	s_cbranch_execz .LBB6_24154
; %bb.24147:                            ;   in Loop: Header=BB6_20708 Depth=3
	v_bfe_u32 v20, v3, 23, 8
	v_cmp_gt_u32_e64 s[28:29], s47, v20
	v_sub_u32_e32 v3, 0x71, v20
	v_cmp_eq_u32_e32 vcc, 0, v20
	v_cndmask_b32_e64 v3, 0, v3, s[28:29]
	v_mov_b32_e32 v16, 0x70
	v_cndmask_b32_e32 v21, v3, v16, vcc
	v_add_u32_e32 v3, 21, v21
	v_or_b32_e32 v7, 0x800000, v1
	v_lshlrev_b64 v[36:37], v3, -1
	v_cndmask_b32_e32 v1, v7, v1, vcc
	v_add_u32_e32 v3, 20, v21
	v_bfi_b32 v36, v36, 0, v1
	v_lshlrev_b64 v[56:57], v3, 1
	v_lshrrev_b64 v[1:2], v21, v[1:2]
	v_bfi_b32 v37, v37, 0, 0
	v_cmp_eq_u64_e64 s[28:29], v[36:37], v[56:57]
	v_mov_b32_e32 v3, v2
	v_mov_b32_e32 v2, v1
	s_and_saveexec_b64 s[38:39], s[28:29]
; %bb.24148:                            ;   in Loop: Header=BB6_20708 Depth=3
	v_bfe_u32 v2, v1, 21, 1
	v_add_co_u32_e64 v2, s[28:29], v1, v2
	v_add_co_u32_e64 v2, s[28:29], -1, v2
; %bb.24149:                            ;   in Loop: Header=BB6_20708 Depth=3
	s_or_b64 exec, exec, s[38:39]
	v_add_u32_e32 v3, 0xffffff81, v20
	v_mov_b32_e32 v7, 0xffffff82
	v_cndmask_b32_e32 v3, v3, v7, vcc
	v_lshrrev_b32_e32 v7, 23, v1
	v_add3_u32 v20, v21, v3, v7
	v_add_u32_e32 v7, 14, v20
	v_and_b32_e32 v2, 0x1fffff, v2
	v_add_u32_e32 v1, v2, v1
	v_mov_b32_e32 v2, v33
	v_cmp_ne_u32_e32 vcc, 0, v7
                                        ; implicit-def: $vgpr3
	s_and_saveexec_b64 s[28:29], vcc
	s_xor_b64 s[28:29], exec, s[28:29]
; %bb.24150:                            ;   in Loop: Header=BB6_20708 Depth=3
	v_cmp_lt_u64_e32 vcc, s[88:89], v[1:2]
	v_add_u32_e32 v3, 15, v20
	v_cndmask_b32_e32 v3, v7, v3, vcc
	v_cndmask_b32_e64 v7, 0, 1, vcc
	v_lshrrev_b64 v[1:2], v7, v[1:2]
; %bb.24151:                            ;   in Loop: Header=BB6_20708 Depth=3
	s_andn2_saveexec_b64 s[28:29], s[28:29]
; %bb.24152:                            ;   in Loop: Header=BB6_20708 Depth=3
	v_bfe_u32 v3, v1, 23, 1
; %bb.24153:                            ;   in Loop: Header=BB6_20708 Depth=3
	s_or_b64 exec, exec, s[28:29]
	v_lshrrev_b64 v[1:2], 21, v[1:2]
	v_cmp_gt_i32_e32 vcc, 32, v3
	v_cndmask_b32_e32 v2, 0, v2, vcc
	v_cndmask_b32_e32 v1, 3, v1, vcc
	v_cmp_eq_u64_e64 s[28:29], 0, v[1:2]
	v_min_i32_e32 v2, 31, v3
	v_lshlrev_b32_e32 v2, 2, v2
	v_cmp_eq_u32_e32 vcc, 0, v3
	v_and_b32_e32 v2, 0xfc, v2
	v_and_or_b32 v1, v1, 3, v2
	s_and_b64 s[28:29], vcc, s[28:29]
	v_cndmask_b32_e64 v1, v1, 0, s[28:29]
	v_or_b32_e32 v56, v1, v5
.LBB6_24154:                            ;   in Loop: Header=BB6_20708 Depth=3
	s_or_b64 exec, exec, s[36:37]
                                        ; implicit-def: $vgpr5
.LBB6_24155:                            ;   in Loop: Header=BB6_20708 Depth=3
	s_andn2_saveexec_b64 s[28:29], s[34:35]
; %bb.24156:                            ;   in Loop: Header=BB6_20708 Depth=3
	v_or_b32_e32 v56, 0x7b, v5
; %bb.24157:                            ;   in Loop: Header=BB6_20708 Depth=3
	s_or_b64 exec, exec, s[28:29]
                                        ; implicit-def: $vgpr3
                                        ; implicit-def: $vgpr1_vgpr2
.LBB6_24158:                            ;   in Loop: Header=BB6_20708 Depth=3
	s_andn2_saveexec_b64 s[28:29], s[30:31]
	s_cbranch_execz .LBB6_24164
; %bb.24159:                            ;   in Loop: Header=BB6_20708 Depth=3
	v_cmp_ne_u64_e32 vcc, 0, v[1:2]
                                        ; implicit-def: $vgpr56
	s_and_saveexec_b64 s[62:63], vcc
	s_xor_b64 vcc, exec, s[62:63]
; %bb.24160:                            ;   in Loop: Header=BB6_20708 Depth=3
	v_or_b32_sdwa v56, v3, s44 dst_sel:DWORD dst_unused:UNUSED_PAD src0_sel:BYTE_3 src1_sel:DWORD
                                        ; implicit-def: $vgpr3
; %bb.24161:                            ;   in Loop: Header=BB6_20708 Depth=3
	s_andn2_saveexec_b64 s[30:31], vcc
; %bb.24162:                            ;   in Loop: Header=BB6_20708 Depth=3
	v_cmp_lt_i32_e32 vcc, -1, v3
	v_bfrev_b32_e32 v1, 0.5
	v_mov_b32_e32 v2, 0x7c
	v_cndmask_b32_e32 v56, v1, v2, vcc
; %bb.24163:                            ;   in Loop: Header=BB6_20708 Depth=3
	s_or_b64 exec, exec, s[30:31]
.LBB6_24164:                            ;   in Loop: Header=BB6_20708 Depth=3
	s_or_b64 exec, exec, s[28:29]
	v_and_b32_sdwa v5, v0, s96 dst_sel:DWORD dst_unused:UNUSED_PAD src0_sel:WORD_1 src1_sel:DWORD
	v_lshrrev_b32_e32 v1, 16, v0
	v_cmp_ne_u16_e32 vcc, 0, v5
	v_mov_b32_e32 v2, 0
	v_mov_b32_e32 v3, 0
	s_and_saveexec_b64 s[28:29], vcc
	s_cbranch_execz .LBB6_24172
; %bb.24165:                            ;   in Loop: Header=BB6_20708 Depth=3
	v_cmp_ne_u16_e32 vcc, s97, v5
	v_bfrev_b32_e32 v3, 1
	s_and_saveexec_b64 s[30:31], vcc
	s_cbranch_execz .LBB6_24171
; %bb.24166:                            ;   in Loop: Header=BB6_20708 Depth=3
	v_and_b32_e32 v3, 0x7c0000, v0
	v_bfe_u32 v5, v0, 16, 2
	v_cmp_ne_u32_e32 vcc, s45, v3
                                        ; implicit-def: $vgpr3
	s_and_saveexec_b64 s[62:63], vcc
	s_xor_b64 s[34:35], exec, s[62:63]
	s_cbranch_execz .LBB6_24168
; %bb.24167:                            ;   in Loop: Header=BB6_20708 Depth=3
	v_ffbh_u32_e32 v7, v5
	v_min_u32_e32 v7, 32, v7
	v_subrev_u32_e32 v16, 29, v7
	v_lshlrev_b64 v[20:21], v16, v[1:2]
	v_bfe_u32 v3, v0, 18, 5
	v_sub_u32_e32 v1, 30, v7
	v_and_b32_e32 v7, 3, v20
	v_cmp_eq_u32_e32 vcc, 0, v3
	v_cndmask_b32_e32 v1, v3, v1, vcc
	v_cndmask_b32_e32 v3, v5, v7, vcc
	v_lshlrev_b32_e32 v5, 8, v0
	v_and_b32_e32 v5, 0x80000000, v5
	v_lshl_add_u32 v1, v1, 23, v5
	v_lshl_or_b32 v1, v3, 21, v1
	v_add_u32_e32 v3, 0x38000000, v1
                                        ; implicit-def: $vgpr5
                                        ; implicit-def: $vgpr1
.LBB6_24168:                            ;   in Loop: Header=BB6_20708 Depth=3
	s_andn2_saveexec_b64 s[34:35], s[34:35]
; %bb.24169:                            ;   in Loop: Header=BB6_20708 Depth=3
	v_mov_b32_e32 v3, -1
	v_cmp_gt_i16_sdwa vcc, sext(v1), v3 src0_sel:BYTE_0 src1_sel:DWORD
	v_mov_b32_e32 v1, 0xff800000
	v_mov_b32_e32 v3, 0x7f800000
	v_cndmask_b32_e32 v1, v1, v3, vcc
	v_cmp_eq_u32_e32 vcc, 0, v5
	v_mov_b32_e32 v3, 0x7f800001
	v_cndmask_b32_e32 v3, v3, v1, vcc
; %bb.24170:                            ;   in Loop: Header=BB6_20708 Depth=3
	s_or_b64 exec, exec, s[34:35]
.LBB6_24171:                            ;   in Loop: Header=BB6_20708 Depth=3
	s_or_b64 exec, exec, s[30:31]
.LBB6_24172:                            ;   in Loop: Header=BB6_20708 Depth=3
	s_or_b64 exec, exec, s[28:29]
	v_lshrrev_b32_e32 v1, 16, v15
	v_cmp_ne_u16_sdwa s[62:63], v1, v33 src0_sel:BYTE_0 src1_sel:DWORD
	s_and_saveexec_b64 s[28:29], s[62:63]
	s_cbranch_execz .LBB6_24180
; %bb.24173:                            ;   in Loop: Header=BB6_20708 Depth=3
	v_cmp_ne_u16_sdwa s[62:63], v1, s97 src0_sel:BYTE_0 src1_sel:DWORD
	v_bfrev_b32_e32 v2, 1
	s_and_saveexec_b64 s[30:31], s[62:63]
	s_cbranch_execz .LBB6_24179
; %bb.24174:                            ;   in Loop: Header=BB6_20708 Depth=3
	v_and_b32_e32 v2, 0x7c0000, v15
	v_bfe_u32 v5, v15, 16, 2
	v_cmp_ne_u32_e32 vcc, s45, v2
                                        ; implicit-def: $vgpr2
	s_and_saveexec_b64 s[62:63], vcc
	s_xor_b64 s[34:35], exec, s[62:63]
	s_cbranch_execz .LBB6_24176
; %bb.24175:                            ;   in Loop: Header=BB6_20708 Depth=3
	v_ffbh_u32_e32 v2, v5
	v_min_u32_e32 v16, 32, v2
	v_subrev_u32_e32 v2, 29, v16
	v_lshlrev_b64 v[1:2], v2, v[1:2]
	v_bfe_u32 v7, v15, 18, 5
	v_and_b32_e32 v1, 3, v1
	v_cmp_eq_u32_e32 vcc, 0, v7
	v_sub_u32_e32 v2, 30, v16
	v_cndmask_b32_e32 v1, v5, v1, vcc
	v_lshlrev_b32_e32 v5, 8, v15
	v_cndmask_b32_e32 v2, v7, v2, vcc
	v_and_b32_e32 v5, 0x80000000, v5
	v_lshl_add_u32 v2, v2, 23, v5
	v_lshl_or_b32 v1, v1, 21, v2
	v_add_u32_e32 v2, 0x38000000, v1
                                        ; implicit-def: $vgpr5
                                        ; implicit-def: $vgpr1
.LBB6_24176:                            ;   in Loop: Header=BB6_20708 Depth=3
	s_andn2_saveexec_b64 s[34:35], s[34:35]
; %bb.24177:                            ;   in Loop: Header=BB6_20708 Depth=3
	v_mov_b32_e32 v2, -1
	v_cmp_gt_i16_sdwa vcc, sext(v1), v2 src0_sel:BYTE_0 src1_sel:DWORD
	v_mov_b32_e32 v1, 0xff800000
	v_mov_b32_e32 v2, 0x7f800000
	v_cndmask_b32_e32 v1, v1, v2, vcc
	v_cmp_eq_u32_e32 vcc, 0, v5
	v_mov_b32_e32 v2, 0x7f800001
	v_cndmask_b32_e32 v2, v2, v1, vcc
; %bb.24178:                            ;   in Loop: Header=BB6_20708 Depth=3
	s_or_b64 exec, exec, s[34:35]
.LBB6_24179:                            ;   in Loop: Header=BB6_20708 Depth=3
	s_or_b64 exec, exec, s[30:31]
.LBB6_24180:                            ;   in Loop: Header=BB6_20708 Depth=3
	s_or_b64 exec, exec, s[28:29]
	v_add_f32_e32 v3, v3, v2
	v_and_b32_e32 v20, 0x7f800000, v3
	v_mov_b32_e32 v21, v33
	v_cmp_ne_u64_e32 vcc, s[76:77], v[20:21]
	v_and_b32_e32 v1, 0x7fffff, v3
	v_mov_b32_e32 v2, v33
                                        ; implicit-def: $vgpr57
	s_and_saveexec_b64 s[28:29], vcc
	s_xor_b64 s[30:31], exec, s[28:29]
	s_cbranch_execz .LBB6_24194
; %bb.24181:                            ;   in Loop: Header=BB6_20708 Depth=3
	v_and_b32_e32 v20, 0x7fffffff, v3
	v_mov_b32_e32 v21, v33
	v_cmp_gt_u64_e32 vcc, s[78:79], v[20:21]
	v_and_b32_sdwa v5, v3, s97 dst_sel:DWORD dst_unused:UNUSED_PAD src0_sel:BYTE_3 src1_sel:DWORD
                                        ; implicit-def: $vgpr57
	s_and_saveexec_b64 s[28:29], vcc
	s_xor_b64 s[34:35], exec, s[28:29]
	s_cbranch_execz .LBB6_24191
; %bb.24182:                            ;   in Loop: Header=BB6_20708 Depth=3
	v_mov_b32_e32 v57, 0
	v_cmp_ne_u32_e32 vcc, 0, v3
	s_and_saveexec_b64 s[36:37], vcc
	s_cbranch_execz .LBB6_24190
; %bb.24183:                            ;   in Loop: Header=BB6_20708 Depth=3
	v_bfe_u32 v20, v3, 23, 8
	v_cmp_gt_u32_e64 s[28:29], s47, v20
	v_sub_u32_e32 v3, 0x71, v20
	v_cmp_eq_u32_e32 vcc, 0, v20
	v_cndmask_b32_e64 v3, 0, v3, s[28:29]
	v_mov_b32_e32 v16, 0x70
	v_cndmask_b32_e32 v21, v3, v16, vcc
	v_add_u32_e32 v3, 21, v21
	v_or_b32_e32 v7, 0x800000, v1
	v_lshlrev_b64 v[36:37], v3, -1
	v_cndmask_b32_e32 v1, v7, v1, vcc
	v_add_u32_e32 v3, 20, v21
	v_bfi_b32 v36, v36, 0, v1
	v_lshlrev_b64 v[22:23], v3, 1
	v_lshrrev_b64 v[1:2], v21, v[1:2]
	v_bfi_b32 v37, v37, 0, 0
	v_cmp_eq_u64_e64 s[28:29], v[36:37], v[22:23]
	v_mov_b32_e32 v3, v2
	v_mov_b32_e32 v2, v1
	s_and_saveexec_b64 s[38:39], s[28:29]
; %bb.24184:                            ;   in Loop: Header=BB6_20708 Depth=3
	v_bfe_u32 v2, v1, 21, 1
	v_add_co_u32_e64 v2, s[28:29], v1, v2
	v_add_co_u32_e64 v2, s[28:29], -1, v2
; %bb.24185:                            ;   in Loop: Header=BB6_20708 Depth=3
	s_or_b64 exec, exec, s[38:39]
	v_add_u32_e32 v3, 0xffffff81, v20
	v_mov_b32_e32 v7, 0xffffff82
	v_cndmask_b32_e32 v3, v3, v7, vcc
	v_lshrrev_b32_e32 v7, 23, v1
	v_add3_u32 v20, v21, v3, v7
	v_add_u32_e32 v7, 14, v20
	v_and_b32_e32 v2, 0x1fffff, v2
	v_add_u32_e32 v1, v2, v1
	v_mov_b32_e32 v2, v33
	v_cmp_ne_u32_e32 vcc, 0, v7
                                        ; implicit-def: $vgpr3
	s_and_saveexec_b64 s[28:29], vcc
	s_xor_b64 s[28:29], exec, s[28:29]
; %bb.24186:                            ;   in Loop: Header=BB6_20708 Depth=3
	v_cmp_lt_u64_e32 vcc, s[88:89], v[1:2]
	v_add_u32_e32 v3, 15, v20
	v_cndmask_b32_e32 v3, v7, v3, vcc
	v_cndmask_b32_e64 v7, 0, 1, vcc
	v_lshrrev_b64 v[1:2], v7, v[1:2]
; %bb.24187:                            ;   in Loop: Header=BB6_20708 Depth=3
	s_andn2_saveexec_b64 s[28:29], s[28:29]
; %bb.24188:                            ;   in Loop: Header=BB6_20708 Depth=3
	v_bfe_u32 v3, v1, 23, 1
; %bb.24189:                            ;   in Loop: Header=BB6_20708 Depth=3
	s_or_b64 exec, exec, s[28:29]
	v_lshrrev_b64 v[1:2], 21, v[1:2]
	v_cmp_gt_i32_e32 vcc, 32, v3
	v_cndmask_b32_e32 v2, 0, v2, vcc
	v_cndmask_b32_e32 v1, 3, v1, vcc
	v_cmp_eq_u64_e64 s[28:29], 0, v[1:2]
	v_min_i32_e32 v2, 31, v3
	v_lshlrev_b32_e32 v2, 2, v2
	v_cmp_eq_u32_e32 vcc, 0, v3
	v_and_b32_e32 v2, 0xfc, v2
	v_and_or_b32 v1, v1, 3, v2
	s_and_b64 s[28:29], vcc, s[28:29]
	v_cndmask_b32_e64 v1, v1, 0, s[28:29]
	v_or_b32_e32 v57, v1, v5
.LBB6_24190:                            ;   in Loop: Header=BB6_20708 Depth=3
	s_or_b64 exec, exec, s[36:37]
                                        ; implicit-def: $vgpr5
.LBB6_24191:                            ;   in Loop: Header=BB6_20708 Depth=3
	s_andn2_saveexec_b64 s[28:29], s[34:35]
; %bb.24192:                            ;   in Loop: Header=BB6_20708 Depth=3
	v_or_b32_e32 v57, 0x7b, v5
; %bb.24193:                            ;   in Loop: Header=BB6_20708 Depth=3
	s_or_b64 exec, exec, s[28:29]
                                        ; implicit-def: $vgpr3
                                        ; implicit-def: $vgpr1_vgpr2
.LBB6_24194:                            ;   in Loop: Header=BB6_20708 Depth=3
	s_andn2_saveexec_b64 s[28:29], s[30:31]
	s_cbranch_execz .LBB6_24200
; %bb.24195:                            ;   in Loop: Header=BB6_20708 Depth=3
	v_cmp_ne_u64_e32 vcc, 0, v[1:2]
                                        ; implicit-def: $vgpr57
	s_and_saveexec_b64 s[62:63], vcc
	s_xor_b64 vcc, exec, s[62:63]
; %bb.24196:                            ;   in Loop: Header=BB6_20708 Depth=3
	v_or_b32_sdwa v57, v3, s44 dst_sel:DWORD dst_unused:UNUSED_PAD src0_sel:BYTE_3 src1_sel:DWORD
                                        ; implicit-def: $vgpr3
; %bb.24197:                            ;   in Loop: Header=BB6_20708 Depth=3
	s_andn2_saveexec_b64 s[30:31], vcc
; %bb.24198:                            ;   in Loop: Header=BB6_20708 Depth=3
	v_cmp_lt_i32_e32 vcc, -1, v3
	v_bfrev_b32_e32 v1, 0.5
	v_mov_b32_e32 v2, 0x7c
	v_cndmask_b32_e32 v57, v1, v2, vcc
; %bb.24199:                            ;   in Loop: Header=BB6_20708 Depth=3
	s_or_b64 exec, exec, s[30:31]
.LBB6_24200:                            ;   in Loop: Header=BB6_20708 Depth=3
	s_or_b64 exec, exec, s[28:29]
	v_cmp_lt_u32_e32 vcc, s57, v0
	v_mov_b32_e32 v2, 0
	v_mov_b32_e32 v3, 0
	s_and_saveexec_b64 s[28:29], vcc
	s_cbranch_execz .LBB6_24208
; %bb.24201:                            ;   in Loop: Header=BB6_20708 Depth=3
	v_lshrrev_b32_e32 v1, 24, v0
	v_cmp_ne_u32_e32 vcc, s97, v1
	v_bfrev_b32_e32 v3, 1
	s_and_saveexec_b64 s[30:31], vcc
	s_cbranch_execz .LBB6_24207
; %bb.24202:                            ;   in Loop: Header=BB6_20708 Depth=3
	v_and_b32_e32 v3, 0x7c000000, v0
	v_bfe_u32 v5, v0, 24, 2
	v_cmp_ne_u32_e32 vcc, s68, v3
                                        ; implicit-def: $vgpr3
	s_and_saveexec_b64 s[62:63], vcc
	s_xor_b64 s[34:35], exec, s[62:63]
	s_cbranch_execz .LBB6_24204
; %bb.24203:                            ;   in Loop: Header=BB6_20708 Depth=3
	v_ffbh_u32_e32 v7, v5
	v_min_u32_e32 v7, 32, v7
	v_subrev_u32_e32 v16, 29, v7
	v_bfe_u32 v3, v0, 26, 5
	v_lshlrev_b64 v[20:21], v16, v[1:2]
	v_sub_u32_e32 v1, 30, v7
	v_cmp_eq_u32_e32 vcc, 0, v3
	v_and_b32_e32 v7, 3, v20
	v_cndmask_b32_e32 v1, v3, v1, vcc
	v_and_b32_e32 v0, 0x80000000, v0
	v_cndmask_b32_e32 v3, v5, v7, vcc
	v_lshl_add_u32 v0, v1, 23, v0
	v_lshl_or_b32 v0, v3, 21, v0
	v_add_u32_e32 v3, 0x38000000, v0
                                        ; implicit-def: $vgpr5
                                        ; implicit-def: $vgpr0_vgpr1
.LBB6_24204:                            ;   in Loop: Header=BB6_20708 Depth=3
	s_andn2_saveexec_b64 s[34:35], s[34:35]
; %bb.24205:                            ;   in Loop: Header=BB6_20708 Depth=3
	v_cmp_lt_i32_e32 vcc, -1, v0
	v_mov_b32_e32 v0, 0xff800000
	v_mov_b32_e32 v1, 0x7f800000
	v_cndmask_b32_e32 v0, v0, v1, vcc
	v_cmp_eq_u32_e32 vcc, 0, v5
	v_mov_b32_e32 v1, 0x7f800001
	v_cndmask_b32_e32 v3, v1, v0, vcc
; %bb.24206:                            ;   in Loop: Header=BB6_20708 Depth=3
	s_or_b64 exec, exec, s[34:35]
.LBB6_24207:                            ;   in Loop: Header=BB6_20708 Depth=3
	s_or_b64 exec, exec, s[30:31]
.LBB6_24208:                            ;   in Loop: Header=BB6_20708 Depth=3
	s_or_b64 exec, exec, s[28:29]
	v_cmp_lt_u64_e32 vcc, s[56:57], v[14:15]
	s_and_saveexec_b64 s[28:29], vcc
	s_cbranch_execz .LBB6_24216
; %bb.24209:                            ;   in Loop: Header=BB6_20708 Depth=3
	v_lshrrev_b32_e32 v0, 24, v15
	v_cmp_ne_u32_e32 vcc, s97, v0
	v_bfrev_b32_e32 v2, 1
	s_and_saveexec_b64 s[30:31], vcc
	s_cbranch_execz .LBB6_24215
; %bb.24210:                            ;   in Loop: Header=BB6_20708 Depth=3
	v_and_b32_e32 v2, 0x7c000000, v15
	v_bfe_u32 v1, v15, 24, 2
	v_cmp_ne_u32_e32 vcc, s68, v2
                                        ; implicit-def: $vgpr2
	s_and_saveexec_b64 s[62:63], vcc
	s_xor_b64 s[34:35], exec, s[62:63]
	s_cbranch_execz .LBB6_24212
; %bb.24211:                            ;   in Loop: Header=BB6_20708 Depth=3
	v_ffbh_u32_e32 v5, v1
	v_min_u32_e32 v5, 32, v5
	v_subrev_u32_e32 v7, 29, v5
	v_bfe_u32 v2, v15, 26, 5
	v_lshlrev_b64 v[20:21], v7, v[0:1]
	v_sub_u32_e32 v0, 30, v5
	v_cmp_eq_u32_e32 vcc, 0, v2
	v_and_b32_e32 v5, 3, v20
	v_cndmask_b32_e32 v0, v2, v0, vcc
	v_and_b32_e32 v2, 0x80000000, v15
	v_cndmask_b32_e32 v1, v1, v5, vcc
	v_lshl_add_u32 v0, v0, 23, v2
	v_lshl_or_b32 v0, v1, 21, v0
	v_add_u32_e32 v2, 0x38000000, v0
                                        ; implicit-def: $vgpr1
                                        ; implicit-def: $vgpr14_vgpr15
.LBB6_24212:                            ;   in Loop: Header=BB6_20708 Depth=3
	s_andn2_saveexec_b64 s[34:35], s[34:35]
; %bb.24213:                            ;   in Loop: Header=BB6_20708 Depth=3
	v_cmp_lt_i64_e32 vcc, -1, v[14:15]
	v_mov_b32_e32 v0, 0xff800000
	v_mov_b32_e32 v2, 0x7f800000
	v_cndmask_b32_e32 v0, v0, v2, vcc
	v_cmp_eq_u32_e32 vcc, 0, v1
	v_mov_b32_e32 v1, 0x7f800001
	v_cndmask_b32_e32 v2, v1, v0, vcc
; %bb.24214:                            ;   in Loop: Header=BB6_20708 Depth=3
	s_or_b64 exec, exec, s[34:35]
.LBB6_24215:                            ;   in Loop: Header=BB6_20708 Depth=3
	s_or_b64 exec, exec, s[30:31]
.LBB6_24216:                            ;   in Loop: Header=BB6_20708 Depth=3
	s_or_b64 exec, exec, s[28:29]
	v_add_f32_e32 v2, v3, v2
	v_and_b32_e32 v14, 0x7f800000, v2
	v_mov_b32_e32 v15, v33
	v_cmp_ne_u64_e32 vcc, s[76:77], v[14:15]
	v_and_b32_e32 v0, 0x7fffff, v2
	v_mov_b32_e32 v1, v33
                                        ; implicit-def: $vgpr14
	s_and_saveexec_b64 s[28:29], vcc
	s_xor_b64 s[30:31], exec, s[28:29]
	s_cbranch_execz .LBB6_24230
; %bb.24217:                            ;   in Loop: Header=BB6_20708 Depth=3
	v_and_b32_e32 v14, 0x7fffffff, v2
	v_mov_b32_e32 v15, v33
	v_cmp_gt_u64_e32 vcc, s[78:79], v[14:15]
	v_and_b32_sdwa v3, v2, s97 dst_sel:DWORD dst_unused:UNUSED_PAD src0_sel:BYTE_3 src1_sel:DWORD
                                        ; implicit-def: $vgpr14
	s_and_saveexec_b64 s[28:29], vcc
	s_xor_b64 s[34:35], exec, s[28:29]
	s_cbranch_execz .LBB6_24227
; %bb.24218:                            ;   in Loop: Header=BB6_20708 Depth=3
	v_mov_b32_e32 v14, 0
	v_cmp_ne_u32_e32 vcc, 0, v2
	s_and_saveexec_b64 s[36:37], vcc
	s_cbranch_execz .LBB6_24226
; %bb.24219:                            ;   in Loop: Header=BB6_20708 Depth=3
	v_bfe_u32 v5, v2, 23, 8
	v_cmp_gt_u32_e64 s[28:29], s47, v5
	v_sub_u32_e32 v2, 0x71, v5
	v_cmp_eq_u32_e32 vcc, 0, v5
	v_cndmask_b32_e64 v2, 0, v2, s[28:29]
	v_mov_b32_e32 v14, 0x70
	v_cndmask_b32_e32 v14, v2, v14, vcc
	v_add_u32_e32 v2, 21, v14
	v_or_b32_e32 v7, 0x800000, v0
	v_lshlrev_b64 v[20:21], v2, -1
	v_cndmask_b32_e32 v0, v7, v0, vcc
	v_add_u32_e32 v2, 20, v14
	v_bfi_b32 v20, v20, 0, v0
	v_lshlrev_b64 v[22:23], v2, 1
	v_lshrrev_b64 v[0:1], v14, v[0:1]
	v_bfi_b32 v21, v21, 0, 0
	v_cmp_eq_u64_e64 s[28:29], v[20:21], v[22:23]
	v_mov_b32_e32 v2, v1
	v_mov_b32_e32 v1, v0
	s_and_saveexec_b64 s[38:39], s[28:29]
; %bb.24220:                            ;   in Loop: Header=BB6_20708 Depth=3
	v_bfe_u32 v1, v0, 21, 1
	v_add_co_u32_e64 v1, s[28:29], v0, v1
	v_add_co_u32_e64 v1, s[28:29], -1, v1
; %bb.24221:                            ;   in Loop: Header=BB6_20708 Depth=3
	s_or_b64 exec, exec, s[38:39]
	v_add_u32_e32 v2, 0xffffff81, v5
	v_mov_b32_e32 v5, 0xffffff82
	v_cndmask_b32_e32 v2, v2, v5, vcc
	v_lshrrev_b32_e32 v5, 23, v0
	v_add3_u32 v7, v14, v2, v5
	v_add_u32_e32 v5, 14, v7
	v_and_b32_e32 v1, 0x1fffff, v1
	v_add_u32_e32 v0, v1, v0
	v_mov_b32_e32 v1, v33
	v_cmp_ne_u32_e32 vcc, 0, v5
                                        ; implicit-def: $vgpr2
	s_and_saveexec_b64 s[28:29], vcc
	s_xor_b64 s[28:29], exec, s[28:29]
; %bb.24222:                            ;   in Loop: Header=BB6_20708 Depth=3
	v_cmp_lt_u64_e32 vcc, s[88:89], v[0:1]
	v_add_u32_e32 v2, 15, v7
	v_cndmask_b32_e32 v2, v5, v2, vcc
	v_cndmask_b32_e64 v5, 0, 1, vcc
	v_lshrrev_b64 v[0:1], v5, v[0:1]
; %bb.24223:                            ;   in Loop: Header=BB6_20708 Depth=3
	s_andn2_saveexec_b64 s[28:29], s[28:29]
; %bb.24224:                            ;   in Loop: Header=BB6_20708 Depth=3
	v_bfe_u32 v2, v0, 23, 1
; %bb.24225:                            ;   in Loop: Header=BB6_20708 Depth=3
	s_or_b64 exec, exec, s[28:29]
	v_lshrrev_b64 v[0:1], 21, v[0:1]
	v_cmp_gt_i32_e32 vcc, 32, v2
	v_cndmask_b32_e32 v1, 0, v1, vcc
	v_cndmask_b32_e32 v0, 3, v0, vcc
	v_cmp_eq_u64_e64 s[28:29], 0, v[0:1]
	v_min_i32_e32 v1, 31, v2
	v_lshlrev_b32_e32 v1, 2, v1
	v_cmp_eq_u32_e32 vcc, 0, v2
	v_and_b32_e32 v1, 0xfc, v1
	v_and_or_b32 v0, v0, 3, v1
	s_and_b64 s[28:29], vcc, s[28:29]
	v_cndmask_b32_e64 v0, v0, 0, s[28:29]
	v_or_b32_e32 v14, v0, v3
.LBB6_24226:                            ;   in Loop: Header=BB6_20708 Depth=3
	s_or_b64 exec, exec, s[36:37]
                                        ; implicit-def: $vgpr3
.LBB6_24227:                            ;   in Loop: Header=BB6_20708 Depth=3
	s_andn2_saveexec_b64 s[28:29], s[34:35]
; %bb.24228:                            ;   in Loop: Header=BB6_20708 Depth=3
	v_or_b32_e32 v14, 0x7b, v3
; %bb.24229:                            ;   in Loop: Header=BB6_20708 Depth=3
	s_or_b64 exec, exec, s[28:29]
                                        ; implicit-def: $vgpr2
                                        ; implicit-def: $vgpr0_vgpr1
.LBB6_24230:                            ;   in Loop: Header=BB6_20708 Depth=3
	s_andn2_saveexec_b64 s[28:29], s[30:31]
	s_cbranch_execz .LBB6_24236
; %bb.24231:                            ;   in Loop: Header=BB6_20708 Depth=3
	v_cmp_ne_u64_e32 vcc, 0, v[0:1]
                                        ; implicit-def: $vgpr14
	s_and_saveexec_b64 s[62:63], vcc
	s_xor_b64 vcc, exec, s[62:63]
; %bb.24232:                            ;   in Loop: Header=BB6_20708 Depth=3
	v_or_b32_sdwa v14, v2, s44 dst_sel:DWORD dst_unused:UNUSED_PAD src0_sel:BYTE_3 src1_sel:DWORD
                                        ; implicit-def: $vgpr2
; %bb.24233:                            ;   in Loop: Header=BB6_20708 Depth=3
	s_andn2_saveexec_b64 s[30:31], vcc
; %bb.24234:                            ;   in Loop: Header=BB6_20708 Depth=3
	v_cmp_lt_i32_e32 vcc, -1, v2
	v_bfrev_b32_e32 v0, 0.5
	v_mov_b32_e32 v1, 0x7c
	v_cndmask_b32_e32 v14, v0, v1, vcc
; %bb.24235:                            ;   in Loop: Header=BB6_20708 Depth=3
	s_or_b64 exec, exec, s[30:31]
.LBB6_24236:                            ;   in Loop: Header=BB6_20708 Depth=3
	s_or_b64 exec, exec, s[28:29]
	buffer_load_dword v0, off, s[0:3], s33 offset:180 ; 4-byte Folded Reload
	buffer_load_dword v1, off, s[0:3], s33 offset:220 ; 4-byte Folded Reload
	v_cmp_ne_u32_e32 vcc, 0, v35
	v_mov_b32_e32 v2, 0
	v_mov_b32_e32 v3, 0
	s_waitcnt vmcnt(1)
	v_lshl_or_b32 v5, v0, 8, v35
	buffer_load_dword v0, off, s[0:3], s33 offset:204 ; 4-byte Folded Reload
	s_waitcnt vmcnt(1)
	v_lshlrev_b32_e32 v1, 24, v1
	s_waitcnt vmcnt(0)
	v_lshlrev_b32_e32 v0, 16, v0
	v_or3_b32 v0, v0, v1, v5
	v_mov_b32_e32 v1, v33
	s_and_saveexec_b64 s[30:31], vcc
	s_cbranch_execz .LBB6_24244
; %bb.24237:                            ;   in Loop: Header=BB6_20708 Depth=3
	v_cmp_ne_u32_e32 vcc, s97, v35
	v_bfrev_b32_e32 v3, 1
	s_and_saveexec_b64 s[34:35], vcc
	s_cbranch_execz .LBB6_24243
; %bb.24238:                            ;   in Loop: Header=BB6_20708 Depth=3
	v_and_b32_e32 v3, 0x7c, v35
	v_and_b32_e32 v7, 3, v35
	v_cmp_ne_u32_e32 vcc, s86, v3
                                        ; implicit-def: $vgpr3
	s_and_saveexec_b64 s[28:29], vcc
	s_xor_b64 s[28:29], exec, s[28:29]
	s_cbranch_execz .LBB6_24240
; %bb.24239:                            ;   in Loop: Header=BB6_20708 Depth=3
	v_ffbh_u32_e32 v15, v7
	v_min_u32_e32 v15, 32, v15
	v_subrev_u32_e32 v16, 29, v15
	v_lshlrev_b64 v[20:21], v16, v[0:1]
	v_bfe_u32 v3, v35, 2, 5
	v_sub_u32_e32 v1, 30, v15
	v_and_b32_e32 v15, 3, v20
	v_cmp_eq_u32_e32 vcc, 0, v3
	v_cndmask_b32_e32 v1, v3, v1, vcc
	v_cndmask_b32_e32 v3, v7, v15, vcc
	v_lshlrev_b32_e32 v7, 24, v35
	v_and_b32_e32 v7, 0x80000000, v7
	v_lshl_add_u32 v1, v1, 23, v7
	v_lshl_or_b32 v1, v3, 21, v1
	v_add_u32_e32 v3, 0x38000000, v1
                                        ; implicit-def: $vgpr7
                                        ; implicit-def: $vgpr35
.LBB6_24240:                            ;   in Loop: Header=BB6_20708 Depth=3
	s_andn2_saveexec_b64 s[36:37], s[28:29]
; %bb.24241:                            ;   in Loop: Header=BB6_20708 Depth=3
	v_and_b32_e32 v1, 0x80, v35
	v_cmp_eq_u32_e64 s[28:29], 0, v1
	v_mov_b32_e32 v1, 0xff800000
	v_mov_b32_e32 v3, 0x7f800000
	v_cmp_eq_u32_e32 vcc, 0, v7
	v_cndmask_b32_e64 v1, v1, v3, s[28:29]
	v_mov_b32_e32 v3, 0x7f800001
	v_cndmask_b32_e32 v3, v3, v1, vcc
; %bb.24242:                            ;   in Loop: Header=BB6_20708 Depth=3
	s_or_b64 exec, exec, s[36:37]
.LBB6_24243:                            ;   in Loop: Header=BB6_20708 Depth=3
	s_or_b64 exec, exec, s[34:35]
.LBB6_24244:                            ;   in Loop: Header=BB6_20708 Depth=3
	s_or_b64 exec, exec, s[30:31]
	v_cmp_ne_u16_sdwa s[62:63], v8, v33 src0_sel:BYTE_0 src1_sel:DWORD
	s_and_saveexec_b64 s[28:29], s[62:63]
	s_cbranch_execz .LBB6_24252
; %bb.24245:                            ;   in Loop: Header=BB6_20708 Depth=3
	v_cmp_ne_u16_sdwa s[62:63], sext(v8), s46 src0_sel:BYTE_0 src1_sel:DWORD
	v_bfrev_b32_e32 v2, 1
	s_and_saveexec_b64 s[30:31], s[62:63]
	s_cbranch_execz .LBB6_24251
; %bb.24246:                            ;   in Loop: Header=BB6_20708 Depth=3
	v_and_b32_e32 v2, 0x7c, v8
	v_and_b32_e32 v1, 3, v8
	v_cmp_ne_u32_e32 vcc, s86, v2
                                        ; implicit-def: $vgpr2
	s_and_saveexec_b64 s[62:63], vcc
	s_xor_b64 s[34:35], exec, s[62:63]
	s_cbranch_execz .LBB6_24248
; %bb.24247:                            ;   in Loop: Header=BB6_20708 Depth=3
	v_ffbh_u32_e32 v7, v1
	v_min_u32_e32 v7, 32, v7
	v_bfe_u32 v2, v8, 2, 5
	v_subrev_u32_e32 v15, 29, v7
	v_lshlrev_b64 v[20:21], v15, v[8:9]
	v_sub_u32_e32 v7, 30, v7
	v_cmp_eq_u32_e32 vcc, 0, v2
	v_cndmask_b32_e32 v2, v2, v7, vcc
	v_lshlrev_b32_e32 v7, 24, v8
	v_and_b32_e32 v15, 3, v20
	v_and_b32_e32 v7, 0x80000000, v7
	v_cndmask_b32_e32 v1, v1, v15, vcc
	v_lshl_add_u32 v2, v2, 23, v7
	v_lshl_or_b32 v1, v1, 21, v2
	v_add_u32_e32 v2, 0x38000000, v1
                                        ; implicit-def: $vgpr1
.LBB6_24248:                            ;   in Loop: Header=BB6_20708 Depth=3
	s_andn2_saveexec_b64 s[34:35], s[34:35]
; %bb.24249:                            ;   in Loop: Header=BB6_20708 Depth=3
	v_mov_b32_e32 v2, -1
	v_cmp_gt_i16_sdwa vcc, sext(v8), v2 src0_sel:BYTE_0 src1_sel:DWORD
	v_mov_b32_e32 v2, 0xff800000
	v_mov_b32_e32 v7, 0x7f800000
	v_cndmask_b32_e32 v2, v2, v7, vcc
	v_cmp_eq_u32_e32 vcc, 0, v1
	v_mov_b32_e32 v1, 0x7f800001
	v_cndmask_b32_e32 v2, v1, v2, vcc
; %bb.24250:                            ;   in Loop: Header=BB6_20708 Depth=3
	s_or_b64 exec, exec, s[34:35]
.LBB6_24251:                            ;   in Loop: Header=BB6_20708 Depth=3
	s_or_b64 exec, exec, s[30:31]
.LBB6_24252:                            ;   in Loop: Header=BB6_20708 Depth=3
	s_or_b64 exec, exec, s[28:29]
	v_add_f32_e32 v3, v3, v2
	v_and_b32_e32 v20, 0x7f800000, v3
	v_mov_b32_e32 v21, v33
	v_cmp_ne_u64_e32 vcc, s[76:77], v[20:21]
	v_and_b32_e32 v1, 0x7fffff, v3
	v_mov_b32_e32 v2, v33
                                        ; implicit-def: $vgpr15
	s_and_saveexec_b64 s[28:29], vcc
	s_xor_b64 s[30:31], exec, s[28:29]
	s_cbranch_execz .LBB6_24266
; %bb.24253:                            ;   in Loop: Header=BB6_20708 Depth=3
	v_and_b32_e32 v20, 0x7fffffff, v3
	v_mov_b32_e32 v21, v33
	v_cmp_gt_u64_e32 vcc, s[78:79], v[20:21]
	v_and_b32_sdwa v20, v3, s97 dst_sel:DWORD dst_unused:UNUSED_PAD src0_sel:BYTE_3 src1_sel:DWORD
                                        ; implicit-def: $vgpr15
	s_and_saveexec_b64 s[28:29], vcc
	s_xor_b64 s[34:35], exec, s[28:29]
	s_cbranch_execz .LBB6_24263
; %bb.24254:                            ;   in Loop: Header=BB6_20708 Depth=3
	v_mov_b32_e32 v15, 0
	v_cmp_ne_u32_e32 vcc, 0, v3
	s_and_saveexec_b64 s[36:37], vcc
	s_cbranch_execz .LBB6_24262
; %bb.24255:                            ;   in Loop: Header=BB6_20708 Depth=3
	v_bfe_u32 v15, v3, 23, 8
	v_cmp_gt_u32_e64 s[28:29], s47, v15
	v_sub_u32_e32 v3, 0x71, v15
	v_cmp_eq_u32_e32 vcc, 0, v15
	v_cndmask_b32_e64 v3, 0, v3, s[28:29]
	v_mov_b32_e32 v16, 0x70
	v_cndmask_b32_e32 v21, v3, v16, vcc
	v_add_u32_e32 v3, 21, v21
	v_or_b32_e32 v7, 0x800000, v1
	v_lshlrev_b64 v[22:23], v3, -1
	v_cndmask_b32_e32 v1, v7, v1, vcc
	v_add_u32_e32 v3, 20, v21
	v_bfi_b32 v22, v22, 0, v1
	v_lshlrev_b64 v[35:36], v3, 1
	v_lshrrev_b64 v[1:2], v21, v[1:2]
	v_bfi_b32 v23, v23, 0, 0
	v_cmp_eq_u64_e64 s[28:29], v[22:23], v[35:36]
	v_mov_b32_e32 v3, v2
	v_mov_b32_e32 v2, v1
	s_and_saveexec_b64 s[38:39], s[28:29]
; %bb.24256:                            ;   in Loop: Header=BB6_20708 Depth=3
	v_bfe_u32 v2, v1, 21, 1
	v_add_co_u32_e64 v2, s[28:29], v1, v2
	v_add_co_u32_e64 v2, s[28:29], -1, v2
; %bb.24257:                            ;   in Loop: Header=BB6_20708 Depth=3
	s_or_b64 exec, exec, s[38:39]
	v_add_u32_e32 v3, 0xffffff81, v15
	v_mov_b32_e32 v7, 0xffffff82
	v_cndmask_b32_e32 v3, v3, v7, vcc
	v_lshrrev_b32_e32 v7, 23, v1
	v_add3_u32 v15, v21, v3, v7
	v_add_u32_e32 v7, 14, v15
	v_and_b32_e32 v2, 0x1fffff, v2
	v_add_u32_e32 v1, v2, v1
	v_mov_b32_e32 v2, v33
	v_cmp_ne_u32_e32 vcc, 0, v7
                                        ; implicit-def: $vgpr3
	s_and_saveexec_b64 s[28:29], vcc
	s_xor_b64 s[28:29], exec, s[28:29]
; %bb.24258:                            ;   in Loop: Header=BB6_20708 Depth=3
	v_cmp_lt_u64_e32 vcc, s[88:89], v[1:2]
	v_add_u32_e32 v3, 15, v15
	v_cndmask_b32_e32 v3, v7, v3, vcc
	v_cndmask_b32_e64 v7, 0, 1, vcc
	v_lshrrev_b64 v[1:2], v7, v[1:2]
; %bb.24259:                            ;   in Loop: Header=BB6_20708 Depth=3
	s_andn2_saveexec_b64 s[28:29], s[28:29]
; %bb.24260:                            ;   in Loop: Header=BB6_20708 Depth=3
	v_bfe_u32 v3, v1, 23, 1
; %bb.24261:                            ;   in Loop: Header=BB6_20708 Depth=3
	s_or_b64 exec, exec, s[28:29]
	v_lshrrev_b64 v[1:2], 21, v[1:2]
	v_cmp_gt_i32_e32 vcc, 32, v3
	v_cndmask_b32_e32 v2, 0, v2, vcc
	v_cndmask_b32_e32 v1, 3, v1, vcc
	v_cmp_eq_u64_e64 s[28:29], 0, v[1:2]
	v_min_i32_e32 v2, 31, v3
	v_lshlrev_b32_e32 v2, 2, v2
	v_cmp_eq_u32_e32 vcc, 0, v3
	v_and_b32_e32 v2, 0xfc, v2
	v_and_or_b32 v1, v1, 3, v2
	s_and_b64 s[28:29], vcc, s[28:29]
	v_cndmask_b32_e64 v1, v1, 0, s[28:29]
	v_or_b32_e32 v15, v1, v20
.LBB6_24262:                            ;   in Loop: Header=BB6_20708 Depth=3
	s_or_b64 exec, exec, s[36:37]
                                        ; implicit-def: $vgpr20
.LBB6_24263:                            ;   in Loop: Header=BB6_20708 Depth=3
	s_andn2_saveexec_b64 s[28:29], s[34:35]
; %bb.24264:                            ;   in Loop: Header=BB6_20708 Depth=3
	v_or_b32_e32 v15, 0x7b, v20
; %bb.24265:                            ;   in Loop: Header=BB6_20708 Depth=3
	s_or_b64 exec, exec, s[28:29]
                                        ; implicit-def: $vgpr3
                                        ; implicit-def: $vgpr1_vgpr2
.LBB6_24266:                            ;   in Loop: Header=BB6_20708 Depth=3
	s_andn2_saveexec_b64 s[28:29], s[30:31]
	s_cbranch_execz .LBB6_24272
; %bb.24267:                            ;   in Loop: Header=BB6_20708 Depth=3
	v_cmp_ne_u64_e32 vcc, 0, v[1:2]
                                        ; implicit-def: $vgpr15
	s_and_saveexec_b64 s[62:63], vcc
	s_xor_b64 vcc, exec, s[62:63]
; %bb.24268:                            ;   in Loop: Header=BB6_20708 Depth=3
	v_or_b32_sdwa v15, v3, s44 dst_sel:DWORD dst_unused:UNUSED_PAD src0_sel:BYTE_3 src1_sel:DWORD
                                        ; implicit-def: $vgpr3
; %bb.24269:                            ;   in Loop: Header=BB6_20708 Depth=3
	s_andn2_saveexec_b64 s[30:31], vcc
; %bb.24270:                            ;   in Loop: Header=BB6_20708 Depth=3
	v_cmp_lt_i32_e32 vcc, -1, v3
	v_bfrev_b32_e32 v1, 0.5
	v_mov_b32_e32 v2, 0x7c
	v_cndmask_b32_e32 v15, v1, v2, vcc
; %bb.24271:                            ;   in Loop: Header=BB6_20708 Depth=3
	s_or_b64 exec, exec, s[30:31]
.LBB6_24272:                            ;   in Loop: Header=BB6_20708 Depth=3
	s_or_b64 exec, exec, s[28:29]
	v_lshrrev_b16_e32 v1, 8, v5
	v_cmp_ne_u16_e32 vcc, 0, v1
	v_mov_b32_e32 v3, 0
	v_mov_b32_e32 v20, 0
	s_and_saveexec_b64 s[28:29], vcc
	s_cbranch_execz .LBB6_24280
; %bb.24273:                            ;   in Loop: Header=BB6_20708 Depth=3
	v_cmp_ne_u16_e32 vcc, s97, v1
	v_bfrev_b32_e32 v20, 1
	s_and_saveexec_b64 s[30:31], vcc
	s_cbranch_execz .LBB6_24279
; %bb.24274:                            ;   in Loop: Header=BB6_20708 Depth=3
	v_and_b32_e32 v2, 0x7c, v1
	v_and_b32_e32 v7, 3, v1
	v_cmp_ne_u32_e32 vcc, s86, v2
                                        ; implicit-def: $vgpr20
	s_and_saveexec_b64 s[62:63], vcc
	s_xor_b64 s[34:35], exec, s[62:63]
	s_cbranch_execz .LBB6_24276
; %bb.24275:                            ;   in Loop: Header=BB6_20708 Depth=3
	v_ffbh_u32_e32 v17, v7
	v_min_u32_e32 v17, 32, v17
	v_mov_b32_e32 v2, v33
	v_subrev_u32_e32 v20, 29, v17
	v_bfe_u32 v16, v1, 2, 5
	v_lshlrev_b64 v[1:2], v20, v[1:2]
	v_sub_u32_e32 v2, 30, v17
	v_cmp_eq_u32_e32 vcc, 0, v16
	v_lshlrev_b32_e32 v5, 16, v5
	v_and_b32_e32 v1, 3, v1
	v_cndmask_b32_e32 v2, v16, v2, vcc
	v_and_b32_e32 v5, 0x80000000, v5
	v_cndmask_b32_e32 v1, v7, v1, vcc
	v_lshl_add_u32 v2, v2, 23, v5
	v_lshl_or_b32 v1, v1, 21, v2
	v_add_u32_e32 v20, 0x38000000, v1
                                        ; implicit-def: $vgpr7
                                        ; implicit-def: $vgpr5
.LBB6_24276:                            ;   in Loop: Header=BB6_20708 Depth=3
	s_andn2_saveexec_b64 s[34:35], s[34:35]
; %bb.24277:                            ;   in Loop: Header=BB6_20708 Depth=3
	v_cmp_lt_i16_e32 vcc, -1, v5
	v_mov_b32_e32 v1, 0xff800000
	v_mov_b32_e32 v2, 0x7f800000
	v_cndmask_b32_e32 v1, v1, v2, vcc
	v_cmp_eq_u32_e32 vcc, 0, v7
	v_mov_b32_e32 v2, 0x7f800001
	v_cndmask_b32_e32 v20, v2, v1, vcc
; %bb.24278:                            ;   in Loop: Header=BB6_20708 Depth=3
	s_or_b64 exec, exec, s[34:35]
.LBB6_24279:                            ;   in Loop: Header=BB6_20708 Depth=3
	s_or_b64 exec, exec, s[30:31]
.LBB6_24280:                            ;   in Loop: Header=BB6_20708 Depth=3
	s_or_b64 exec, exec, s[28:29]
	v_lshrrev_b16_e32 v1, 8, v8
	v_cmp_ne_u16_e32 vcc, 0, v1
	s_and_saveexec_b64 s[28:29], vcc
	s_cbranch_execz .LBB6_24288
; %bb.24281:                            ;   in Loop: Header=BB6_20708 Depth=3
	v_cmp_ne_u16_e32 vcc, s97, v1
	v_bfrev_b32_e32 v3, 1
	s_and_saveexec_b64 s[30:31], vcc
	s_cbranch_execz .LBB6_24287
; %bb.24282:                            ;   in Loop: Header=BB6_20708 Depth=3
	v_and_b32_e32 v2, 0x7c, v1
	v_and_b32_e32 v5, 3, v1
	v_cmp_ne_u32_e32 vcc, s86, v2
                                        ; implicit-def: $vgpr3
	s_and_saveexec_b64 s[62:63], vcc
	s_xor_b64 s[34:35], exec, s[62:63]
	s_cbranch_execz .LBB6_24284
; %bb.24283:                            ;   in Loop: Header=BB6_20708 Depth=3
	v_ffbh_u32_e32 v7, v5
	v_min_u32_e32 v7, 32, v7
	v_mov_b32_e32 v2, v33
	v_subrev_u32_e32 v16, 29, v7
	v_bfe_u32 v3, v1, 2, 5
	v_lshlrev_b64 v[1:2], v16, v[1:2]
	v_sub_u32_e32 v2, 30, v7
	v_cmp_eq_u32_e32 vcc, 0, v3
	v_cndmask_b32_e32 v2, v3, v2, vcc
	v_lshlrev_b32_e32 v3, 16, v8
	v_and_b32_e32 v1, 3, v1
	v_and_b32_e32 v3, 0x80000000, v3
	v_cndmask_b32_e32 v1, v5, v1, vcc
	v_lshl_add_u32 v2, v2, 23, v3
	v_lshl_or_b32 v1, v1, 21, v2
	v_add_u32_e32 v3, 0x38000000, v1
                                        ; implicit-def: $vgpr5
.LBB6_24284:                            ;   in Loop: Header=BB6_20708 Depth=3
	s_andn2_saveexec_b64 s[34:35], s[34:35]
; %bb.24285:                            ;   in Loop: Header=BB6_20708 Depth=3
	v_cmp_lt_i16_e32 vcc, -1, v8
	v_mov_b32_e32 v1, 0xff800000
	v_mov_b32_e32 v2, 0x7f800000
	v_cndmask_b32_e32 v1, v1, v2, vcc
	v_cmp_eq_u32_e32 vcc, 0, v5
	v_mov_b32_e32 v2, 0x7f800001
	v_cndmask_b32_e32 v3, v2, v1, vcc
; %bb.24286:                            ;   in Loop: Header=BB6_20708 Depth=3
	s_or_b64 exec, exec, s[34:35]
.LBB6_24287:                            ;   in Loop: Header=BB6_20708 Depth=3
	s_or_b64 exec, exec, s[30:31]
.LBB6_24288:                            ;   in Loop: Header=BB6_20708 Depth=3
	s_or_b64 exec, exec, s[28:29]
	v_add_f32_e32 v3, v20, v3
	v_and_b32_e32 v20, 0x7f800000, v3
	v_mov_b32_e32 v21, v33
	v_cmp_ne_u64_e32 vcc, s[76:77], v[20:21]
	v_and_b32_e32 v1, 0x7fffff, v3
	v_mov_b32_e32 v2, v33
                                        ; implicit-def: $vgpr35
	s_and_saveexec_b64 s[28:29], vcc
	s_xor_b64 s[30:31], exec, s[28:29]
	s_cbranch_execz .LBB6_24302
; %bb.24289:                            ;   in Loop: Header=BB6_20708 Depth=3
	v_and_b32_e32 v20, 0x7fffffff, v3
	v_mov_b32_e32 v21, v33
	v_cmp_gt_u64_e32 vcc, s[78:79], v[20:21]
	v_and_b32_sdwa v5, v3, s97 dst_sel:DWORD dst_unused:UNUSED_PAD src0_sel:BYTE_3 src1_sel:DWORD
                                        ; implicit-def: $vgpr35
	s_and_saveexec_b64 s[28:29], vcc
	s_xor_b64 s[34:35], exec, s[28:29]
	s_cbranch_execz .LBB6_24299
; %bb.24290:                            ;   in Loop: Header=BB6_20708 Depth=3
	v_mov_b32_e32 v35, 0
	v_cmp_ne_u32_e32 vcc, 0, v3
	s_and_saveexec_b64 s[36:37], vcc
	s_cbranch_execz .LBB6_24298
; %bb.24291:                            ;   in Loop: Header=BB6_20708 Depth=3
	v_bfe_u32 v20, v3, 23, 8
	v_cmp_gt_u32_e64 s[28:29], s47, v20
	v_sub_u32_e32 v3, 0x71, v20
	v_cmp_eq_u32_e32 vcc, 0, v20
	v_cndmask_b32_e64 v3, 0, v3, s[28:29]
	v_mov_b32_e32 v16, 0x70
	v_cndmask_b32_e32 v21, v3, v16, vcc
	v_add_u32_e32 v3, 21, v21
	v_or_b32_e32 v7, 0x800000, v1
	v_lshlrev_b64 v[22:23], v3, -1
	v_cndmask_b32_e32 v1, v7, v1, vcc
	v_add_u32_e32 v3, 20, v21
	v_bfi_b32 v22, v22, 0, v1
	v_lshlrev_b64 v[35:36], v3, 1
	v_lshrrev_b64 v[1:2], v21, v[1:2]
	v_bfi_b32 v23, v23, 0, 0
	v_cmp_eq_u64_e64 s[28:29], v[22:23], v[35:36]
	v_mov_b32_e32 v3, v2
	v_mov_b32_e32 v2, v1
	s_and_saveexec_b64 s[38:39], s[28:29]
; %bb.24292:                            ;   in Loop: Header=BB6_20708 Depth=3
	v_bfe_u32 v2, v1, 21, 1
	v_add_co_u32_e64 v2, s[28:29], v1, v2
	v_add_co_u32_e64 v2, s[28:29], -1, v2
; %bb.24293:                            ;   in Loop: Header=BB6_20708 Depth=3
	s_or_b64 exec, exec, s[38:39]
	v_add_u32_e32 v3, 0xffffff81, v20
	v_mov_b32_e32 v7, 0xffffff82
	v_cndmask_b32_e32 v3, v3, v7, vcc
	v_lshrrev_b32_e32 v7, 23, v1
	v_add3_u32 v20, v21, v3, v7
	v_add_u32_e32 v7, 14, v20
	v_and_b32_e32 v2, 0x1fffff, v2
	v_add_u32_e32 v1, v2, v1
	v_mov_b32_e32 v2, v33
	v_cmp_ne_u32_e32 vcc, 0, v7
                                        ; implicit-def: $vgpr3
	s_and_saveexec_b64 s[28:29], vcc
	s_xor_b64 s[28:29], exec, s[28:29]
; %bb.24294:                            ;   in Loop: Header=BB6_20708 Depth=3
	v_cmp_lt_u64_e32 vcc, s[88:89], v[1:2]
	v_add_u32_e32 v3, 15, v20
	v_cndmask_b32_e32 v3, v7, v3, vcc
	v_cndmask_b32_e64 v7, 0, 1, vcc
	v_lshrrev_b64 v[1:2], v7, v[1:2]
; %bb.24295:                            ;   in Loop: Header=BB6_20708 Depth=3
	s_andn2_saveexec_b64 s[28:29], s[28:29]
; %bb.24296:                            ;   in Loop: Header=BB6_20708 Depth=3
	v_bfe_u32 v3, v1, 23, 1
; %bb.24297:                            ;   in Loop: Header=BB6_20708 Depth=3
	s_or_b64 exec, exec, s[28:29]
	v_lshrrev_b64 v[1:2], 21, v[1:2]
	v_cmp_gt_i32_e32 vcc, 32, v3
	v_cndmask_b32_e32 v2, 0, v2, vcc
	v_cndmask_b32_e32 v1, 3, v1, vcc
	v_cmp_eq_u64_e64 s[28:29], 0, v[1:2]
	v_min_i32_e32 v2, 31, v3
	v_lshlrev_b32_e32 v2, 2, v2
	v_cmp_eq_u32_e32 vcc, 0, v3
	v_and_b32_e32 v2, 0xfc, v2
	v_and_or_b32 v1, v1, 3, v2
	s_and_b64 s[28:29], vcc, s[28:29]
	v_cndmask_b32_e64 v1, v1, 0, s[28:29]
	v_or_b32_e32 v35, v1, v5
.LBB6_24298:                            ;   in Loop: Header=BB6_20708 Depth=3
	s_or_b64 exec, exec, s[36:37]
                                        ; implicit-def: $vgpr5
.LBB6_24299:                            ;   in Loop: Header=BB6_20708 Depth=3
	s_andn2_saveexec_b64 s[28:29], s[34:35]
; %bb.24300:                            ;   in Loop: Header=BB6_20708 Depth=3
	v_or_b32_e32 v35, 0x7b, v5
; %bb.24301:                            ;   in Loop: Header=BB6_20708 Depth=3
	s_or_b64 exec, exec, s[28:29]
                                        ; implicit-def: $vgpr3
                                        ; implicit-def: $vgpr1_vgpr2
.LBB6_24302:                            ;   in Loop: Header=BB6_20708 Depth=3
	s_andn2_saveexec_b64 s[28:29], s[30:31]
	s_cbranch_execz .LBB6_24308
; %bb.24303:                            ;   in Loop: Header=BB6_20708 Depth=3
	v_cmp_ne_u64_e32 vcc, 0, v[1:2]
                                        ; implicit-def: $vgpr35
	s_and_saveexec_b64 s[62:63], vcc
	s_xor_b64 vcc, exec, s[62:63]
; %bb.24304:                            ;   in Loop: Header=BB6_20708 Depth=3
	v_or_b32_sdwa v35, v3, s44 dst_sel:DWORD dst_unused:UNUSED_PAD src0_sel:BYTE_3 src1_sel:DWORD
                                        ; implicit-def: $vgpr3
; %bb.24305:                            ;   in Loop: Header=BB6_20708 Depth=3
	s_andn2_saveexec_b64 s[30:31], vcc
; %bb.24306:                            ;   in Loop: Header=BB6_20708 Depth=3
	v_cmp_lt_i32_e32 vcc, -1, v3
	v_bfrev_b32_e32 v1, 0.5
	v_mov_b32_e32 v2, 0x7c
	v_cndmask_b32_e32 v35, v1, v2, vcc
; %bb.24307:                            ;   in Loop: Header=BB6_20708 Depth=3
	s_or_b64 exec, exec, s[30:31]
.LBB6_24308:                            ;   in Loop: Header=BB6_20708 Depth=3
	s_or_b64 exec, exec, s[28:29]
	v_and_b32_sdwa v5, v0, s96 dst_sel:DWORD dst_unused:UNUSED_PAD src0_sel:WORD_1 src1_sel:DWORD
	v_lshrrev_b32_e32 v1, 16, v0
	v_cmp_ne_u16_e32 vcc, 0, v5
	v_mov_b32_e32 v2, 0
	v_mov_b32_e32 v3, 0
	s_and_saveexec_b64 s[28:29], vcc
	s_cbranch_execz .LBB6_24316
; %bb.24309:                            ;   in Loop: Header=BB6_20708 Depth=3
	v_cmp_ne_u16_e32 vcc, s97, v5
	v_bfrev_b32_e32 v3, 1
	s_and_saveexec_b64 s[30:31], vcc
	s_cbranch_execz .LBB6_24315
; %bb.24310:                            ;   in Loop: Header=BB6_20708 Depth=3
	v_and_b32_e32 v3, 0x7c0000, v0
	v_bfe_u32 v5, v0, 16, 2
	v_cmp_ne_u32_e32 vcc, s45, v3
                                        ; implicit-def: $vgpr3
	s_and_saveexec_b64 s[62:63], vcc
	s_xor_b64 s[34:35], exec, s[62:63]
	s_cbranch_execz .LBB6_24312
; %bb.24311:                            ;   in Loop: Header=BB6_20708 Depth=3
	v_ffbh_u32_e32 v7, v5
	v_min_u32_e32 v7, 32, v7
	v_subrev_u32_e32 v16, 29, v7
	v_lshlrev_b64 v[20:21], v16, v[1:2]
	v_bfe_u32 v3, v0, 18, 5
	v_sub_u32_e32 v1, 30, v7
	v_and_b32_e32 v7, 3, v20
	v_cmp_eq_u32_e32 vcc, 0, v3
	v_cndmask_b32_e32 v1, v3, v1, vcc
	v_cndmask_b32_e32 v3, v5, v7, vcc
	v_lshlrev_b32_e32 v5, 8, v0
	v_and_b32_e32 v5, 0x80000000, v5
	v_lshl_add_u32 v1, v1, 23, v5
	v_lshl_or_b32 v1, v3, 21, v1
	v_add_u32_e32 v3, 0x38000000, v1
                                        ; implicit-def: $vgpr5
                                        ; implicit-def: $vgpr1
.LBB6_24312:                            ;   in Loop: Header=BB6_20708 Depth=3
	s_andn2_saveexec_b64 s[34:35], s[34:35]
; %bb.24313:                            ;   in Loop: Header=BB6_20708 Depth=3
	v_mov_b32_e32 v3, -1
	v_cmp_gt_i16_sdwa vcc, sext(v1), v3 src0_sel:BYTE_0 src1_sel:DWORD
	v_mov_b32_e32 v1, 0xff800000
	v_mov_b32_e32 v3, 0x7f800000
	v_cndmask_b32_e32 v1, v1, v3, vcc
	v_cmp_eq_u32_e32 vcc, 0, v5
	v_mov_b32_e32 v3, 0x7f800001
	v_cndmask_b32_e32 v3, v3, v1, vcc
; %bb.24314:                            ;   in Loop: Header=BB6_20708 Depth=3
	s_or_b64 exec, exec, s[34:35]
.LBB6_24315:                            ;   in Loop: Header=BB6_20708 Depth=3
	s_or_b64 exec, exec, s[30:31]
.LBB6_24316:                            ;   in Loop: Header=BB6_20708 Depth=3
	s_or_b64 exec, exec, s[28:29]
	v_lshrrev_b32_e32 v1, 16, v8
	v_cmp_ne_u16_sdwa s[62:63], v1, v33 src0_sel:BYTE_0 src1_sel:DWORD
	s_and_saveexec_b64 s[28:29], s[62:63]
	s_cbranch_execz .LBB6_24324
; %bb.24317:                            ;   in Loop: Header=BB6_20708 Depth=3
	v_cmp_ne_u16_sdwa s[62:63], v1, s97 src0_sel:BYTE_0 src1_sel:DWORD
	v_bfrev_b32_e32 v2, 1
	s_and_saveexec_b64 s[30:31], s[62:63]
	s_cbranch_execz .LBB6_24323
; %bb.24318:                            ;   in Loop: Header=BB6_20708 Depth=3
	v_and_b32_e32 v2, 0x7c0000, v8
	v_bfe_u32 v5, v8, 16, 2
	v_cmp_ne_u32_e32 vcc, s45, v2
                                        ; implicit-def: $vgpr2
	s_and_saveexec_b64 s[62:63], vcc
	s_xor_b64 s[34:35], exec, s[62:63]
	s_cbranch_execz .LBB6_24320
; %bb.24319:                            ;   in Loop: Header=BB6_20708 Depth=3
	v_ffbh_u32_e32 v2, v5
	v_min_u32_e32 v16, 32, v2
	v_subrev_u32_e32 v2, 29, v16
	v_lshlrev_b64 v[1:2], v2, v[1:2]
	v_bfe_u32 v7, v8, 18, 5
	v_and_b32_e32 v1, 3, v1
	v_cmp_eq_u32_e32 vcc, 0, v7
	v_sub_u32_e32 v2, 30, v16
	v_cndmask_b32_e32 v1, v5, v1, vcc
	v_lshlrev_b32_e32 v5, 8, v8
	v_cndmask_b32_e32 v2, v7, v2, vcc
	v_and_b32_e32 v5, 0x80000000, v5
	v_lshl_add_u32 v2, v2, 23, v5
	v_lshl_or_b32 v1, v1, 21, v2
	v_add_u32_e32 v2, 0x38000000, v1
                                        ; implicit-def: $vgpr5
                                        ; implicit-def: $vgpr1
.LBB6_24320:                            ;   in Loop: Header=BB6_20708 Depth=3
	s_andn2_saveexec_b64 s[34:35], s[34:35]
; %bb.24321:                            ;   in Loop: Header=BB6_20708 Depth=3
	v_mov_b32_e32 v2, -1
	v_cmp_gt_i16_sdwa vcc, sext(v1), v2 src0_sel:BYTE_0 src1_sel:DWORD
	v_mov_b32_e32 v1, 0xff800000
	v_mov_b32_e32 v2, 0x7f800000
	v_cndmask_b32_e32 v1, v1, v2, vcc
	v_cmp_eq_u32_e32 vcc, 0, v5
	v_mov_b32_e32 v2, 0x7f800001
	v_cndmask_b32_e32 v2, v2, v1, vcc
; %bb.24322:                            ;   in Loop: Header=BB6_20708 Depth=3
	s_or_b64 exec, exec, s[34:35]
.LBB6_24323:                            ;   in Loop: Header=BB6_20708 Depth=3
	s_or_b64 exec, exec, s[30:31]
.LBB6_24324:                            ;   in Loop: Header=BB6_20708 Depth=3
	s_or_b64 exec, exec, s[28:29]
	v_add_f32_e32 v3, v3, v2
	v_and_b32_e32 v20, 0x7f800000, v3
	v_mov_b32_e32 v21, v33
	v_cmp_ne_u64_e32 vcc, s[76:77], v[20:21]
	v_and_b32_e32 v1, 0x7fffff, v3
	v_mov_b32_e32 v2, v33
                                        ; implicit-def: $vgpr20
	s_and_saveexec_b64 s[28:29], vcc
	s_xor_b64 s[30:31], exec, s[28:29]
	s_cbranch_execz .LBB6_24338
; %bb.24325:                            ;   in Loop: Header=BB6_20708 Depth=3
	v_and_b32_e32 v20, 0x7fffffff, v3
	v_mov_b32_e32 v21, v33
	v_cmp_gt_u64_e32 vcc, s[78:79], v[20:21]
	v_and_b32_sdwa v5, v3, s97 dst_sel:DWORD dst_unused:UNUSED_PAD src0_sel:BYTE_3 src1_sel:DWORD
                                        ; implicit-def: $vgpr20
	s_and_saveexec_b64 s[28:29], vcc
	s_xor_b64 s[34:35], exec, s[28:29]
	s_cbranch_execz .LBB6_24335
; %bb.24326:                            ;   in Loop: Header=BB6_20708 Depth=3
	v_mov_b32_e32 v20, 0
	v_cmp_ne_u32_e32 vcc, 0, v3
	s_and_saveexec_b64 s[36:37], vcc
	s_cbranch_execz .LBB6_24334
; %bb.24327:                            ;   in Loop: Header=BB6_20708 Depth=3
	v_bfe_u32 v20, v3, 23, 8
	v_cmp_gt_u32_e64 s[28:29], s47, v20
	v_sub_u32_e32 v3, 0x71, v20
	v_cmp_eq_u32_e32 vcc, 0, v20
	v_cndmask_b32_e64 v3, 0, v3, s[28:29]
	v_mov_b32_e32 v16, 0x70
	v_cndmask_b32_e32 v21, v3, v16, vcc
	v_add_u32_e32 v3, 21, v21
	v_or_b32_e32 v7, 0x800000, v1
	v_lshlrev_b64 v[22:23], v3, -1
	v_cndmask_b32_e32 v1, v7, v1, vcc
	v_add_u32_e32 v3, 20, v21
	v_bfi_b32 v22, v22, 0, v1
	v_lshlrev_b64 v[36:37], v3, 1
	v_lshrrev_b64 v[1:2], v21, v[1:2]
	v_bfi_b32 v23, v23, 0, 0
	v_cmp_eq_u64_e64 s[28:29], v[22:23], v[36:37]
	v_mov_b32_e32 v3, v2
	v_mov_b32_e32 v2, v1
	s_and_saveexec_b64 s[38:39], s[28:29]
; %bb.24328:                            ;   in Loop: Header=BB6_20708 Depth=3
	v_bfe_u32 v2, v1, 21, 1
	v_add_co_u32_e64 v2, s[28:29], v1, v2
	v_add_co_u32_e64 v2, s[28:29], -1, v2
; %bb.24329:                            ;   in Loop: Header=BB6_20708 Depth=3
	s_or_b64 exec, exec, s[38:39]
	v_add_u32_e32 v3, 0xffffff81, v20
	v_mov_b32_e32 v7, 0xffffff82
	v_cndmask_b32_e32 v3, v3, v7, vcc
	v_lshrrev_b32_e32 v7, 23, v1
	v_add3_u32 v20, v21, v3, v7
	v_add_u32_e32 v7, 14, v20
	v_and_b32_e32 v2, 0x1fffff, v2
	v_add_u32_e32 v1, v2, v1
	v_mov_b32_e32 v2, v33
	v_cmp_ne_u32_e32 vcc, 0, v7
                                        ; implicit-def: $vgpr3
	s_and_saveexec_b64 s[28:29], vcc
	s_xor_b64 s[28:29], exec, s[28:29]
; %bb.24330:                            ;   in Loop: Header=BB6_20708 Depth=3
	v_cmp_lt_u64_e32 vcc, s[88:89], v[1:2]
	v_add_u32_e32 v3, 15, v20
	v_cndmask_b32_e32 v3, v7, v3, vcc
	v_cndmask_b32_e64 v7, 0, 1, vcc
	v_lshrrev_b64 v[1:2], v7, v[1:2]
; %bb.24331:                            ;   in Loop: Header=BB6_20708 Depth=3
	s_andn2_saveexec_b64 s[28:29], s[28:29]
; %bb.24332:                            ;   in Loop: Header=BB6_20708 Depth=3
	v_bfe_u32 v3, v1, 23, 1
; %bb.24333:                            ;   in Loop: Header=BB6_20708 Depth=3
	s_or_b64 exec, exec, s[28:29]
	v_lshrrev_b64 v[1:2], 21, v[1:2]
	v_cmp_gt_i32_e32 vcc, 32, v3
	v_cndmask_b32_e32 v2, 0, v2, vcc
	v_cndmask_b32_e32 v1, 3, v1, vcc
	v_cmp_eq_u64_e64 s[28:29], 0, v[1:2]
	v_min_i32_e32 v2, 31, v3
	v_lshlrev_b32_e32 v2, 2, v2
	v_cmp_eq_u32_e32 vcc, 0, v3
	v_and_b32_e32 v2, 0xfc, v2
	v_and_or_b32 v1, v1, 3, v2
	s_and_b64 s[28:29], vcc, s[28:29]
	v_cndmask_b32_e64 v1, v1, 0, s[28:29]
	v_or_b32_e32 v20, v1, v5
.LBB6_24334:                            ;   in Loop: Header=BB6_20708 Depth=3
	s_or_b64 exec, exec, s[36:37]
                                        ; implicit-def: $vgpr5
.LBB6_24335:                            ;   in Loop: Header=BB6_20708 Depth=3
	s_andn2_saveexec_b64 s[28:29], s[34:35]
; %bb.24336:                            ;   in Loop: Header=BB6_20708 Depth=3
	v_or_b32_e32 v20, 0x7b, v5
; %bb.24337:                            ;   in Loop: Header=BB6_20708 Depth=3
	s_or_b64 exec, exec, s[28:29]
                                        ; implicit-def: $vgpr3
                                        ; implicit-def: $vgpr1_vgpr2
.LBB6_24338:                            ;   in Loop: Header=BB6_20708 Depth=3
	s_andn2_saveexec_b64 s[28:29], s[30:31]
	s_cbranch_execz .LBB6_24344
; %bb.24339:                            ;   in Loop: Header=BB6_20708 Depth=3
	v_cmp_ne_u64_e32 vcc, 0, v[1:2]
                                        ; implicit-def: $vgpr20
	s_and_saveexec_b64 s[62:63], vcc
	s_xor_b64 vcc, exec, s[62:63]
; %bb.24340:                            ;   in Loop: Header=BB6_20708 Depth=3
	v_or_b32_sdwa v20, v3, s44 dst_sel:DWORD dst_unused:UNUSED_PAD src0_sel:BYTE_3 src1_sel:DWORD
                                        ; implicit-def: $vgpr3
; %bb.24341:                            ;   in Loop: Header=BB6_20708 Depth=3
	s_andn2_saveexec_b64 s[30:31], vcc
; %bb.24342:                            ;   in Loop: Header=BB6_20708 Depth=3
	v_cmp_lt_i32_e32 vcc, -1, v3
	v_bfrev_b32_e32 v1, 0.5
	v_mov_b32_e32 v2, 0x7c
	v_cndmask_b32_e32 v20, v1, v2, vcc
; %bb.24343:                            ;   in Loop: Header=BB6_20708 Depth=3
	s_or_b64 exec, exec, s[30:31]
.LBB6_24344:                            ;   in Loop: Header=BB6_20708 Depth=3
	s_or_b64 exec, exec, s[28:29]
	v_cmp_lt_u32_e32 vcc, s57, v0
	v_mov_b32_e32 v2, 0
	v_mov_b32_e32 v3, 0
	s_and_saveexec_b64 s[28:29], vcc
	s_cbranch_execz .LBB6_24352
; %bb.24345:                            ;   in Loop: Header=BB6_20708 Depth=3
	v_lshrrev_b32_e32 v1, 24, v0
	v_cmp_ne_u32_e32 vcc, s97, v1
	v_bfrev_b32_e32 v3, 1
	s_and_saveexec_b64 s[30:31], vcc
	s_cbranch_execz .LBB6_24351
; %bb.24346:                            ;   in Loop: Header=BB6_20708 Depth=3
	v_and_b32_e32 v3, 0x7c000000, v0
	v_bfe_u32 v5, v0, 24, 2
	v_cmp_ne_u32_e32 vcc, s68, v3
                                        ; implicit-def: $vgpr3
	s_and_saveexec_b64 s[62:63], vcc
	s_xor_b64 s[34:35], exec, s[62:63]
	s_cbranch_execz .LBB6_24348
; %bb.24347:                            ;   in Loop: Header=BB6_20708 Depth=3
	v_ffbh_u32_e32 v7, v5
	v_min_u32_e32 v7, 32, v7
	v_subrev_u32_e32 v16, 29, v7
	v_bfe_u32 v3, v0, 26, 5
	v_lshlrev_b64 v[21:22], v16, v[1:2]
	v_sub_u32_e32 v1, 30, v7
	v_cmp_eq_u32_e32 vcc, 0, v3
	v_and_b32_e32 v7, 3, v21
	v_cndmask_b32_e32 v1, v3, v1, vcc
	v_and_b32_e32 v0, 0x80000000, v0
	v_cndmask_b32_e32 v3, v5, v7, vcc
	v_lshl_add_u32 v0, v1, 23, v0
	v_lshl_or_b32 v0, v3, 21, v0
	v_add_u32_e32 v3, 0x38000000, v0
                                        ; implicit-def: $vgpr5
                                        ; implicit-def: $vgpr0_vgpr1
.LBB6_24348:                            ;   in Loop: Header=BB6_20708 Depth=3
	s_andn2_saveexec_b64 s[34:35], s[34:35]
; %bb.24349:                            ;   in Loop: Header=BB6_20708 Depth=3
	v_cmp_lt_i32_e32 vcc, -1, v0
	v_mov_b32_e32 v0, 0xff800000
	v_mov_b32_e32 v1, 0x7f800000
	v_cndmask_b32_e32 v0, v0, v1, vcc
	v_cmp_eq_u32_e32 vcc, 0, v5
	v_mov_b32_e32 v1, 0x7f800001
	v_cndmask_b32_e32 v3, v1, v0, vcc
; %bb.24350:                            ;   in Loop: Header=BB6_20708 Depth=3
	s_or_b64 exec, exec, s[34:35]
.LBB6_24351:                            ;   in Loop: Header=BB6_20708 Depth=3
	s_or_b64 exec, exec, s[30:31]
.LBB6_24352:                            ;   in Loop: Header=BB6_20708 Depth=3
	s_or_b64 exec, exec, s[28:29]
	v_cmp_lt_u32_e32 vcc, s57, v8
	s_and_saveexec_b64 s[28:29], vcc
	s_cbranch_execz .LBB6_24360
; %bb.24353:                            ;   in Loop: Header=BB6_20708 Depth=3
	v_lshrrev_b32_e32 v0, 24, v8
	v_cmp_ne_u32_e32 vcc, s97, v0
	v_bfrev_b32_e32 v2, 1
	s_and_saveexec_b64 s[30:31], vcc
	s_cbranch_execz .LBB6_24359
; %bb.24354:                            ;   in Loop: Header=BB6_20708 Depth=3
	v_and_b32_e32 v2, 0x7c000000, v8
	v_bfe_u32 v1, v8, 24, 2
	v_cmp_ne_u32_e32 vcc, s68, v2
                                        ; implicit-def: $vgpr2
	s_and_saveexec_b64 s[62:63], vcc
	s_xor_b64 s[34:35], exec, s[62:63]
	s_cbranch_execz .LBB6_24356
; %bb.24355:                            ;   in Loop: Header=BB6_20708 Depth=3
	v_ffbh_u32_e32 v5, v1
	v_min_u32_e32 v5, 32, v5
	v_subrev_u32_e32 v7, 29, v5
	v_bfe_u32 v2, v8, 26, 5
	v_lshlrev_b64 v[21:22], v7, v[0:1]
	v_sub_u32_e32 v0, 30, v5
	v_cmp_eq_u32_e32 vcc, 0, v2
	v_and_b32_e32 v5, 3, v21
	v_cndmask_b32_e32 v0, v2, v0, vcc
	v_and_b32_e32 v2, 0x80000000, v8
	v_cndmask_b32_e32 v1, v1, v5, vcc
	v_lshl_add_u32 v0, v0, 23, v2
	v_lshl_or_b32 v0, v1, 21, v0
	v_add_u32_e32 v2, 0x38000000, v0
                                        ; implicit-def: $vgpr1
.LBB6_24356:                            ;   in Loop: Header=BB6_20708 Depth=3
	s_andn2_saveexec_b64 s[34:35], s[34:35]
; %bb.24357:                            ;   in Loop: Header=BB6_20708 Depth=3
	v_cmp_lt_i32_e32 vcc, -1, v8
	v_mov_b32_e32 v0, 0xff800000
	v_mov_b32_e32 v2, 0x7f800000
	v_cndmask_b32_e32 v0, v0, v2, vcc
	v_cmp_eq_u32_e32 vcc, 0, v1
	v_mov_b32_e32 v1, 0x7f800001
	v_cndmask_b32_e32 v2, v1, v0, vcc
; %bb.24358:                            ;   in Loop: Header=BB6_20708 Depth=3
	s_or_b64 exec, exec, s[34:35]
.LBB6_24359:                            ;   in Loop: Header=BB6_20708 Depth=3
	s_or_b64 exec, exec, s[30:31]
.LBB6_24360:                            ;   in Loop: Header=BB6_20708 Depth=3
	s_or_b64 exec, exec, s[28:29]
	v_add_f32_e32 v2, v3, v2
	v_and_b32_e32 v21, 0x7f800000, v2
	v_mov_b32_e32 v22, v33
	v_cmp_ne_u64_e32 vcc, s[76:77], v[21:22]
	v_and_b32_e32 v0, 0x7fffff, v2
	v_mov_b32_e32 v1, v33
                                        ; implicit-def: $vgpr21
	s_and_saveexec_b64 s[28:29], vcc
	s_xor_b64 s[30:31], exec, s[28:29]
	s_cbranch_execz .LBB6_24374
; %bb.24361:                            ;   in Loop: Header=BB6_20708 Depth=3
	v_and_b32_e32 v21, 0x7fffffff, v2
	v_mov_b32_e32 v22, v33
	v_cmp_gt_u64_e32 vcc, s[78:79], v[21:22]
	v_and_b32_sdwa v3, v2, s97 dst_sel:DWORD dst_unused:UNUSED_PAD src0_sel:BYTE_3 src1_sel:DWORD
                                        ; implicit-def: $vgpr21
	s_and_saveexec_b64 s[28:29], vcc
	s_xor_b64 s[34:35], exec, s[28:29]
	s_cbranch_execz .LBB6_24371
; %bb.24362:                            ;   in Loop: Header=BB6_20708 Depth=3
	v_mov_b32_e32 v21, 0
	v_cmp_ne_u32_e32 vcc, 0, v2
	s_and_saveexec_b64 s[36:37], vcc
	s_cbranch_execz .LBB6_24370
; %bb.24363:                            ;   in Loop: Header=BB6_20708 Depth=3
	v_bfe_u32 v5, v2, 23, 8
	v_cmp_gt_u32_e64 s[28:29], s47, v5
	v_sub_u32_e32 v2, 0x71, v5
	v_cmp_eq_u32_e32 vcc, 0, v5
	v_cndmask_b32_e64 v2, 0, v2, s[28:29]
	v_mov_b32_e32 v16, 0x70
	v_cndmask_b32_e32 v21, v2, v16, vcc
	v_add_u32_e32 v2, 21, v21
	v_or_b32_e32 v7, 0x800000, v0
	v_lshlrev_b64 v[22:23], v2, -1
	v_cndmask_b32_e32 v0, v7, v0, vcc
	v_add_u32_e32 v2, 20, v21
	v_bfi_b32 v22, v22, 0, v0
	v_lshlrev_b64 v[36:37], v2, 1
	v_lshrrev_b64 v[0:1], v21, v[0:1]
	v_bfi_b32 v23, v23, 0, 0
	v_cmp_eq_u64_e64 s[28:29], v[22:23], v[36:37]
	v_mov_b32_e32 v2, v1
	v_mov_b32_e32 v1, v0
	s_and_saveexec_b64 s[38:39], s[28:29]
; %bb.24364:                            ;   in Loop: Header=BB6_20708 Depth=3
	v_bfe_u32 v1, v0, 21, 1
	v_add_co_u32_e64 v1, s[28:29], v0, v1
	v_add_co_u32_e64 v1, s[28:29], -1, v1
; %bb.24365:                            ;   in Loop: Header=BB6_20708 Depth=3
	s_or_b64 exec, exec, s[38:39]
	v_add_u32_e32 v2, 0xffffff81, v5
	v_mov_b32_e32 v5, 0xffffff82
	v_cndmask_b32_e32 v2, v2, v5, vcc
	v_lshrrev_b32_e32 v5, 23, v0
	v_add3_u32 v7, v21, v2, v5
	v_add_u32_e32 v5, 14, v7
	v_and_b32_e32 v1, 0x1fffff, v1
	v_add_u32_e32 v0, v1, v0
	v_mov_b32_e32 v1, v33
	v_cmp_ne_u32_e32 vcc, 0, v5
                                        ; implicit-def: $vgpr2
	s_and_saveexec_b64 s[28:29], vcc
	s_xor_b64 s[28:29], exec, s[28:29]
; %bb.24366:                            ;   in Loop: Header=BB6_20708 Depth=3
	v_cmp_lt_u64_e32 vcc, s[88:89], v[0:1]
	v_add_u32_e32 v2, 15, v7
	v_cndmask_b32_e32 v2, v5, v2, vcc
	v_cndmask_b32_e64 v5, 0, 1, vcc
	v_lshrrev_b64 v[0:1], v5, v[0:1]
; %bb.24367:                            ;   in Loop: Header=BB6_20708 Depth=3
	s_andn2_saveexec_b64 s[28:29], s[28:29]
; %bb.24368:                            ;   in Loop: Header=BB6_20708 Depth=3
	v_bfe_u32 v2, v0, 23, 1
; %bb.24369:                            ;   in Loop: Header=BB6_20708 Depth=3
	s_or_b64 exec, exec, s[28:29]
	v_lshrrev_b64 v[0:1], 21, v[0:1]
	v_cmp_gt_i32_e32 vcc, 32, v2
	v_cndmask_b32_e32 v1, 0, v1, vcc
	v_cndmask_b32_e32 v0, 3, v0, vcc
	v_cmp_eq_u64_e64 s[28:29], 0, v[0:1]
	v_min_i32_e32 v1, 31, v2
	v_lshlrev_b32_e32 v1, 2, v1
	v_cmp_eq_u32_e32 vcc, 0, v2
	v_and_b32_e32 v1, 0xfc, v1
	v_and_or_b32 v0, v0, 3, v1
	s_and_b64 s[28:29], vcc, s[28:29]
	v_cndmask_b32_e64 v0, v0, 0, s[28:29]
	v_or_b32_e32 v21, v0, v3
.LBB6_24370:                            ;   in Loop: Header=BB6_20708 Depth=3
	s_or_b64 exec, exec, s[36:37]
                                        ; implicit-def: $vgpr3
.LBB6_24371:                            ;   in Loop: Header=BB6_20708 Depth=3
	s_andn2_saveexec_b64 s[28:29], s[34:35]
; %bb.24372:                            ;   in Loop: Header=BB6_20708 Depth=3
	v_or_b32_e32 v21, 0x7b, v3
; %bb.24373:                            ;   in Loop: Header=BB6_20708 Depth=3
	s_or_b64 exec, exec, s[28:29]
                                        ; implicit-def: $vgpr2
                                        ; implicit-def: $vgpr0_vgpr1
.LBB6_24374:                            ;   in Loop: Header=BB6_20708 Depth=3
	s_andn2_saveexec_b64 s[28:29], s[30:31]
	s_cbranch_execz .LBB6_24380
; %bb.24375:                            ;   in Loop: Header=BB6_20708 Depth=3
	v_cmp_ne_u64_e32 vcc, 0, v[0:1]
                                        ; implicit-def: $vgpr21
	s_and_saveexec_b64 s[62:63], vcc
	s_xor_b64 vcc, exec, s[62:63]
; %bb.24376:                            ;   in Loop: Header=BB6_20708 Depth=3
	v_or_b32_sdwa v21, v2, s44 dst_sel:DWORD dst_unused:UNUSED_PAD src0_sel:BYTE_3 src1_sel:DWORD
                                        ; implicit-def: $vgpr2
; %bb.24377:                            ;   in Loop: Header=BB6_20708 Depth=3
	s_andn2_saveexec_b64 s[30:31], vcc
; %bb.24378:                            ;   in Loop: Header=BB6_20708 Depth=3
	v_cmp_lt_i32_e32 vcc, -1, v2
	v_bfrev_b32_e32 v0, 0.5
	v_mov_b32_e32 v1, 0x7c
	v_cndmask_b32_e32 v21, v0, v1, vcc
; %bb.24379:                            ;   in Loop: Header=BB6_20708 Depth=3
	s_or_b64 exec, exec, s[30:31]
.LBB6_24380:                            ;   in Loop: Header=BB6_20708 Depth=3
	s_or_b64 exec, exec, s[28:29]
	buffer_load_dword v0, off, s[0:3], s33 offset:156 ; 4-byte Folded Reload
	buffer_load_dword v1, off, s[0:3], s33 offset:196 ; 4-byte Folded Reload
	v_cmp_ne_u32_e32 vcc, 0, v31
	v_mov_b32_e32 v2, 0
	v_mov_b32_e32 v3, 0
	s_waitcnt vmcnt(1)
	v_lshl_or_b32 v5, v0, 8, v31
	buffer_load_dword v0, off, s[0:3], s33 offset:172 ; 4-byte Folded Reload
	s_waitcnt vmcnt(1)
	v_lshlrev_b32_e32 v1, 24, v1
	s_waitcnt vmcnt(0)
	v_lshlrev_b32_e32 v0, 16, v0
	v_or3_b32 v0, v0, v1, v5
	v_mov_b32_e32 v1, v33
	s_and_saveexec_b64 s[30:31], vcc
	s_cbranch_execz .LBB6_24388
; %bb.24381:                            ;   in Loop: Header=BB6_20708 Depth=3
	v_cmp_ne_u32_e32 vcc, s97, v31
	v_bfrev_b32_e32 v3, 1
	s_and_saveexec_b64 s[34:35], vcc
	s_cbranch_execz .LBB6_24387
; %bb.24382:                            ;   in Loop: Header=BB6_20708 Depth=3
	v_and_b32_e32 v3, 0x7c, v31
	v_and_b32_e32 v7, 3, v31
	v_cmp_ne_u32_e32 vcc, s86, v3
                                        ; implicit-def: $vgpr3
	s_and_saveexec_b64 s[28:29], vcc
	s_xor_b64 s[28:29], exec, s[28:29]
	s_cbranch_execz .LBB6_24384
; %bb.24383:                            ;   in Loop: Header=BB6_20708 Depth=3
	v_ffbh_u32_e32 v16, v7
	v_min_u32_e32 v16, 32, v16
	v_subrev_u32_e32 v17, 29, v16
	v_lshlrev_b64 v[22:23], v17, v[0:1]
	v_bfe_u32 v3, v31, 2, 5
	v_sub_u32_e32 v1, 30, v16
	v_and_b32_e32 v16, 3, v22
	v_cmp_eq_u32_e32 vcc, 0, v3
	v_cndmask_b32_e32 v1, v3, v1, vcc
	v_cndmask_b32_e32 v3, v7, v16, vcc
	v_lshlrev_b32_e32 v7, 24, v31
	v_and_b32_e32 v7, 0x80000000, v7
	v_lshl_add_u32 v1, v1, 23, v7
	v_lshl_or_b32 v1, v3, 21, v1
	v_add_u32_e32 v3, 0x38000000, v1
                                        ; implicit-def: $vgpr7
                                        ; implicit-def: $vgpr31
.LBB6_24384:                            ;   in Loop: Header=BB6_20708 Depth=3
	s_andn2_saveexec_b64 s[36:37], s[28:29]
; %bb.24385:                            ;   in Loop: Header=BB6_20708 Depth=3
	v_and_b32_e32 v1, 0x80, v31
	v_cmp_eq_u32_e64 s[28:29], 0, v1
	v_mov_b32_e32 v1, 0xff800000
	v_mov_b32_e32 v3, 0x7f800000
	v_cmp_eq_u32_e32 vcc, 0, v7
	v_cndmask_b32_e64 v1, v1, v3, s[28:29]
	v_mov_b32_e32 v3, 0x7f800001
	v_cndmask_b32_e32 v3, v3, v1, vcc
; %bb.24386:                            ;   in Loop: Header=BB6_20708 Depth=3
	s_or_b64 exec, exec, s[36:37]
.LBB6_24387:                            ;   in Loop: Header=BB6_20708 Depth=3
	s_or_b64 exec, exec, s[34:35]
.LBB6_24388:                            ;   in Loop: Header=BB6_20708 Depth=3
	s_or_b64 exec, exec, s[30:31]
	v_cmp_ne_u16_sdwa s[62:63], v9, v33 src0_sel:BYTE_0 src1_sel:DWORD
	s_and_saveexec_b64 s[28:29], s[62:63]
	s_cbranch_execz .LBB6_24396
; %bb.24389:                            ;   in Loop: Header=BB6_20708 Depth=3
	v_cmp_ne_u16_sdwa s[62:63], v9, s97 src0_sel:BYTE_0 src1_sel:DWORD
	v_bfrev_b32_e32 v2, 1
	s_and_saveexec_b64 s[30:31], s[62:63]
	s_cbranch_execz .LBB6_24395
; %bb.24390:                            ;   in Loop: Header=BB6_20708 Depth=3
	v_and_b32_e32 v2, 0x7c, v9
	v_and_b32_e32 v1, 3, v9
	v_cmp_ne_u32_e32 vcc, s86, v2
                                        ; implicit-def: $vgpr2
	s_and_saveexec_b64 s[62:63], vcc
	s_xor_b64 s[34:35], exec, s[62:63]
	s_cbranch_execz .LBB6_24392
; %bb.24391:                            ;   in Loop: Header=BB6_20708 Depth=3
	v_ffbh_u32_e32 v7, v1
	v_min_u32_e32 v7, 32, v7
	v_mov_b32_e32 v22, v9
	v_mov_b32_e32 v23, v33
	v_bfe_u32 v2, v9, 2, 5
	v_subrev_u32_e32 v16, 29, v7
	v_lshlrev_b64 v[22:23], v16, v[22:23]
	v_sub_u32_e32 v7, 30, v7
	v_cmp_eq_u32_e32 vcc, 0, v2
	v_cndmask_b32_e32 v2, v2, v7, vcc
	v_lshlrev_b32_e32 v7, 24, v9
	v_and_b32_e32 v16, 3, v22
	v_and_b32_e32 v7, 0x80000000, v7
	v_cndmask_b32_e32 v1, v1, v16, vcc
	v_lshl_add_u32 v2, v2, 23, v7
	v_lshl_or_b32 v1, v1, 21, v2
	v_add_u32_e32 v2, 0x38000000, v1
                                        ; implicit-def: $vgpr1
.LBB6_24392:                            ;   in Loop: Header=BB6_20708 Depth=3
	s_andn2_saveexec_b64 s[34:35], s[34:35]
; %bb.24393:                            ;   in Loop: Header=BB6_20708 Depth=3
	v_mov_b32_e32 v2, -1
	v_cmp_gt_i16_sdwa vcc, sext(v9), v2 src0_sel:BYTE_0 src1_sel:DWORD
	v_mov_b32_e32 v2, 0xff800000
	v_mov_b32_e32 v7, 0x7f800000
	v_cndmask_b32_e32 v2, v2, v7, vcc
	v_cmp_eq_u32_e32 vcc, 0, v1
	v_mov_b32_e32 v1, 0x7f800001
	v_cndmask_b32_e32 v2, v1, v2, vcc
; %bb.24394:                            ;   in Loop: Header=BB6_20708 Depth=3
	s_or_b64 exec, exec, s[34:35]
.LBB6_24395:                            ;   in Loop: Header=BB6_20708 Depth=3
	s_or_b64 exec, exec, s[30:31]
.LBB6_24396:                            ;   in Loop: Header=BB6_20708 Depth=3
	s_or_b64 exec, exec, s[28:29]
	v_add_f32_e32 v3, v3, v2
	v_and_b32_e32 v22, 0x7f800000, v3
	v_mov_b32_e32 v23, v33
	v_cmp_ne_u64_e32 vcc, s[76:77], v[22:23]
	v_and_b32_e32 v1, 0x7fffff, v3
	v_mov_b32_e32 v2, v33
                                        ; implicit-def: $vgpr31
	s_and_saveexec_b64 s[28:29], vcc
	s_xor_b64 s[30:31], exec, s[28:29]
	s_cbranch_execz .LBB6_24410
; %bb.24397:                            ;   in Loop: Header=BB6_20708 Depth=3
	v_and_b32_e32 v22, 0x7fffffff, v3
	v_mov_b32_e32 v23, v33
	v_cmp_gt_u64_e32 vcc, s[78:79], v[22:23]
	v_and_b32_sdwa v25, v3, s97 dst_sel:DWORD dst_unused:UNUSED_PAD src0_sel:BYTE_3 src1_sel:DWORD
                                        ; implicit-def: $vgpr31
	s_and_saveexec_b64 s[28:29], vcc
	s_xor_b64 s[34:35], exec, s[28:29]
	s_cbranch_execz .LBB6_24407
; %bb.24398:                            ;   in Loop: Header=BB6_20708 Depth=3
	v_mov_b32_e32 v31, 0
	v_cmp_ne_u32_e32 vcc, 0, v3
	s_and_saveexec_b64 s[36:37], vcc
	s_cbranch_execz .LBB6_24406
; %bb.24399:                            ;   in Loop: Header=BB6_20708 Depth=3
	v_bfe_u32 v22, v3, 23, 8
	v_cmp_gt_u32_e64 s[28:29], s47, v22
	v_sub_u32_e32 v3, 0x71, v22
	v_cmp_eq_u32_e32 vcc, 0, v22
	v_cndmask_b32_e64 v3, 0, v3, s[28:29]
	v_mov_b32_e32 v16, 0x70
	v_cndmask_b32_e32 v29, v3, v16, vcc
	v_add_u32_e32 v3, 21, v29
	v_or_b32_e32 v7, 0x800000, v1
	v_lshlrev_b64 v[36:37], v3, -1
	v_cndmask_b32_e32 v1, v7, v1, vcc
	v_add_u32_e32 v3, 20, v29
	v_mov_b32_e32 v17, v32
	v_bfi_b32 v36, v36, 0, v1
	v_lshlrev_b64 v[31:32], v3, 1
	v_lshrrev_b64 v[1:2], v29, v[1:2]
	v_bfi_b32 v37, v37, 0, 0
	v_cmp_eq_u64_e64 s[28:29], v[36:37], v[31:32]
	v_mov_b32_e32 v3, v2
	v_mov_b32_e32 v2, v1
	s_and_saveexec_b64 s[38:39], s[28:29]
; %bb.24400:                            ;   in Loop: Header=BB6_20708 Depth=3
	v_bfe_u32 v2, v1, 21, 1
	v_add_co_u32_e64 v2, s[28:29], v1, v2
	v_add_co_u32_e64 v2, s[28:29], -1, v2
; %bb.24401:                            ;   in Loop: Header=BB6_20708 Depth=3
	s_or_b64 exec, exec, s[38:39]
	v_add_u32_e32 v3, 0xffffff81, v22
	v_mov_b32_e32 v7, 0xffffff82
	v_cndmask_b32_e32 v3, v3, v7, vcc
	v_lshrrev_b32_e32 v7, 23, v1
	v_add3_u32 v22, v29, v3, v7
	v_add_u32_e32 v7, 14, v22
	v_and_b32_e32 v2, 0x1fffff, v2
	v_add_u32_e32 v1, v2, v1
	v_mov_b32_e32 v2, v33
	v_cmp_ne_u32_e32 vcc, 0, v7
                                        ; implicit-def: $vgpr3
	s_and_saveexec_b64 s[28:29], vcc
	s_xor_b64 s[28:29], exec, s[28:29]
; %bb.24402:                            ;   in Loop: Header=BB6_20708 Depth=3
	v_cmp_lt_u64_e32 vcc, s[88:89], v[1:2]
	v_add_u32_e32 v3, 15, v22
	v_cndmask_b32_e32 v3, v7, v3, vcc
	v_cndmask_b32_e64 v7, 0, 1, vcc
	v_lshrrev_b64 v[1:2], v7, v[1:2]
; %bb.24403:                            ;   in Loop: Header=BB6_20708 Depth=3
	s_or_saveexec_b64 s[28:29], s[28:29]
	v_mov_b32_e32 v32, v17
	s_xor_b64 exec, exec, s[28:29]
; %bb.24404:                            ;   in Loop: Header=BB6_20708 Depth=3
	v_bfe_u32 v3, v1, 23, 1
; %bb.24405:                            ;   in Loop: Header=BB6_20708 Depth=3
	s_or_b64 exec, exec, s[28:29]
	v_lshrrev_b64 v[1:2], 21, v[1:2]
	v_cmp_gt_i32_e32 vcc, 32, v3
	v_cndmask_b32_e32 v2, 0, v2, vcc
	v_cndmask_b32_e32 v1, 3, v1, vcc
	v_cmp_eq_u64_e64 s[28:29], 0, v[1:2]
	v_min_i32_e32 v2, 31, v3
	v_lshlrev_b32_e32 v2, 2, v2
	v_cmp_eq_u32_e32 vcc, 0, v3
	v_and_b32_e32 v2, 0xfc, v2
	v_and_or_b32 v1, v1, 3, v2
	s_and_b64 s[28:29], vcc, s[28:29]
	v_cndmask_b32_e64 v1, v1, 0, s[28:29]
	v_or_b32_e32 v31, v1, v25
.LBB6_24406:                            ;   in Loop: Header=BB6_20708 Depth=3
	s_or_b64 exec, exec, s[36:37]
                                        ; implicit-def: $vgpr25
.LBB6_24407:                            ;   in Loop: Header=BB6_20708 Depth=3
	s_andn2_saveexec_b64 s[28:29], s[34:35]
; %bb.24408:                            ;   in Loop: Header=BB6_20708 Depth=3
	v_or_b32_e32 v31, 0x7b, v25
; %bb.24409:                            ;   in Loop: Header=BB6_20708 Depth=3
	s_or_b64 exec, exec, s[28:29]
                                        ; implicit-def: $vgpr3
                                        ; implicit-def: $vgpr1_vgpr2
.LBB6_24410:                            ;   in Loop: Header=BB6_20708 Depth=3
	s_andn2_saveexec_b64 s[28:29], s[30:31]
	s_cbranch_execz .LBB6_24416
; %bb.24411:                            ;   in Loop: Header=BB6_20708 Depth=3
	v_cmp_ne_u64_e32 vcc, 0, v[1:2]
                                        ; implicit-def: $vgpr31
	s_and_saveexec_b64 s[62:63], vcc
	s_xor_b64 vcc, exec, s[62:63]
; %bb.24412:                            ;   in Loop: Header=BB6_20708 Depth=3
	v_or_b32_sdwa v31, v3, s44 dst_sel:DWORD dst_unused:UNUSED_PAD src0_sel:BYTE_3 src1_sel:DWORD
                                        ; implicit-def: $vgpr3
; %bb.24413:                            ;   in Loop: Header=BB6_20708 Depth=3
	s_andn2_saveexec_b64 s[30:31], vcc
; %bb.24414:                            ;   in Loop: Header=BB6_20708 Depth=3
	v_cmp_lt_i32_e32 vcc, -1, v3
	v_bfrev_b32_e32 v1, 0.5
	v_mov_b32_e32 v2, 0x7c
	v_cndmask_b32_e32 v31, v1, v2, vcc
; %bb.24415:                            ;   in Loop: Header=BB6_20708 Depth=3
	s_or_b64 exec, exec, s[30:31]
.LBB6_24416:                            ;   in Loop: Header=BB6_20708 Depth=3
	s_or_b64 exec, exec, s[28:29]
	v_lshrrev_b16_e32 v1, 8, v5
	v_cmp_ne_u16_e32 vcc, 0, v1
	v_mov_b32_e32 v3, 0
	v_mov_b32_e32 v25, 0
	s_and_saveexec_b64 s[28:29], vcc
	s_cbranch_execz .LBB6_24424
; %bb.24417:                            ;   in Loop: Header=BB6_20708 Depth=3
	v_cmp_ne_u16_e32 vcc, s97, v1
	v_bfrev_b32_e32 v25, 1
	s_and_saveexec_b64 s[30:31], vcc
	s_cbranch_execz .LBB6_24423
; %bb.24418:                            ;   in Loop: Header=BB6_20708 Depth=3
	v_and_b32_e32 v2, 0x7c, v1
	v_and_b32_e32 v7, 3, v1
	v_cmp_ne_u32_e32 vcc, s86, v2
                                        ; implicit-def: $vgpr25
	s_and_saveexec_b64 s[62:63], vcc
	s_xor_b64 s[34:35], exec, s[62:63]
	s_cbranch_execz .LBB6_24420
; %bb.24419:                            ;   in Loop: Header=BB6_20708 Depth=3
	v_ffbh_u32_e32 v17, v7
	v_min_u32_e32 v17, 32, v17
	v_mov_b32_e32 v2, v33
	v_subrev_u32_e32 v22, 29, v17
	v_bfe_u32 v16, v1, 2, 5
	v_lshlrev_b64 v[1:2], v22, v[1:2]
	v_sub_u32_e32 v2, 30, v17
	v_cmp_eq_u32_e32 vcc, 0, v16
	v_lshlrev_b32_e32 v5, 16, v5
	v_and_b32_e32 v1, 3, v1
	v_cndmask_b32_e32 v2, v16, v2, vcc
	v_and_b32_e32 v5, 0x80000000, v5
	v_cndmask_b32_e32 v1, v7, v1, vcc
	v_lshl_add_u32 v2, v2, 23, v5
	v_lshl_or_b32 v1, v1, 21, v2
	v_add_u32_e32 v25, 0x38000000, v1
                                        ; implicit-def: $vgpr7
                                        ; implicit-def: $vgpr5
.LBB6_24420:                            ;   in Loop: Header=BB6_20708 Depth=3
	s_andn2_saveexec_b64 s[34:35], s[34:35]
; %bb.24421:                            ;   in Loop: Header=BB6_20708 Depth=3
	v_cmp_lt_i16_e32 vcc, -1, v5
	v_mov_b32_e32 v1, 0xff800000
	v_mov_b32_e32 v2, 0x7f800000
	v_cndmask_b32_e32 v1, v1, v2, vcc
	v_cmp_eq_u32_e32 vcc, 0, v7
	v_mov_b32_e32 v2, 0x7f800001
	v_cndmask_b32_e32 v25, v2, v1, vcc
; %bb.24422:                            ;   in Loop: Header=BB6_20708 Depth=3
	s_or_b64 exec, exec, s[34:35]
.LBB6_24423:                            ;   in Loop: Header=BB6_20708 Depth=3
	s_or_b64 exec, exec, s[30:31]
.LBB6_24424:                            ;   in Loop: Header=BB6_20708 Depth=3
	s_or_b64 exec, exec, s[28:29]
	v_lshrrev_b16_e32 v1, 8, v9
	v_cmp_ne_u16_e32 vcc, 0, v1
	s_and_saveexec_b64 s[28:29], vcc
	s_cbranch_execz .LBB6_24432
; %bb.24425:                            ;   in Loop: Header=BB6_20708 Depth=3
	v_cmp_ne_u16_e32 vcc, s97, v1
	v_bfrev_b32_e32 v3, 1
	s_and_saveexec_b64 s[30:31], vcc
	s_cbranch_execz .LBB6_24431
; %bb.24426:                            ;   in Loop: Header=BB6_20708 Depth=3
	v_and_b32_e32 v2, 0x7c, v1
	v_and_b32_e32 v5, 3, v1
	v_cmp_ne_u32_e32 vcc, s86, v2
                                        ; implicit-def: $vgpr3
	s_and_saveexec_b64 s[62:63], vcc
	s_xor_b64 s[34:35], exec, s[62:63]
	s_cbranch_execz .LBB6_24428
; %bb.24427:                            ;   in Loop: Header=BB6_20708 Depth=3
	v_ffbh_u32_e32 v7, v5
	v_min_u32_e32 v7, 32, v7
	v_mov_b32_e32 v2, v33
	v_subrev_u32_e32 v16, 29, v7
	v_bfe_u32 v3, v1, 2, 5
	v_lshlrev_b64 v[1:2], v16, v[1:2]
	v_sub_u32_e32 v2, 30, v7
	v_cmp_eq_u32_e32 vcc, 0, v3
	v_cndmask_b32_e32 v2, v3, v2, vcc
	v_lshlrev_b32_e32 v3, 16, v9
	v_and_b32_e32 v1, 3, v1
	v_and_b32_e32 v3, 0x80000000, v3
	v_cndmask_b32_e32 v1, v5, v1, vcc
	v_lshl_add_u32 v2, v2, 23, v3
	v_lshl_or_b32 v1, v1, 21, v2
	v_add_u32_e32 v3, 0x38000000, v1
                                        ; implicit-def: $vgpr5
.LBB6_24428:                            ;   in Loop: Header=BB6_20708 Depth=3
	s_andn2_saveexec_b64 s[34:35], s[34:35]
; %bb.24429:                            ;   in Loop: Header=BB6_20708 Depth=3
	v_cmp_lt_i16_e32 vcc, -1, v9
	v_mov_b32_e32 v1, 0xff800000
	v_mov_b32_e32 v2, 0x7f800000
	v_cndmask_b32_e32 v1, v1, v2, vcc
	v_cmp_eq_u32_e32 vcc, 0, v5
	v_mov_b32_e32 v2, 0x7f800001
	v_cndmask_b32_e32 v3, v2, v1, vcc
; %bb.24430:                            ;   in Loop: Header=BB6_20708 Depth=3
	s_or_b64 exec, exec, s[34:35]
.LBB6_24431:                            ;   in Loop: Header=BB6_20708 Depth=3
	s_or_b64 exec, exec, s[30:31]
.LBB6_24432:                            ;   in Loop: Header=BB6_20708 Depth=3
	s_or_b64 exec, exec, s[28:29]
	v_add_f32_e32 v3, v25, v3
	v_and_b32_e32 v22, 0x7f800000, v3
	v_mov_b32_e32 v23, v33
	v_cmp_ne_u64_e32 vcc, s[76:77], v[22:23]
	v_and_b32_e32 v1, 0x7fffff, v3
	v_mov_b32_e32 v2, v33
                                        ; implicit-def: $vgpr50
	s_and_saveexec_b64 s[28:29], vcc
	s_xor_b64 s[30:31], exec, s[28:29]
	s_cbranch_execz .LBB6_24446
; %bb.24433:                            ;   in Loop: Header=BB6_20708 Depth=3
	v_and_b32_e32 v22, 0x7fffffff, v3
	v_mov_b32_e32 v23, v33
	v_cmp_gt_u64_e32 vcc, s[78:79], v[22:23]
	v_and_b32_sdwa v5, v3, s97 dst_sel:DWORD dst_unused:UNUSED_PAD src0_sel:BYTE_3 src1_sel:DWORD
                                        ; implicit-def: $vgpr50
	s_and_saveexec_b64 s[28:29], vcc
	s_xor_b64 s[34:35], exec, s[28:29]
	s_cbranch_execz .LBB6_24443
; %bb.24434:                            ;   in Loop: Header=BB6_20708 Depth=3
	v_mov_b32_e32 v50, 0
	v_cmp_ne_u32_e32 vcc, 0, v3
	s_and_saveexec_b64 s[36:37], vcc
	s_cbranch_execz .LBB6_24442
; %bb.24435:                            ;   in Loop: Header=BB6_20708 Depth=3
	v_bfe_u32 v22, v3, 23, 8
	v_cmp_gt_u32_e64 s[28:29], s47, v22
	v_sub_u32_e32 v3, 0x71, v22
	v_cmp_eq_u32_e32 vcc, 0, v22
	v_cndmask_b32_e64 v3, 0, v3, s[28:29]
	v_mov_b32_e32 v16, 0x70
	v_cndmask_b32_e32 v25, v3, v16, vcc
	v_add_u32_e32 v3, 21, v25
	v_or_b32_e32 v7, 0x800000, v1
	v_lshlrev_b64 v[36:37], v3, -1
	v_cndmask_b32_e32 v1, v7, v1, vcc
	v_add_u32_e32 v3, 20, v25
	v_bfi_b32 v36, v36, 0, v1
	v_lshlrev_b64 v[16:17], v3, 1
	v_lshrrev_b64 v[1:2], v25, v[1:2]
	v_bfi_b32 v37, v37, 0, 0
	v_cmp_eq_u64_e64 s[28:29], v[36:37], v[16:17]
	v_mov_b32_e32 v3, v2
	v_mov_b32_e32 v2, v1
	s_and_saveexec_b64 s[38:39], s[28:29]
; %bb.24436:                            ;   in Loop: Header=BB6_20708 Depth=3
	v_bfe_u32 v2, v1, 21, 1
	v_add_co_u32_e64 v2, s[28:29], v1, v2
	v_add_co_u32_e64 v2, s[28:29], -1, v2
; %bb.24437:                            ;   in Loop: Header=BB6_20708 Depth=3
	s_or_b64 exec, exec, s[38:39]
	v_add_u32_e32 v3, 0xffffff81, v22
	v_mov_b32_e32 v7, 0xffffff82
	v_cndmask_b32_e32 v3, v3, v7, vcc
	v_lshrrev_b32_e32 v7, 23, v1
	v_add3_u32 v22, v25, v3, v7
	v_add_u32_e32 v7, 14, v22
	v_and_b32_e32 v2, 0x1fffff, v2
	v_add_u32_e32 v1, v2, v1
	v_mov_b32_e32 v2, v33
	v_cmp_ne_u32_e32 vcc, 0, v7
                                        ; implicit-def: $vgpr3
	s_and_saveexec_b64 s[28:29], vcc
	s_xor_b64 s[28:29], exec, s[28:29]
; %bb.24438:                            ;   in Loop: Header=BB6_20708 Depth=3
	v_cmp_lt_u64_e32 vcc, s[88:89], v[1:2]
	v_add_u32_e32 v3, 15, v22
	v_cndmask_b32_e32 v3, v7, v3, vcc
	v_cndmask_b32_e64 v7, 0, 1, vcc
	v_lshrrev_b64 v[1:2], v7, v[1:2]
; %bb.24439:                            ;   in Loop: Header=BB6_20708 Depth=3
	s_andn2_saveexec_b64 s[28:29], s[28:29]
; %bb.24440:                            ;   in Loop: Header=BB6_20708 Depth=3
	v_bfe_u32 v3, v1, 23, 1
; %bb.24441:                            ;   in Loop: Header=BB6_20708 Depth=3
	s_or_b64 exec, exec, s[28:29]
	v_lshrrev_b64 v[1:2], 21, v[1:2]
	v_cmp_gt_i32_e32 vcc, 32, v3
	v_cndmask_b32_e32 v2, 0, v2, vcc
	v_cndmask_b32_e32 v1, 3, v1, vcc
	v_cmp_eq_u64_e64 s[28:29], 0, v[1:2]
	v_min_i32_e32 v2, 31, v3
	v_lshlrev_b32_e32 v2, 2, v2
	v_cmp_eq_u32_e32 vcc, 0, v3
	v_and_b32_e32 v2, 0xfc, v2
	v_and_or_b32 v1, v1, 3, v2
	s_and_b64 s[28:29], vcc, s[28:29]
	v_cndmask_b32_e64 v1, v1, 0, s[28:29]
	v_or_b32_e32 v50, v1, v5
.LBB6_24442:                            ;   in Loop: Header=BB6_20708 Depth=3
	s_or_b64 exec, exec, s[36:37]
                                        ; implicit-def: $vgpr5
.LBB6_24443:                            ;   in Loop: Header=BB6_20708 Depth=3
	s_andn2_saveexec_b64 s[28:29], s[34:35]
; %bb.24444:                            ;   in Loop: Header=BB6_20708 Depth=3
	v_or_b32_e32 v50, 0x7b, v5
; %bb.24445:                            ;   in Loop: Header=BB6_20708 Depth=3
	s_or_b64 exec, exec, s[28:29]
                                        ; implicit-def: $vgpr3
                                        ; implicit-def: $vgpr1_vgpr2
.LBB6_24446:                            ;   in Loop: Header=BB6_20708 Depth=3
	s_andn2_saveexec_b64 s[28:29], s[30:31]
	s_cbranch_execz .LBB6_24452
; %bb.24447:                            ;   in Loop: Header=BB6_20708 Depth=3
	v_cmp_ne_u64_e32 vcc, 0, v[1:2]
                                        ; implicit-def: $vgpr50
	s_and_saveexec_b64 s[62:63], vcc
	s_xor_b64 vcc, exec, s[62:63]
; %bb.24448:                            ;   in Loop: Header=BB6_20708 Depth=3
	v_or_b32_sdwa v50, v3, s44 dst_sel:DWORD dst_unused:UNUSED_PAD src0_sel:BYTE_3 src1_sel:DWORD
                                        ; implicit-def: $vgpr3
; %bb.24449:                            ;   in Loop: Header=BB6_20708 Depth=3
	s_andn2_saveexec_b64 s[30:31], vcc
; %bb.24450:                            ;   in Loop: Header=BB6_20708 Depth=3
	v_cmp_lt_i32_e32 vcc, -1, v3
	v_bfrev_b32_e32 v1, 0.5
	v_mov_b32_e32 v2, 0x7c
	v_cndmask_b32_e32 v50, v1, v2, vcc
; %bb.24451:                            ;   in Loop: Header=BB6_20708 Depth=3
	s_or_b64 exec, exec, s[30:31]
.LBB6_24452:                            ;   in Loop: Header=BB6_20708 Depth=3
	s_or_b64 exec, exec, s[28:29]
	v_and_b32_sdwa v5, v0, s96 dst_sel:DWORD dst_unused:UNUSED_PAD src0_sel:WORD_1 src1_sel:DWORD
	v_lshrrev_b32_e32 v1, 16, v0
	v_cmp_ne_u16_e32 vcc, 0, v5
	v_mov_b32_e32 v2, 0
	v_mov_b32_e32 v3, 0
	s_and_saveexec_b64 s[28:29], vcc
	s_cbranch_execz .LBB6_24460
; %bb.24453:                            ;   in Loop: Header=BB6_20708 Depth=3
	v_cmp_ne_u16_e32 vcc, s97, v5
	v_bfrev_b32_e32 v3, 1
	s_and_saveexec_b64 s[30:31], vcc
	s_cbranch_execz .LBB6_24459
; %bb.24454:                            ;   in Loop: Header=BB6_20708 Depth=3
	v_and_b32_e32 v3, 0x7c0000, v0
	v_bfe_u32 v5, v0, 16, 2
	v_cmp_ne_u32_e32 vcc, s45, v3
                                        ; implicit-def: $vgpr3
	s_and_saveexec_b64 s[62:63], vcc
	s_xor_b64 s[34:35], exec, s[62:63]
	s_cbranch_execz .LBB6_24456
; %bb.24455:                            ;   in Loop: Header=BB6_20708 Depth=3
	v_ffbh_u32_e32 v7, v5
	v_min_u32_e32 v7, 32, v7
	v_subrev_u32_e32 v16, 29, v7
	v_lshlrev_b64 v[16:17], v16, v[1:2]
	v_bfe_u32 v3, v0, 18, 5
	v_sub_u32_e32 v1, 30, v7
	v_and_b32_e32 v7, 3, v16
	v_cmp_eq_u32_e32 vcc, 0, v3
	v_cndmask_b32_e32 v1, v3, v1, vcc
	v_cndmask_b32_e32 v3, v5, v7, vcc
	v_lshlrev_b32_e32 v5, 8, v0
	v_and_b32_e32 v5, 0x80000000, v5
	v_lshl_add_u32 v1, v1, 23, v5
	v_lshl_or_b32 v1, v3, 21, v1
	v_add_u32_e32 v3, 0x38000000, v1
                                        ; implicit-def: $vgpr5
                                        ; implicit-def: $vgpr1
.LBB6_24456:                            ;   in Loop: Header=BB6_20708 Depth=3
	s_andn2_saveexec_b64 s[34:35], s[34:35]
; %bb.24457:                            ;   in Loop: Header=BB6_20708 Depth=3
	v_mov_b32_e32 v3, -1
	v_cmp_gt_i16_sdwa vcc, sext(v1), v3 src0_sel:BYTE_0 src1_sel:DWORD
	v_mov_b32_e32 v1, 0xff800000
	v_mov_b32_e32 v3, 0x7f800000
	v_cndmask_b32_e32 v1, v1, v3, vcc
	v_cmp_eq_u32_e32 vcc, 0, v5
	v_mov_b32_e32 v3, 0x7f800001
	v_cndmask_b32_e32 v3, v3, v1, vcc
; %bb.24458:                            ;   in Loop: Header=BB6_20708 Depth=3
	s_or_b64 exec, exec, s[34:35]
.LBB6_24459:                            ;   in Loop: Header=BB6_20708 Depth=3
	s_or_b64 exec, exec, s[30:31]
.LBB6_24460:                            ;   in Loop: Header=BB6_20708 Depth=3
	s_or_b64 exec, exec, s[28:29]
	v_lshrrev_b32_e32 v1, 16, v9
	v_cmp_ne_u16_sdwa s[62:63], v1, v33 src0_sel:BYTE_0 src1_sel:DWORD
	s_and_saveexec_b64 s[28:29], s[62:63]
	s_cbranch_execz .LBB6_24468
; %bb.24461:                            ;   in Loop: Header=BB6_20708 Depth=3
	v_cmp_ne_u16_sdwa s[62:63], v1, s97 src0_sel:BYTE_0 src1_sel:DWORD
	v_bfrev_b32_e32 v2, 1
	s_and_saveexec_b64 s[30:31], s[62:63]
	s_cbranch_execz .LBB6_24467
; %bb.24462:                            ;   in Loop: Header=BB6_20708 Depth=3
	v_and_b32_e32 v2, 0x7c0000, v9
	v_bfe_u32 v5, v9, 16, 2
	v_cmp_ne_u32_e32 vcc, s45, v2
                                        ; implicit-def: $vgpr2
	s_and_saveexec_b64 s[62:63], vcc
	s_xor_b64 s[34:35], exec, s[62:63]
	s_cbranch_execz .LBB6_24464
; %bb.24463:                            ;   in Loop: Header=BB6_20708 Depth=3
	v_ffbh_u32_e32 v2, v5
	v_min_u32_e32 v16, 32, v2
	v_subrev_u32_e32 v2, 29, v16
	v_lshlrev_b64 v[1:2], v2, v[1:2]
	v_bfe_u32 v7, v9, 18, 5
	v_and_b32_e32 v1, 3, v1
	v_cmp_eq_u32_e32 vcc, 0, v7
	v_sub_u32_e32 v2, 30, v16
	v_cndmask_b32_e32 v1, v5, v1, vcc
	v_lshlrev_b32_e32 v5, 8, v9
	v_cndmask_b32_e32 v2, v7, v2, vcc
	v_and_b32_e32 v5, 0x80000000, v5
	v_lshl_add_u32 v2, v2, 23, v5
	v_lshl_or_b32 v1, v1, 21, v2
	v_add_u32_e32 v2, 0x38000000, v1
                                        ; implicit-def: $vgpr5
                                        ; implicit-def: $vgpr1
.LBB6_24464:                            ;   in Loop: Header=BB6_20708 Depth=3
	s_andn2_saveexec_b64 s[34:35], s[34:35]
; %bb.24465:                            ;   in Loop: Header=BB6_20708 Depth=3
	v_mov_b32_e32 v2, -1
	v_cmp_gt_i16_sdwa vcc, sext(v1), v2 src0_sel:BYTE_0 src1_sel:DWORD
	v_mov_b32_e32 v1, 0xff800000
	v_mov_b32_e32 v2, 0x7f800000
	v_cndmask_b32_e32 v1, v1, v2, vcc
	v_cmp_eq_u32_e32 vcc, 0, v5
	v_mov_b32_e32 v2, 0x7f800001
	v_cndmask_b32_e32 v2, v2, v1, vcc
; %bb.24466:                            ;   in Loop: Header=BB6_20708 Depth=3
	s_or_b64 exec, exec, s[34:35]
.LBB6_24467:                            ;   in Loop: Header=BB6_20708 Depth=3
	s_or_b64 exec, exec, s[30:31]
.LBB6_24468:                            ;   in Loop: Header=BB6_20708 Depth=3
	s_or_b64 exec, exec, s[28:29]
	v_add_f32_e32 v3, v3, v2
	v_and_b32_e32 v16, 0x7f800000, v3
	v_mov_b32_e32 v17, v33
	v_cmp_ne_u64_e32 vcc, s[76:77], v[16:17]
	v_and_b32_e32 v1, 0x7fffff, v3
	v_mov_b32_e32 v2, v33
                                        ; implicit-def: $vgpr40
	s_and_saveexec_b64 s[28:29], vcc
	s_xor_b64 s[30:31], exec, s[28:29]
	s_cbranch_execz .LBB6_24482
; %bb.24469:                            ;   in Loop: Header=BB6_20708 Depth=3
	v_and_b32_e32 v16, 0x7fffffff, v3
	v_mov_b32_e32 v17, v33
	v_cmp_gt_u64_e32 vcc, s[78:79], v[16:17]
	v_and_b32_sdwa v5, v3, s97 dst_sel:DWORD dst_unused:UNUSED_PAD src0_sel:BYTE_3 src1_sel:DWORD
                                        ; implicit-def: $vgpr40
	s_and_saveexec_b64 s[28:29], vcc
	s_xor_b64 s[34:35], exec, s[28:29]
	s_cbranch_execz .LBB6_24479
; %bb.24470:                            ;   in Loop: Header=BB6_20708 Depth=3
	v_mov_b32_e32 v40, 0
	v_cmp_ne_u32_e32 vcc, 0, v3
	s_and_saveexec_b64 s[36:37], vcc
	s_cbranch_execz .LBB6_24478
; %bb.24471:                            ;   in Loop: Header=BB6_20708 Depth=3
	v_bfe_u32 v22, v3, 23, 8
	v_cmp_gt_u32_e64 s[28:29], s47, v22
	v_sub_u32_e32 v3, 0x71, v22
	v_cmp_eq_u32_e32 vcc, 0, v22
	v_cndmask_b32_e64 v3, 0, v3, s[28:29]
	v_mov_b32_e32 v16, 0x70
	v_cndmask_b32_e32 v25, v3, v16, vcc
	v_add_u32_e32 v3, 21, v25
	v_or_b32_e32 v7, 0x800000, v1
	v_lshlrev_b64 v[16:17], v3, -1
	v_cndmask_b32_e32 v1, v7, v1, vcc
	v_add_u32_e32 v3, 20, v25
	v_bfi_b32 v16, v16, 0, v1
	v_lshlrev_b64 v[36:37], v3, 1
	v_lshrrev_b64 v[1:2], v25, v[1:2]
	v_bfi_b32 v17, v17, 0, 0
	v_cmp_eq_u64_e64 s[28:29], v[16:17], v[36:37]
	v_mov_b32_e32 v3, v2
	v_mov_b32_e32 v2, v1
	s_and_saveexec_b64 s[38:39], s[28:29]
; %bb.24472:                            ;   in Loop: Header=BB6_20708 Depth=3
	v_bfe_u32 v2, v1, 21, 1
	v_add_co_u32_e64 v2, s[28:29], v1, v2
	v_add_co_u32_e64 v2, s[28:29], -1, v2
; %bb.24473:                            ;   in Loop: Header=BB6_20708 Depth=3
	s_or_b64 exec, exec, s[38:39]
	v_add_u32_e32 v3, 0xffffff81, v22
	v_mov_b32_e32 v7, 0xffffff82
	v_cndmask_b32_e32 v3, v3, v7, vcc
	v_lshrrev_b32_e32 v7, 23, v1
	v_add3_u32 v22, v25, v3, v7
	v_add_u32_e32 v7, 14, v22
	v_and_b32_e32 v2, 0x1fffff, v2
	v_add_u32_e32 v1, v2, v1
	v_mov_b32_e32 v2, v33
	v_cmp_ne_u32_e32 vcc, 0, v7
                                        ; implicit-def: $vgpr3
	s_and_saveexec_b64 s[28:29], vcc
	s_xor_b64 s[28:29], exec, s[28:29]
; %bb.24474:                            ;   in Loop: Header=BB6_20708 Depth=3
	v_cmp_lt_u64_e32 vcc, s[88:89], v[1:2]
	v_add_u32_e32 v3, 15, v22
	v_cndmask_b32_e32 v3, v7, v3, vcc
	v_cndmask_b32_e64 v7, 0, 1, vcc
	v_lshrrev_b64 v[1:2], v7, v[1:2]
; %bb.24475:                            ;   in Loop: Header=BB6_20708 Depth=3
	s_andn2_saveexec_b64 s[28:29], s[28:29]
; %bb.24476:                            ;   in Loop: Header=BB6_20708 Depth=3
	v_bfe_u32 v3, v1, 23, 1
; %bb.24477:                            ;   in Loop: Header=BB6_20708 Depth=3
	s_or_b64 exec, exec, s[28:29]
	v_lshrrev_b64 v[1:2], 21, v[1:2]
	v_cmp_gt_i32_e32 vcc, 32, v3
	v_cndmask_b32_e32 v2, 0, v2, vcc
	v_cndmask_b32_e32 v1, 3, v1, vcc
	v_cmp_eq_u64_e64 s[28:29], 0, v[1:2]
	v_min_i32_e32 v2, 31, v3
	v_lshlrev_b32_e32 v2, 2, v2
	v_cmp_eq_u32_e32 vcc, 0, v3
	v_and_b32_e32 v2, 0xfc, v2
	v_and_or_b32 v1, v1, 3, v2
	s_and_b64 s[28:29], vcc, s[28:29]
	v_cndmask_b32_e64 v1, v1, 0, s[28:29]
	v_or_b32_e32 v40, v1, v5
.LBB6_24478:                            ;   in Loop: Header=BB6_20708 Depth=3
	s_or_b64 exec, exec, s[36:37]
                                        ; implicit-def: $vgpr5
.LBB6_24479:                            ;   in Loop: Header=BB6_20708 Depth=3
	s_andn2_saveexec_b64 s[28:29], s[34:35]
; %bb.24480:                            ;   in Loop: Header=BB6_20708 Depth=3
	v_or_b32_e32 v40, 0x7b, v5
; %bb.24481:                            ;   in Loop: Header=BB6_20708 Depth=3
	s_or_b64 exec, exec, s[28:29]
                                        ; implicit-def: $vgpr3
                                        ; implicit-def: $vgpr1_vgpr2
.LBB6_24482:                            ;   in Loop: Header=BB6_20708 Depth=3
	s_andn2_saveexec_b64 s[28:29], s[30:31]
	s_cbranch_execz .LBB6_24488
; %bb.24483:                            ;   in Loop: Header=BB6_20708 Depth=3
	v_cmp_ne_u64_e32 vcc, 0, v[1:2]
                                        ; implicit-def: $vgpr40
	s_and_saveexec_b64 s[62:63], vcc
	s_xor_b64 vcc, exec, s[62:63]
; %bb.24484:                            ;   in Loop: Header=BB6_20708 Depth=3
	v_or_b32_sdwa v40, v3, s44 dst_sel:DWORD dst_unused:UNUSED_PAD src0_sel:BYTE_3 src1_sel:DWORD
                                        ; implicit-def: $vgpr3
; %bb.24485:                            ;   in Loop: Header=BB6_20708 Depth=3
	s_andn2_saveexec_b64 s[30:31], vcc
; %bb.24486:                            ;   in Loop: Header=BB6_20708 Depth=3
	v_cmp_lt_i32_e32 vcc, -1, v3
	v_bfrev_b32_e32 v1, 0.5
	v_mov_b32_e32 v2, 0x7c
	v_cndmask_b32_e32 v40, v1, v2, vcc
; %bb.24487:                            ;   in Loop: Header=BB6_20708 Depth=3
	s_or_b64 exec, exec, s[30:31]
.LBB6_24488:                            ;   in Loop: Header=BB6_20708 Depth=3
	s_or_b64 exec, exec, s[28:29]
	v_cmp_lt_u32_e32 vcc, s57, v0
	v_mov_b32_e32 v2, 0
	v_mov_b32_e32 v3, 0
	s_and_saveexec_b64 s[28:29], vcc
	s_cbranch_execz .LBB6_24496
; %bb.24489:                            ;   in Loop: Header=BB6_20708 Depth=3
	v_lshrrev_b32_e32 v1, 24, v0
	v_cmp_ne_u32_e32 vcc, s97, v1
	v_bfrev_b32_e32 v3, 1
	s_and_saveexec_b64 s[30:31], vcc
	s_cbranch_execz .LBB6_24495
; %bb.24490:                            ;   in Loop: Header=BB6_20708 Depth=3
	v_and_b32_e32 v3, 0x7c000000, v0
	v_bfe_u32 v5, v0, 24, 2
	v_cmp_ne_u32_e32 vcc, s68, v3
                                        ; implicit-def: $vgpr3
	s_and_saveexec_b64 s[62:63], vcc
	s_xor_b64 s[34:35], exec, s[62:63]
	s_cbranch_execz .LBB6_24492
; %bb.24491:                            ;   in Loop: Header=BB6_20708 Depth=3
	v_ffbh_u32_e32 v7, v5
	v_min_u32_e32 v7, 32, v7
	v_subrev_u32_e32 v16, 29, v7
	v_bfe_u32 v3, v0, 26, 5
	v_lshlrev_b64 v[16:17], v16, v[1:2]
	v_sub_u32_e32 v1, 30, v7
	v_cmp_eq_u32_e32 vcc, 0, v3
	v_and_b32_e32 v7, 3, v16
	v_cndmask_b32_e32 v1, v3, v1, vcc
	v_and_b32_e32 v0, 0x80000000, v0
	v_cndmask_b32_e32 v3, v5, v7, vcc
	v_lshl_add_u32 v0, v1, 23, v0
	v_lshl_or_b32 v0, v3, 21, v0
	v_add_u32_e32 v3, 0x38000000, v0
                                        ; implicit-def: $vgpr5
                                        ; implicit-def: $vgpr0_vgpr1
.LBB6_24492:                            ;   in Loop: Header=BB6_20708 Depth=3
	s_andn2_saveexec_b64 s[34:35], s[34:35]
; %bb.24493:                            ;   in Loop: Header=BB6_20708 Depth=3
	v_cmp_lt_i32_e32 vcc, -1, v0
	v_mov_b32_e32 v0, 0xff800000
	v_mov_b32_e32 v1, 0x7f800000
	v_cndmask_b32_e32 v0, v0, v1, vcc
	v_cmp_eq_u32_e32 vcc, 0, v5
	v_mov_b32_e32 v1, 0x7f800001
	v_cndmask_b32_e32 v3, v1, v0, vcc
; %bb.24494:                            ;   in Loop: Header=BB6_20708 Depth=3
	s_or_b64 exec, exec, s[34:35]
.LBB6_24495:                            ;   in Loop: Header=BB6_20708 Depth=3
	s_or_b64 exec, exec, s[30:31]
.LBB6_24496:                            ;   in Loop: Header=BB6_20708 Depth=3
	s_or_b64 exec, exec, s[28:29]
	v_cmp_lt_u64_e32 vcc, s[56:57], v[8:9]
	s_and_saveexec_b64 s[28:29], vcc
	s_cbranch_execz .LBB6_24504
; %bb.24497:                            ;   in Loop: Header=BB6_20708 Depth=3
	v_lshrrev_b32_e32 v0, 24, v9
	v_cmp_ne_u32_e32 vcc, s97, v0
	v_bfrev_b32_e32 v2, 1
	s_and_saveexec_b64 s[30:31], vcc
	s_cbranch_execz .LBB6_24503
; %bb.24498:                            ;   in Loop: Header=BB6_20708 Depth=3
	v_and_b32_e32 v2, 0x7c000000, v9
	v_bfe_u32 v1, v9, 24, 2
	v_cmp_ne_u32_e32 vcc, s68, v2
                                        ; implicit-def: $vgpr2
	s_and_saveexec_b64 s[62:63], vcc
	s_xor_b64 s[34:35], exec, s[62:63]
	s_cbranch_execz .LBB6_24500
; %bb.24499:                            ;   in Loop: Header=BB6_20708 Depth=3
	v_ffbh_u32_e32 v5, v1
	v_min_u32_e32 v5, 32, v5
	v_subrev_u32_e32 v7, 29, v5
	v_bfe_u32 v2, v9, 26, 5
	v_lshlrev_b64 v[16:17], v7, v[0:1]
	v_sub_u32_e32 v0, 30, v5
	v_cmp_eq_u32_e32 vcc, 0, v2
	v_and_b32_e32 v5, 3, v16
	v_cndmask_b32_e32 v0, v2, v0, vcc
	v_and_b32_e32 v2, 0x80000000, v9
	v_cndmask_b32_e32 v1, v1, v5, vcc
	v_lshl_add_u32 v0, v0, 23, v2
	v_lshl_or_b32 v0, v1, 21, v0
	v_add_u32_e32 v2, 0x38000000, v0
                                        ; implicit-def: $vgpr1
.LBB6_24500:                            ;   in Loop: Header=BB6_20708 Depth=3
	s_andn2_saveexec_b64 s[34:35], s[34:35]
; %bb.24501:                            ;   in Loop: Header=BB6_20708 Depth=3
	v_cmp_lt_i64_e32 vcc, -1, v[8:9]
	v_mov_b32_e32 v0, 0xff800000
	v_mov_b32_e32 v2, 0x7f800000
	v_cndmask_b32_e32 v0, v0, v2, vcc
	v_cmp_eq_u32_e32 vcc, 0, v1
	v_mov_b32_e32 v1, 0x7f800001
	v_cndmask_b32_e32 v2, v1, v0, vcc
; %bb.24502:                            ;   in Loop: Header=BB6_20708 Depth=3
	s_or_b64 exec, exec, s[34:35]
.LBB6_24503:                            ;   in Loop: Header=BB6_20708 Depth=3
	s_or_b64 exec, exec, s[30:31]
.LBB6_24504:                            ;   in Loop: Header=BB6_20708 Depth=3
	s_or_b64 exec, exec, s[28:29]
	v_add_f32_e32 v2, v3, v2
	v_and_b32_e32 v7, 0x7f800000, v2
	v_mov_b32_e32 v8, v33
	v_cmp_ne_u64_e32 vcc, s[76:77], v[7:8]
	v_and_b32_e32 v0, 0x7fffff, v2
	v_mov_b32_e32 v1, v33
                                        ; implicit-def: $vgpr8
	s_and_saveexec_b64 s[28:29], vcc
	s_xor_b64 s[30:31], exec, s[28:29]
	s_cbranch_execz .LBB6_24518
; %bb.24505:                            ;   in Loop: Header=BB6_20708 Depth=3
	v_and_b32_e32 v7, 0x7fffffff, v2
	v_mov_b32_e32 v8, v33
	v_cmp_gt_u64_e32 vcc, s[78:79], v[7:8]
	v_and_b32_sdwa v3, v2, s97 dst_sel:DWORD dst_unused:UNUSED_PAD src0_sel:BYTE_3 src1_sel:DWORD
                                        ; implicit-def: $vgpr8
	s_and_saveexec_b64 s[28:29], vcc
	s_xor_b64 s[34:35], exec, s[28:29]
	s_cbranch_execz .LBB6_24515
; %bb.24506:                            ;   in Loop: Header=BB6_20708 Depth=3
	v_mov_b32_e32 v8, 0
	v_cmp_ne_u32_e32 vcc, 0, v2
	s_and_saveexec_b64 s[36:37], vcc
	s_cbranch_execz .LBB6_24514
; %bb.24507:                            ;   in Loop: Header=BB6_20708 Depth=3
	v_bfe_u32 v5, v2, 23, 8
	v_cmp_gt_u32_e64 s[28:29], s47, v5
	v_sub_u32_e32 v2, 0x71, v5
	v_cmp_eq_u32_e32 vcc, 0, v5
	v_cndmask_b32_e64 v2, 0, v2, s[28:29]
	v_mov_b32_e32 v8, 0x70
	v_cndmask_b32_e32 v8, v2, v8, vcc
	v_add_u32_e32 v2, 21, v8
	v_or_b32_e32 v7, 0x800000, v0
	v_lshlrev_b64 v[16:17], v2, -1
	v_cndmask_b32_e32 v0, v7, v0, vcc
	v_add_u32_e32 v2, 20, v8
	v_bfi_b32 v16, v16, 0, v0
	v_lshlrev_b64 v[22:23], v2, 1
	v_lshrrev_b64 v[0:1], v8, v[0:1]
	v_bfi_b32 v17, v17, 0, 0
	v_cmp_eq_u64_e64 s[28:29], v[16:17], v[22:23]
	v_mov_b32_e32 v2, v1
	v_mov_b32_e32 v1, v0
	s_and_saveexec_b64 s[38:39], s[28:29]
; %bb.24508:                            ;   in Loop: Header=BB6_20708 Depth=3
	v_bfe_u32 v1, v0, 21, 1
	v_add_co_u32_e64 v1, s[28:29], v0, v1
	v_add_co_u32_e64 v1, s[28:29], -1, v1
; %bb.24509:                            ;   in Loop: Header=BB6_20708 Depth=3
	s_or_b64 exec, exec, s[38:39]
	v_add_u32_e32 v2, 0xffffff81, v5
	v_mov_b32_e32 v5, 0xffffff82
	v_cndmask_b32_e32 v2, v2, v5, vcc
	v_lshrrev_b32_e32 v5, 23, v0
	v_add3_u32 v7, v8, v2, v5
	v_add_u32_e32 v5, 14, v7
	v_and_b32_e32 v1, 0x1fffff, v1
	v_add_u32_e32 v0, v1, v0
	v_mov_b32_e32 v1, v33
	v_cmp_ne_u32_e32 vcc, 0, v5
                                        ; implicit-def: $vgpr2
	s_and_saveexec_b64 s[28:29], vcc
	s_xor_b64 s[28:29], exec, s[28:29]
; %bb.24510:                            ;   in Loop: Header=BB6_20708 Depth=3
	v_cmp_lt_u64_e32 vcc, s[88:89], v[0:1]
	v_add_u32_e32 v2, 15, v7
	v_cndmask_b32_e32 v2, v5, v2, vcc
	v_cndmask_b32_e64 v5, 0, 1, vcc
	v_lshrrev_b64 v[0:1], v5, v[0:1]
; %bb.24511:                            ;   in Loop: Header=BB6_20708 Depth=3
	s_andn2_saveexec_b64 s[28:29], s[28:29]
; %bb.24512:                            ;   in Loop: Header=BB6_20708 Depth=3
	v_bfe_u32 v2, v0, 23, 1
; %bb.24513:                            ;   in Loop: Header=BB6_20708 Depth=3
	s_or_b64 exec, exec, s[28:29]
	v_lshrrev_b64 v[0:1], 21, v[0:1]
	v_cmp_gt_i32_e32 vcc, 32, v2
	v_cndmask_b32_e32 v1, 0, v1, vcc
	v_cndmask_b32_e32 v0, 3, v0, vcc
	v_cmp_eq_u64_e64 s[28:29], 0, v[0:1]
	v_min_i32_e32 v1, 31, v2
	v_lshlrev_b32_e32 v1, 2, v1
	v_cmp_eq_u32_e32 vcc, 0, v2
	v_and_b32_e32 v1, 0xfc, v1
	v_and_or_b32 v0, v0, 3, v1
	s_and_b64 s[28:29], vcc, s[28:29]
	v_cndmask_b32_e64 v0, v0, 0, s[28:29]
	v_or_b32_e32 v8, v0, v3
.LBB6_24514:                            ;   in Loop: Header=BB6_20708 Depth=3
	s_or_b64 exec, exec, s[36:37]
                                        ; implicit-def: $vgpr3
.LBB6_24515:                            ;   in Loop: Header=BB6_20708 Depth=3
	s_andn2_saveexec_b64 s[28:29], s[34:35]
; %bb.24516:                            ;   in Loop: Header=BB6_20708 Depth=3
	v_or_b32_e32 v8, 0x7b, v3
; %bb.24517:                            ;   in Loop: Header=BB6_20708 Depth=3
	s_or_b64 exec, exec, s[28:29]
                                        ; implicit-def: $vgpr2
                                        ; implicit-def: $vgpr0_vgpr1
.LBB6_24518:                            ;   in Loop: Header=BB6_20708 Depth=3
	s_andn2_saveexec_b64 s[28:29], s[30:31]
	s_cbranch_execz .LBB6_24524
; %bb.24519:                            ;   in Loop: Header=BB6_20708 Depth=3
	v_cmp_ne_u64_e32 vcc, 0, v[0:1]
                                        ; implicit-def: $vgpr8
	s_and_saveexec_b64 s[62:63], vcc
	s_xor_b64 vcc, exec, s[62:63]
; %bb.24520:                            ;   in Loop: Header=BB6_20708 Depth=3
	v_or_b32_sdwa v8, v2, s44 dst_sel:DWORD dst_unused:UNUSED_PAD src0_sel:BYTE_3 src1_sel:DWORD
                                        ; implicit-def: $vgpr2
; %bb.24521:                            ;   in Loop: Header=BB6_20708 Depth=3
	s_andn2_saveexec_b64 s[30:31], vcc
; %bb.24522:                            ;   in Loop: Header=BB6_20708 Depth=3
	v_cmp_lt_i32_e32 vcc, -1, v2
	v_bfrev_b32_e32 v0, 0.5
	v_mov_b32_e32 v1, 0x7c
	v_cndmask_b32_e32 v8, v0, v1, vcc
; %bb.24523:                            ;   in Loop: Header=BB6_20708 Depth=3
	s_or_b64 exec, exec, s[30:31]
.LBB6_24524:                            ;   in Loop: Header=BB6_20708 Depth=3
	s_or_b64 exec, exec, s[28:29]
	buffer_load_dword v0, off, s[0:3], s33 offset:124 ; 4-byte Folded Reload
	buffer_load_dword v1, off, s[0:3], s33 offset:164 ; 4-byte Folded Reload
	v_cmp_ne_u32_e32 vcc, 0, v28
	v_mov_b32_e32 v2, 0
	v_mov_b32_e32 v3, 0
	s_waitcnt vmcnt(1)
	v_lshl_or_b32 v5, v0, 8, v28
	buffer_load_dword v0, off, s[0:3], s33 offset:140 ; 4-byte Folded Reload
	s_waitcnt vmcnt(1)
	v_lshlrev_b32_e32 v1, 24, v1
	s_waitcnt vmcnt(0)
	v_lshlrev_b32_e32 v0, 16, v0
	v_or3_b32 v0, v0, v1, v5
	v_mov_b32_e32 v1, v33
	s_and_saveexec_b64 s[30:31], vcc
	s_cbranch_execz .LBB6_24532
; %bb.24525:                            ;   in Loop: Header=BB6_20708 Depth=3
	v_cmp_ne_u32_e32 vcc, s97, v28
	v_bfrev_b32_e32 v3, 1
	s_and_saveexec_b64 s[34:35], vcc
	s_cbranch_execz .LBB6_24531
; %bb.24526:                            ;   in Loop: Header=BB6_20708 Depth=3
	v_and_b32_e32 v3, 0x7c, v28
	v_and_b32_e32 v7, 3, v28
	v_cmp_ne_u32_e32 vcc, s86, v3
                                        ; implicit-def: $vgpr3
	s_and_saveexec_b64 s[28:29], vcc
	s_xor_b64 s[28:29], exec, s[28:29]
	s_cbranch_execz .LBB6_24528
; %bb.24527:                            ;   in Loop: Header=BB6_20708 Depth=3
	v_ffbh_u32_e32 v9, v7
	v_min_u32_e32 v9, 32, v9
	v_subrev_u32_e32 v16, 29, v9
	v_lshlrev_b64 v[16:17], v16, v[0:1]
	v_bfe_u32 v3, v28, 2, 5
	v_sub_u32_e32 v1, 30, v9
	v_and_b32_e32 v9, 3, v16
	v_cmp_eq_u32_e32 vcc, 0, v3
	v_cndmask_b32_e32 v1, v3, v1, vcc
	v_cndmask_b32_e32 v3, v7, v9, vcc
	v_lshlrev_b32_e32 v7, 24, v28
	v_and_b32_e32 v7, 0x80000000, v7
	v_lshl_add_u32 v1, v1, 23, v7
	v_lshl_or_b32 v1, v3, 21, v1
	v_add_u32_e32 v3, 0x38000000, v1
                                        ; implicit-def: $vgpr7
                                        ; implicit-def: $vgpr28
.LBB6_24528:                            ;   in Loop: Header=BB6_20708 Depth=3
	s_andn2_saveexec_b64 s[36:37], s[28:29]
; %bb.24529:                            ;   in Loop: Header=BB6_20708 Depth=3
	v_and_b32_e32 v1, 0x80, v28
	v_cmp_eq_u32_e64 s[28:29], 0, v1
	v_mov_b32_e32 v1, 0xff800000
	v_mov_b32_e32 v3, 0x7f800000
	v_cmp_eq_u32_e32 vcc, 0, v7
	v_cndmask_b32_e64 v1, v1, v3, s[28:29]
	v_mov_b32_e32 v3, 0x7f800001
	v_cndmask_b32_e32 v3, v3, v1, vcc
; %bb.24530:                            ;   in Loop: Header=BB6_20708 Depth=3
	s_or_b64 exec, exec, s[36:37]
.LBB6_24531:                            ;   in Loop: Header=BB6_20708 Depth=3
	s_or_b64 exec, exec, s[34:35]
.LBB6_24532:                            ;   in Loop: Header=BB6_20708 Depth=3
	s_or_b64 exec, exec, s[30:31]
	v_cmp_ne_u16_sdwa s[62:63], v10, v33 src0_sel:BYTE_0 src1_sel:DWORD
	s_and_saveexec_b64 s[28:29], s[62:63]
	s_cbranch_execz .LBB6_24540
; %bb.24533:                            ;   in Loop: Header=BB6_20708 Depth=3
	v_cmp_ne_u16_sdwa s[62:63], sext(v10), s46 src0_sel:BYTE_0 src1_sel:DWORD
	v_bfrev_b32_e32 v2, 1
	s_and_saveexec_b64 s[30:31], s[62:63]
	s_cbranch_execz .LBB6_24539
; %bb.24534:                            ;   in Loop: Header=BB6_20708 Depth=3
	v_and_b32_e32 v2, 0x7c, v10
	v_and_b32_e32 v1, 3, v10
	v_cmp_ne_u32_e32 vcc, s86, v2
                                        ; implicit-def: $vgpr2
	s_and_saveexec_b64 s[62:63], vcc
	s_xor_b64 s[34:35], exec, s[62:63]
	s_cbranch_execz .LBB6_24536
; %bb.24535:                            ;   in Loop: Header=BB6_20708 Depth=3
	v_ffbh_u32_e32 v7, v1
	v_min_u32_e32 v7, 32, v7
	v_bfe_u32 v2, v10, 2, 5
	v_subrev_u32_e32 v9, 29, v7
	v_lshlrev_b64 v[16:17], v9, v[10:11]
	v_sub_u32_e32 v7, 30, v7
	v_cmp_eq_u32_e32 vcc, 0, v2
	v_cndmask_b32_e32 v2, v2, v7, vcc
	v_lshlrev_b32_e32 v7, 24, v10
	v_and_b32_e32 v9, 3, v16
	v_and_b32_e32 v7, 0x80000000, v7
	v_cndmask_b32_e32 v1, v1, v9, vcc
	v_lshl_add_u32 v2, v2, 23, v7
	v_lshl_or_b32 v1, v1, 21, v2
	v_add_u32_e32 v2, 0x38000000, v1
                                        ; implicit-def: $vgpr1
.LBB6_24536:                            ;   in Loop: Header=BB6_20708 Depth=3
	s_andn2_saveexec_b64 s[34:35], s[34:35]
; %bb.24537:                            ;   in Loop: Header=BB6_20708 Depth=3
	v_mov_b32_e32 v2, -1
	v_cmp_gt_i16_sdwa vcc, sext(v10), v2 src0_sel:BYTE_0 src1_sel:DWORD
	v_mov_b32_e32 v2, 0xff800000
	v_mov_b32_e32 v7, 0x7f800000
	v_cndmask_b32_e32 v2, v2, v7, vcc
	v_cmp_eq_u32_e32 vcc, 0, v1
	v_mov_b32_e32 v1, 0x7f800001
	v_cndmask_b32_e32 v2, v1, v2, vcc
; %bb.24538:                            ;   in Loop: Header=BB6_20708 Depth=3
	s_or_b64 exec, exec, s[34:35]
.LBB6_24539:                            ;   in Loop: Header=BB6_20708 Depth=3
	s_or_b64 exec, exec, s[30:31]
.LBB6_24540:                            ;   in Loop: Header=BB6_20708 Depth=3
	s_or_b64 exec, exec, s[28:29]
	v_add_f32_e32 v3, v3, v2
	v_and_b32_e32 v16, 0x7f800000, v3
	v_mov_b32_e32 v17, v33
	v_cmp_ne_u64_e32 vcc, s[76:77], v[16:17]
	v_and_b32_e32 v1, 0x7fffff, v3
	v_mov_b32_e32 v2, v33
                                        ; implicit-def: $vgpr9
	s_and_saveexec_b64 s[28:29], vcc
	s_xor_b64 s[30:31], exec, s[28:29]
	s_cbranch_execz .LBB6_24554
; %bb.24541:                            ;   in Loop: Header=BB6_20708 Depth=3
	v_and_b32_e32 v16, 0x7fffffff, v3
	v_mov_b32_e32 v17, v33
	v_cmp_gt_u64_e32 vcc, s[78:79], v[16:17]
	v_and_b32_sdwa v25, v3, s97 dst_sel:DWORD dst_unused:UNUSED_PAD src0_sel:BYTE_3 src1_sel:DWORD
                                        ; implicit-def: $vgpr9
	s_and_saveexec_b64 s[28:29], vcc
	s_xor_b64 s[34:35], exec, s[28:29]
	s_cbranch_execz .LBB6_24551
; %bb.24542:                            ;   in Loop: Header=BB6_20708 Depth=3
	v_mov_b32_e32 v9, 0
	v_cmp_ne_u32_e32 vcc, 0, v3
	s_and_saveexec_b64 s[36:37], vcc
	s_cbranch_execz .LBB6_24550
; %bb.24543:                            ;   in Loop: Header=BB6_20708 Depth=3
	v_bfe_u32 v9, v3, 23, 8
	v_cmp_gt_u32_e64 s[28:29], s47, v9
	v_sub_u32_e32 v3, 0x71, v9
	v_cmp_eq_u32_e32 vcc, 0, v9
	v_cndmask_b32_e64 v3, 0, v3, s[28:29]
	v_mov_b32_e32 v16, 0x70
	v_cndmask_b32_e32 v22, v3, v16, vcc
	v_add_u32_e32 v3, 21, v22
	v_or_b32_e32 v7, 0x800000, v1
	v_lshlrev_b64 v[16:17], v3, -1
	v_cndmask_b32_e32 v1, v7, v1, vcc
	v_add_u32_e32 v3, 20, v22
	v_bfi_b32 v16, v16, 0, v1
	v_lshlrev_b64 v[28:29], v3, 1
	v_lshrrev_b64 v[1:2], v22, v[1:2]
	v_bfi_b32 v17, v17, 0, 0
	v_cmp_eq_u64_e64 s[28:29], v[16:17], v[28:29]
	v_mov_b32_e32 v3, v2
	v_mov_b32_e32 v2, v1
	s_and_saveexec_b64 s[38:39], s[28:29]
; %bb.24544:                            ;   in Loop: Header=BB6_20708 Depth=3
	v_bfe_u32 v2, v1, 21, 1
	v_add_co_u32_e64 v2, s[28:29], v1, v2
	v_add_co_u32_e64 v2, s[28:29], -1, v2
; %bb.24545:                            ;   in Loop: Header=BB6_20708 Depth=3
	s_or_b64 exec, exec, s[38:39]
	v_add_u32_e32 v3, 0xffffff81, v9
	v_mov_b32_e32 v7, 0xffffff82
	v_cndmask_b32_e32 v3, v3, v7, vcc
	v_lshrrev_b32_e32 v7, 23, v1
	v_add3_u32 v9, v22, v3, v7
	v_add_u32_e32 v7, 14, v9
	v_and_b32_e32 v2, 0x1fffff, v2
	v_add_u32_e32 v1, v2, v1
	v_mov_b32_e32 v2, v33
	v_cmp_ne_u32_e32 vcc, 0, v7
                                        ; implicit-def: $vgpr3
	s_and_saveexec_b64 s[28:29], vcc
	s_xor_b64 s[28:29], exec, s[28:29]
; %bb.24546:                            ;   in Loop: Header=BB6_20708 Depth=3
	v_cmp_lt_u64_e32 vcc, s[88:89], v[1:2]
	v_add_u32_e32 v3, 15, v9
	v_cndmask_b32_e32 v3, v7, v3, vcc
	v_cndmask_b32_e64 v7, 0, 1, vcc
	v_lshrrev_b64 v[1:2], v7, v[1:2]
; %bb.24547:                            ;   in Loop: Header=BB6_20708 Depth=3
	s_andn2_saveexec_b64 s[28:29], s[28:29]
; %bb.24548:                            ;   in Loop: Header=BB6_20708 Depth=3
	v_bfe_u32 v3, v1, 23, 1
; %bb.24549:                            ;   in Loop: Header=BB6_20708 Depth=3
	s_or_b64 exec, exec, s[28:29]
	v_lshrrev_b64 v[1:2], 21, v[1:2]
	v_cmp_gt_i32_e32 vcc, 32, v3
	v_cndmask_b32_e32 v2, 0, v2, vcc
	v_cndmask_b32_e32 v1, 3, v1, vcc
	v_cmp_eq_u64_e64 s[28:29], 0, v[1:2]
	v_min_i32_e32 v2, 31, v3
	v_lshlrev_b32_e32 v2, 2, v2
	v_cmp_eq_u32_e32 vcc, 0, v3
	v_and_b32_e32 v2, 0xfc, v2
	v_and_or_b32 v1, v1, 3, v2
	s_and_b64 s[28:29], vcc, s[28:29]
	v_cndmask_b32_e64 v1, v1, 0, s[28:29]
	v_or_b32_e32 v9, v1, v25
.LBB6_24550:                            ;   in Loop: Header=BB6_20708 Depth=3
	s_or_b64 exec, exec, s[36:37]
                                        ; implicit-def: $vgpr25
.LBB6_24551:                            ;   in Loop: Header=BB6_20708 Depth=3
	s_andn2_saveexec_b64 s[28:29], s[34:35]
; %bb.24552:                            ;   in Loop: Header=BB6_20708 Depth=3
	v_or_b32_e32 v9, 0x7b, v25
; %bb.24553:                            ;   in Loop: Header=BB6_20708 Depth=3
	s_or_b64 exec, exec, s[28:29]
                                        ; implicit-def: $vgpr3
                                        ; implicit-def: $vgpr1_vgpr2
.LBB6_24554:                            ;   in Loop: Header=BB6_20708 Depth=3
	s_andn2_saveexec_b64 s[28:29], s[30:31]
	s_cbranch_execz .LBB6_24560
; %bb.24555:                            ;   in Loop: Header=BB6_20708 Depth=3
	v_cmp_ne_u64_e32 vcc, 0, v[1:2]
                                        ; implicit-def: $vgpr9
	s_and_saveexec_b64 s[62:63], vcc
	s_xor_b64 vcc, exec, s[62:63]
; %bb.24556:                            ;   in Loop: Header=BB6_20708 Depth=3
	v_or_b32_sdwa v9, v3, s44 dst_sel:DWORD dst_unused:UNUSED_PAD src0_sel:BYTE_3 src1_sel:DWORD
                                        ; implicit-def: $vgpr3
; %bb.24557:                            ;   in Loop: Header=BB6_20708 Depth=3
	s_andn2_saveexec_b64 s[30:31], vcc
; %bb.24558:                            ;   in Loop: Header=BB6_20708 Depth=3
	v_cmp_lt_i32_e32 vcc, -1, v3
	v_bfrev_b32_e32 v1, 0.5
	v_mov_b32_e32 v2, 0x7c
	v_cndmask_b32_e32 v9, v1, v2, vcc
; %bb.24559:                            ;   in Loop: Header=BB6_20708 Depth=3
	s_or_b64 exec, exec, s[30:31]
.LBB6_24560:                            ;   in Loop: Header=BB6_20708 Depth=3
	s_or_b64 exec, exec, s[28:29]
	v_lshrrev_b16_e32 v1, 8, v5
	v_cmp_ne_u16_e32 vcc, 0, v1
	v_mov_b32_e32 v3, 0
	v_mov_b32_e32 v25, 0
	s_and_saveexec_b64 s[28:29], vcc
	s_cbranch_execz .LBB6_24568
; %bb.24561:                            ;   in Loop: Header=BB6_20708 Depth=3
	v_cmp_ne_u16_e32 vcc, s97, v1
	v_bfrev_b32_e32 v25, 1
	s_and_saveexec_b64 s[30:31], vcc
	s_cbranch_execz .LBB6_24567
; %bb.24562:                            ;   in Loop: Header=BB6_20708 Depth=3
	v_and_b32_e32 v2, 0x7c, v1
	v_and_b32_e32 v7, 3, v1
	v_cmp_ne_u32_e32 vcc, s86, v2
                                        ; implicit-def: $vgpr25
	s_and_saveexec_b64 s[62:63], vcc
	s_xor_b64 s[34:35], exec, s[62:63]
	s_cbranch_execz .LBB6_24564
; %bb.24563:                            ;   in Loop: Header=BB6_20708 Depth=3
	v_ffbh_u32_e32 v17, v7
	v_min_u32_e32 v17, 32, v17
	v_mov_b32_e32 v2, v33
	v_subrev_u32_e32 v22, 29, v17
	v_bfe_u32 v16, v1, 2, 5
	v_lshlrev_b64 v[1:2], v22, v[1:2]
	v_sub_u32_e32 v2, 30, v17
	v_cmp_eq_u32_e32 vcc, 0, v16
	v_lshlrev_b32_e32 v5, 16, v5
	v_and_b32_e32 v1, 3, v1
	v_cndmask_b32_e32 v2, v16, v2, vcc
	v_and_b32_e32 v5, 0x80000000, v5
	v_cndmask_b32_e32 v1, v7, v1, vcc
	v_lshl_add_u32 v2, v2, 23, v5
	v_lshl_or_b32 v1, v1, 21, v2
	v_add_u32_e32 v25, 0x38000000, v1
                                        ; implicit-def: $vgpr7
                                        ; implicit-def: $vgpr5
.LBB6_24564:                            ;   in Loop: Header=BB6_20708 Depth=3
	s_andn2_saveexec_b64 s[34:35], s[34:35]
; %bb.24565:                            ;   in Loop: Header=BB6_20708 Depth=3
	v_cmp_lt_i16_e32 vcc, -1, v5
	v_mov_b32_e32 v1, 0xff800000
	v_mov_b32_e32 v2, 0x7f800000
	v_cndmask_b32_e32 v1, v1, v2, vcc
	v_cmp_eq_u32_e32 vcc, 0, v7
	v_mov_b32_e32 v2, 0x7f800001
	v_cndmask_b32_e32 v25, v2, v1, vcc
; %bb.24566:                            ;   in Loop: Header=BB6_20708 Depth=3
	s_or_b64 exec, exec, s[34:35]
.LBB6_24567:                            ;   in Loop: Header=BB6_20708 Depth=3
	s_or_b64 exec, exec, s[30:31]
.LBB6_24568:                            ;   in Loop: Header=BB6_20708 Depth=3
	s_or_b64 exec, exec, s[28:29]
	v_lshrrev_b16_e32 v1, 8, v10
	v_cmp_ne_u16_e32 vcc, 0, v1
	s_and_saveexec_b64 s[28:29], vcc
	s_cbranch_execz .LBB6_24576
; %bb.24569:                            ;   in Loop: Header=BB6_20708 Depth=3
	v_cmp_ne_u16_e32 vcc, s97, v1
	v_bfrev_b32_e32 v3, 1
	s_and_saveexec_b64 s[30:31], vcc
	s_cbranch_execz .LBB6_24575
; %bb.24570:                            ;   in Loop: Header=BB6_20708 Depth=3
	v_and_b32_e32 v2, 0x7c, v1
	v_and_b32_e32 v5, 3, v1
	v_cmp_ne_u32_e32 vcc, s86, v2
                                        ; implicit-def: $vgpr3
	s_and_saveexec_b64 s[62:63], vcc
	s_xor_b64 s[34:35], exec, s[62:63]
	s_cbranch_execz .LBB6_24572
; %bb.24571:                            ;   in Loop: Header=BB6_20708 Depth=3
	v_ffbh_u32_e32 v7, v5
	v_min_u32_e32 v7, 32, v7
	v_mov_b32_e32 v2, v33
	v_subrev_u32_e32 v16, 29, v7
	v_bfe_u32 v3, v1, 2, 5
	v_lshlrev_b64 v[1:2], v16, v[1:2]
	v_sub_u32_e32 v2, 30, v7
	v_cmp_eq_u32_e32 vcc, 0, v3
	v_cndmask_b32_e32 v2, v3, v2, vcc
	v_lshlrev_b32_e32 v3, 16, v10
	v_and_b32_e32 v1, 3, v1
	v_and_b32_e32 v3, 0x80000000, v3
	v_cndmask_b32_e32 v1, v5, v1, vcc
	v_lshl_add_u32 v2, v2, 23, v3
	v_lshl_or_b32 v1, v1, 21, v2
	v_add_u32_e32 v3, 0x38000000, v1
                                        ; implicit-def: $vgpr5
.LBB6_24572:                            ;   in Loop: Header=BB6_20708 Depth=3
	s_andn2_saveexec_b64 s[34:35], s[34:35]
; %bb.24573:                            ;   in Loop: Header=BB6_20708 Depth=3
	v_cmp_lt_i16_e32 vcc, -1, v10
	v_mov_b32_e32 v1, 0xff800000
	v_mov_b32_e32 v2, 0x7f800000
	v_cndmask_b32_e32 v1, v1, v2, vcc
	v_cmp_eq_u32_e32 vcc, 0, v5
	v_mov_b32_e32 v2, 0x7f800001
	v_cndmask_b32_e32 v3, v2, v1, vcc
; %bb.24574:                            ;   in Loop: Header=BB6_20708 Depth=3
	s_or_b64 exec, exec, s[34:35]
.LBB6_24575:                            ;   in Loop: Header=BB6_20708 Depth=3
	s_or_b64 exec, exec, s[30:31]
.LBB6_24576:                            ;   in Loop: Header=BB6_20708 Depth=3
	s_or_b64 exec, exec, s[28:29]
	v_add_f32_e32 v3, v25, v3
	v_and_b32_e32 v16, 0x7f800000, v3
	v_mov_b32_e32 v17, v33
	v_cmp_ne_u64_e32 vcc, s[76:77], v[16:17]
	v_and_b32_e32 v1, 0x7fffff, v3
	v_mov_b32_e32 v2, v33
                                        ; implicit-def: $vgpr28
	s_and_saveexec_b64 s[28:29], vcc
	s_xor_b64 s[30:31], exec, s[28:29]
	s_cbranch_execz .LBB6_24590
; %bb.24577:                            ;   in Loop: Header=BB6_20708 Depth=3
	v_and_b32_e32 v16, 0x7fffffff, v3
	v_mov_b32_e32 v17, v33
	v_cmp_gt_u64_e32 vcc, s[78:79], v[16:17]
	v_and_b32_sdwa v5, v3, s97 dst_sel:DWORD dst_unused:UNUSED_PAD src0_sel:BYTE_3 src1_sel:DWORD
                                        ; implicit-def: $vgpr28
	s_and_saveexec_b64 s[28:29], vcc
	s_xor_b64 s[34:35], exec, s[28:29]
	s_cbranch_execz .LBB6_24587
; %bb.24578:                            ;   in Loop: Header=BB6_20708 Depth=3
	v_mov_b32_e32 v28, 0
	v_cmp_ne_u32_e32 vcc, 0, v3
	s_and_saveexec_b64 s[36:37], vcc
	s_cbranch_execz .LBB6_24586
; %bb.24579:                            ;   in Loop: Header=BB6_20708 Depth=3
	v_bfe_u32 v22, v3, 23, 8
	v_cmp_gt_u32_e64 s[28:29], s47, v22
	v_sub_u32_e32 v3, 0x71, v22
	v_cmp_eq_u32_e32 vcc, 0, v22
	v_cndmask_b32_e64 v3, 0, v3, s[28:29]
	v_mov_b32_e32 v16, 0x70
	v_cndmask_b32_e32 v25, v3, v16, vcc
	v_add_u32_e32 v3, 21, v25
	v_or_b32_e32 v7, 0x800000, v1
	v_lshlrev_b64 v[16:17], v3, -1
	v_cndmask_b32_e32 v1, v7, v1, vcc
	v_add_u32_e32 v3, 20, v25
	v_bfi_b32 v16, v16, 0, v1
	v_lshlrev_b64 v[28:29], v3, 1
	v_lshrrev_b64 v[1:2], v25, v[1:2]
	v_bfi_b32 v17, v17, 0, 0
	v_cmp_eq_u64_e64 s[28:29], v[16:17], v[28:29]
	v_mov_b32_e32 v3, v2
	v_mov_b32_e32 v2, v1
	s_and_saveexec_b64 s[38:39], s[28:29]
; %bb.24580:                            ;   in Loop: Header=BB6_20708 Depth=3
	v_bfe_u32 v2, v1, 21, 1
	v_add_co_u32_e64 v2, s[28:29], v1, v2
	v_add_co_u32_e64 v2, s[28:29], -1, v2
; %bb.24581:                            ;   in Loop: Header=BB6_20708 Depth=3
	s_or_b64 exec, exec, s[38:39]
	v_add_u32_e32 v3, 0xffffff81, v22
	v_mov_b32_e32 v7, 0xffffff82
	v_cndmask_b32_e32 v3, v3, v7, vcc
	v_lshrrev_b32_e32 v7, 23, v1
	v_add3_u32 v22, v25, v3, v7
	v_add_u32_e32 v7, 14, v22
	v_and_b32_e32 v2, 0x1fffff, v2
	v_add_u32_e32 v1, v2, v1
	v_mov_b32_e32 v2, v33
	v_cmp_ne_u32_e32 vcc, 0, v7
                                        ; implicit-def: $vgpr3
	s_and_saveexec_b64 s[28:29], vcc
	s_xor_b64 s[28:29], exec, s[28:29]
; %bb.24582:                            ;   in Loop: Header=BB6_20708 Depth=3
	v_cmp_lt_u64_e32 vcc, s[88:89], v[1:2]
	v_add_u32_e32 v3, 15, v22
	v_cndmask_b32_e32 v3, v7, v3, vcc
	v_cndmask_b32_e64 v7, 0, 1, vcc
	v_lshrrev_b64 v[1:2], v7, v[1:2]
; %bb.24583:                            ;   in Loop: Header=BB6_20708 Depth=3
	s_andn2_saveexec_b64 s[28:29], s[28:29]
; %bb.24584:                            ;   in Loop: Header=BB6_20708 Depth=3
	v_bfe_u32 v3, v1, 23, 1
; %bb.24585:                            ;   in Loop: Header=BB6_20708 Depth=3
	s_or_b64 exec, exec, s[28:29]
	v_lshrrev_b64 v[1:2], 21, v[1:2]
	v_cmp_gt_i32_e32 vcc, 32, v3
	v_cndmask_b32_e32 v2, 0, v2, vcc
	v_cndmask_b32_e32 v1, 3, v1, vcc
	v_cmp_eq_u64_e64 s[28:29], 0, v[1:2]
	v_min_i32_e32 v2, 31, v3
	v_lshlrev_b32_e32 v2, 2, v2
	v_cmp_eq_u32_e32 vcc, 0, v3
	v_and_b32_e32 v2, 0xfc, v2
	v_and_or_b32 v1, v1, 3, v2
	s_and_b64 s[28:29], vcc, s[28:29]
	v_cndmask_b32_e64 v1, v1, 0, s[28:29]
	v_or_b32_e32 v28, v1, v5
.LBB6_24586:                            ;   in Loop: Header=BB6_20708 Depth=3
	s_or_b64 exec, exec, s[36:37]
                                        ; implicit-def: $vgpr5
.LBB6_24587:                            ;   in Loop: Header=BB6_20708 Depth=3
	s_andn2_saveexec_b64 s[28:29], s[34:35]
; %bb.24588:                            ;   in Loop: Header=BB6_20708 Depth=3
	v_or_b32_e32 v28, 0x7b, v5
; %bb.24589:                            ;   in Loop: Header=BB6_20708 Depth=3
	s_or_b64 exec, exec, s[28:29]
                                        ; implicit-def: $vgpr3
                                        ; implicit-def: $vgpr1_vgpr2
.LBB6_24590:                            ;   in Loop: Header=BB6_20708 Depth=3
	s_andn2_saveexec_b64 s[28:29], s[30:31]
	s_cbranch_execz .LBB6_24596
; %bb.24591:                            ;   in Loop: Header=BB6_20708 Depth=3
	v_cmp_ne_u64_e32 vcc, 0, v[1:2]
                                        ; implicit-def: $vgpr28
	s_and_saveexec_b64 s[62:63], vcc
	s_xor_b64 vcc, exec, s[62:63]
; %bb.24592:                            ;   in Loop: Header=BB6_20708 Depth=3
	v_or_b32_sdwa v28, v3, s44 dst_sel:DWORD dst_unused:UNUSED_PAD src0_sel:BYTE_3 src1_sel:DWORD
                                        ; implicit-def: $vgpr3
; %bb.24593:                            ;   in Loop: Header=BB6_20708 Depth=3
	s_andn2_saveexec_b64 s[30:31], vcc
; %bb.24594:                            ;   in Loop: Header=BB6_20708 Depth=3
	v_cmp_lt_i32_e32 vcc, -1, v3
	v_bfrev_b32_e32 v1, 0.5
	v_mov_b32_e32 v2, 0x7c
	v_cndmask_b32_e32 v28, v1, v2, vcc
; %bb.24595:                            ;   in Loop: Header=BB6_20708 Depth=3
	s_or_b64 exec, exec, s[30:31]
.LBB6_24596:                            ;   in Loop: Header=BB6_20708 Depth=3
	s_or_b64 exec, exec, s[28:29]
	v_and_b32_sdwa v5, v0, s96 dst_sel:DWORD dst_unused:UNUSED_PAD src0_sel:WORD_1 src1_sel:DWORD
	v_lshrrev_b32_e32 v1, 16, v0
	v_cmp_ne_u16_e32 vcc, 0, v5
	v_mov_b32_e32 v2, 0
	v_mov_b32_e32 v3, 0
	s_and_saveexec_b64 s[28:29], vcc
	s_cbranch_execz .LBB6_24604
; %bb.24597:                            ;   in Loop: Header=BB6_20708 Depth=3
	v_cmp_ne_u16_e32 vcc, s97, v5
	v_bfrev_b32_e32 v3, 1
	s_and_saveexec_b64 s[30:31], vcc
	s_cbranch_execz .LBB6_24603
; %bb.24598:                            ;   in Loop: Header=BB6_20708 Depth=3
	v_and_b32_e32 v3, 0x7c0000, v0
	v_bfe_u32 v5, v0, 16, 2
	v_cmp_ne_u32_e32 vcc, s45, v3
                                        ; implicit-def: $vgpr3
	s_and_saveexec_b64 s[62:63], vcc
	s_xor_b64 s[34:35], exec, s[62:63]
	s_cbranch_execz .LBB6_24600
; %bb.24599:                            ;   in Loop: Header=BB6_20708 Depth=3
	v_ffbh_u32_e32 v7, v5
	v_min_u32_e32 v7, 32, v7
	v_subrev_u32_e32 v16, 29, v7
	v_lshlrev_b64 v[16:17], v16, v[1:2]
	v_bfe_u32 v3, v0, 18, 5
	v_sub_u32_e32 v1, 30, v7
	v_and_b32_e32 v7, 3, v16
	v_cmp_eq_u32_e32 vcc, 0, v3
	v_cndmask_b32_e32 v1, v3, v1, vcc
	v_cndmask_b32_e32 v3, v5, v7, vcc
	v_lshlrev_b32_e32 v5, 8, v0
	v_and_b32_e32 v5, 0x80000000, v5
	v_lshl_add_u32 v1, v1, 23, v5
	v_lshl_or_b32 v1, v3, 21, v1
	v_add_u32_e32 v3, 0x38000000, v1
                                        ; implicit-def: $vgpr5
                                        ; implicit-def: $vgpr1
.LBB6_24600:                            ;   in Loop: Header=BB6_20708 Depth=3
	s_andn2_saveexec_b64 s[34:35], s[34:35]
; %bb.24601:                            ;   in Loop: Header=BB6_20708 Depth=3
	v_mov_b32_e32 v3, -1
	v_cmp_gt_i16_sdwa vcc, sext(v1), v3 src0_sel:BYTE_0 src1_sel:DWORD
	v_mov_b32_e32 v1, 0xff800000
	v_mov_b32_e32 v3, 0x7f800000
	v_cndmask_b32_e32 v1, v1, v3, vcc
	v_cmp_eq_u32_e32 vcc, 0, v5
	v_mov_b32_e32 v3, 0x7f800001
	v_cndmask_b32_e32 v3, v3, v1, vcc
; %bb.24602:                            ;   in Loop: Header=BB6_20708 Depth=3
	s_or_b64 exec, exec, s[34:35]
.LBB6_24603:                            ;   in Loop: Header=BB6_20708 Depth=3
	s_or_b64 exec, exec, s[30:31]
.LBB6_24604:                            ;   in Loop: Header=BB6_20708 Depth=3
	s_or_b64 exec, exec, s[28:29]
	v_lshrrev_b32_e32 v1, 16, v10
	v_cmp_ne_u16_sdwa s[62:63], v1, v33 src0_sel:BYTE_0 src1_sel:DWORD
	s_and_saveexec_b64 s[28:29], s[62:63]
	s_cbranch_execz .LBB6_24612
; %bb.24605:                            ;   in Loop: Header=BB6_20708 Depth=3
	v_cmp_ne_u16_sdwa s[62:63], v1, s97 src0_sel:BYTE_0 src1_sel:DWORD
	v_bfrev_b32_e32 v2, 1
	s_and_saveexec_b64 s[30:31], s[62:63]
	s_cbranch_execz .LBB6_24611
; %bb.24606:                            ;   in Loop: Header=BB6_20708 Depth=3
	v_and_b32_e32 v2, 0x7c0000, v10
	v_bfe_u32 v5, v10, 16, 2
	v_cmp_ne_u32_e32 vcc, s45, v2
                                        ; implicit-def: $vgpr2
	s_and_saveexec_b64 s[62:63], vcc
	s_xor_b64 s[34:35], exec, s[62:63]
	s_cbranch_execz .LBB6_24608
; %bb.24607:                            ;   in Loop: Header=BB6_20708 Depth=3
	v_ffbh_u32_e32 v2, v5
	v_min_u32_e32 v16, 32, v2
	v_subrev_u32_e32 v2, 29, v16
	v_lshlrev_b64 v[1:2], v2, v[1:2]
	v_bfe_u32 v7, v10, 18, 5
	v_and_b32_e32 v1, 3, v1
	v_cmp_eq_u32_e32 vcc, 0, v7
	v_sub_u32_e32 v2, 30, v16
	v_cndmask_b32_e32 v1, v5, v1, vcc
	v_lshlrev_b32_e32 v5, 8, v10
	v_cndmask_b32_e32 v2, v7, v2, vcc
	v_and_b32_e32 v5, 0x80000000, v5
	v_lshl_add_u32 v2, v2, 23, v5
	v_lshl_or_b32 v1, v1, 21, v2
	v_add_u32_e32 v2, 0x38000000, v1
                                        ; implicit-def: $vgpr5
                                        ; implicit-def: $vgpr1
.LBB6_24608:                            ;   in Loop: Header=BB6_20708 Depth=3
	s_andn2_saveexec_b64 s[34:35], s[34:35]
; %bb.24609:                            ;   in Loop: Header=BB6_20708 Depth=3
	v_mov_b32_e32 v2, -1
	v_cmp_gt_i16_sdwa vcc, sext(v1), v2 src0_sel:BYTE_0 src1_sel:DWORD
	v_mov_b32_e32 v1, 0xff800000
	v_mov_b32_e32 v2, 0x7f800000
	v_cndmask_b32_e32 v1, v1, v2, vcc
	v_cmp_eq_u32_e32 vcc, 0, v5
	v_mov_b32_e32 v2, 0x7f800001
	v_cndmask_b32_e32 v2, v2, v1, vcc
; %bb.24610:                            ;   in Loop: Header=BB6_20708 Depth=3
	s_or_b64 exec, exec, s[34:35]
.LBB6_24611:                            ;   in Loop: Header=BB6_20708 Depth=3
	s_or_b64 exec, exec, s[30:31]
.LBB6_24612:                            ;   in Loop: Header=BB6_20708 Depth=3
	s_or_b64 exec, exec, s[28:29]
	v_add_f32_e32 v3, v3, v2
	v_and_b32_e32 v16, 0x7f800000, v3
	v_mov_b32_e32 v17, v33
	v_cmp_ne_u64_e32 vcc, s[76:77], v[16:17]
	v_and_b32_e32 v1, 0x7fffff, v3
	v_mov_b32_e32 v2, v33
                                        ; implicit-def: $vgpr46
	s_and_saveexec_b64 s[28:29], vcc
	s_xor_b64 s[30:31], exec, s[28:29]
	s_cbranch_execz .LBB6_24626
; %bb.24613:                            ;   in Loop: Header=BB6_20708 Depth=3
	v_and_b32_e32 v16, 0x7fffffff, v3
	v_mov_b32_e32 v17, v33
	v_cmp_gt_u64_e32 vcc, s[78:79], v[16:17]
	v_and_b32_sdwa v5, v3, s97 dst_sel:DWORD dst_unused:UNUSED_PAD src0_sel:BYTE_3 src1_sel:DWORD
                                        ; implicit-def: $vgpr46
	s_and_saveexec_b64 s[28:29], vcc
	s_xor_b64 s[34:35], exec, s[28:29]
	s_cbranch_execz .LBB6_24623
; %bb.24614:                            ;   in Loop: Header=BB6_20708 Depth=3
	v_mov_b32_e32 v46, 0
	v_cmp_ne_u32_e32 vcc, 0, v3
	s_and_saveexec_b64 s[36:37], vcc
	s_cbranch_execz .LBB6_24622
; %bb.24615:                            ;   in Loop: Header=BB6_20708 Depth=3
	v_bfe_u32 v22, v3, 23, 8
	v_cmp_gt_u32_e64 s[28:29], s47, v22
	v_sub_u32_e32 v3, 0x71, v22
	v_cmp_eq_u32_e32 vcc, 0, v22
	v_cndmask_b32_e64 v3, 0, v3, s[28:29]
	v_mov_b32_e32 v16, 0x70
	v_cndmask_b32_e32 v25, v3, v16, vcc
	v_add_u32_e32 v3, 21, v25
	v_or_b32_e32 v7, 0x800000, v1
	v_lshlrev_b64 v[16:17], v3, -1
	v_cndmask_b32_e32 v1, v7, v1, vcc
	v_add_u32_e32 v3, 20, v25
	v_bfi_b32 v16, v16, 0, v1
	v_lshlrev_b64 v[36:37], v3, 1
	v_lshrrev_b64 v[1:2], v25, v[1:2]
	v_bfi_b32 v17, v17, 0, 0
	v_cmp_eq_u64_e64 s[28:29], v[16:17], v[36:37]
	v_mov_b32_e32 v3, v2
	v_mov_b32_e32 v2, v1
	s_and_saveexec_b64 s[38:39], s[28:29]
; %bb.24616:                            ;   in Loop: Header=BB6_20708 Depth=3
	v_bfe_u32 v2, v1, 21, 1
	v_add_co_u32_e64 v2, s[28:29], v1, v2
	v_add_co_u32_e64 v2, s[28:29], -1, v2
; %bb.24617:                            ;   in Loop: Header=BB6_20708 Depth=3
	s_or_b64 exec, exec, s[38:39]
	v_add_u32_e32 v3, 0xffffff81, v22
	v_mov_b32_e32 v7, 0xffffff82
	v_cndmask_b32_e32 v3, v3, v7, vcc
	v_lshrrev_b32_e32 v7, 23, v1
	v_add3_u32 v22, v25, v3, v7
	v_add_u32_e32 v7, 14, v22
	v_and_b32_e32 v2, 0x1fffff, v2
	v_add_u32_e32 v1, v2, v1
	v_mov_b32_e32 v2, v33
	v_cmp_ne_u32_e32 vcc, 0, v7
                                        ; implicit-def: $vgpr3
	s_and_saveexec_b64 s[28:29], vcc
	s_xor_b64 s[28:29], exec, s[28:29]
; %bb.24618:                            ;   in Loop: Header=BB6_20708 Depth=3
	v_cmp_lt_u64_e32 vcc, s[88:89], v[1:2]
	v_add_u32_e32 v3, 15, v22
	v_cndmask_b32_e32 v3, v7, v3, vcc
	v_cndmask_b32_e64 v7, 0, 1, vcc
	v_lshrrev_b64 v[1:2], v7, v[1:2]
; %bb.24619:                            ;   in Loop: Header=BB6_20708 Depth=3
	s_andn2_saveexec_b64 s[28:29], s[28:29]
; %bb.24620:                            ;   in Loop: Header=BB6_20708 Depth=3
	v_bfe_u32 v3, v1, 23, 1
; %bb.24621:                            ;   in Loop: Header=BB6_20708 Depth=3
	s_or_b64 exec, exec, s[28:29]
	v_lshrrev_b64 v[1:2], 21, v[1:2]
	v_cmp_gt_i32_e32 vcc, 32, v3
	v_cndmask_b32_e32 v2, 0, v2, vcc
	v_cndmask_b32_e32 v1, 3, v1, vcc
	v_cmp_eq_u64_e64 s[28:29], 0, v[1:2]
	v_min_i32_e32 v2, 31, v3
	v_lshlrev_b32_e32 v2, 2, v2
	v_cmp_eq_u32_e32 vcc, 0, v3
	v_and_b32_e32 v2, 0xfc, v2
	v_and_or_b32 v1, v1, 3, v2
	s_and_b64 s[28:29], vcc, s[28:29]
	v_cndmask_b32_e64 v1, v1, 0, s[28:29]
	v_or_b32_e32 v46, v1, v5
.LBB6_24622:                            ;   in Loop: Header=BB6_20708 Depth=3
	s_or_b64 exec, exec, s[36:37]
                                        ; implicit-def: $vgpr5
.LBB6_24623:                            ;   in Loop: Header=BB6_20708 Depth=3
	s_andn2_saveexec_b64 s[28:29], s[34:35]
; %bb.24624:                            ;   in Loop: Header=BB6_20708 Depth=3
	v_or_b32_e32 v46, 0x7b, v5
; %bb.24625:                            ;   in Loop: Header=BB6_20708 Depth=3
	s_or_b64 exec, exec, s[28:29]
                                        ; implicit-def: $vgpr3
                                        ; implicit-def: $vgpr1_vgpr2
.LBB6_24626:                            ;   in Loop: Header=BB6_20708 Depth=3
	s_andn2_saveexec_b64 s[28:29], s[30:31]
	s_cbranch_execz .LBB6_24632
; %bb.24627:                            ;   in Loop: Header=BB6_20708 Depth=3
	v_cmp_ne_u64_e32 vcc, 0, v[1:2]
                                        ; implicit-def: $vgpr46
	s_and_saveexec_b64 s[62:63], vcc
	s_xor_b64 vcc, exec, s[62:63]
; %bb.24628:                            ;   in Loop: Header=BB6_20708 Depth=3
	v_or_b32_sdwa v46, v3, s44 dst_sel:DWORD dst_unused:UNUSED_PAD src0_sel:BYTE_3 src1_sel:DWORD
                                        ; implicit-def: $vgpr3
; %bb.24629:                            ;   in Loop: Header=BB6_20708 Depth=3
	s_andn2_saveexec_b64 s[30:31], vcc
; %bb.24630:                            ;   in Loop: Header=BB6_20708 Depth=3
	v_cmp_lt_i32_e32 vcc, -1, v3
	v_bfrev_b32_e32 v1, 0.5
	v_mov_b32_e32 v2, 0x7c
	v_cndmask_b32_e32 v46, v1, v2, vcc
; %bb.24631:                            ;   in Loop: Header=BB6_20708 Depth=3
	s_or_b64 exec, exec, s[30:31]
.LBB6_24632:                            ;   in Loop: Header=BB6_20708 Depth=3
	s_or_b64 exec, exec, s[28:29]
	v_cmp_lt_u32_e32 vcc, s57, v0
	v_mov_b32_e32 v2, 0
	v_mov_b32_e32 v3, 0
	s_and_saveexec_b64 s[28:29], vcc
	s_cbranch_execz .LBB6_24640
; %bb.24633:                            ;   in Loop: Header=BB6_20708 Depth=3
	v_lshrrev_b32_e32 v1, 24, v0
	v_cmp_ne_u32_e32 vcc, s97, v1
	v_bfrev_b32_e32 v3, 1
	s_and_saveexec_b64 s[30:31], vcc
	s_cbranch_execz .LBB6_24639
; %bb.24634:                            ;   in Loop: Header=BB6_20708 Depth=3
	v_and_b32_e32 v3, 0x7c000000, v0
	v_bfe_u32 v5, v0, 24, 2
	v_cmp_ne_u32_e32 vcc, s68, v3
                                        ; implicit-def: $vgpr3
	s_and_saveexec_b64 s[62:63], vcc
	s_xor_b64 s[34:35], exec, s[62:63]
	s_cbranch_execz .LBB6_24636
; %bb.24635:                            ;   in Loop: Header=BB6_20708 Depth=3
	v_ffbh_u32_e32 v7, v5
	v_min_u32_e32 v7, 32, v7
	v_subrev_u32_e32 v16, 29, v7
	v_bfe_u32 v3, v0, 26, 5
	v_lshlrev_b64 v[16:17], v16, v[1:2]
	v_sub_u32_e32 v1, 30, v7
	v_cmp_eq_u32_e32 vcc, 0, v3
	v_and_b32_e32 v7, 3, v16
	v_cndmask_b32_e32 v1, v3, v1, vcc
	v_and_b32_e32 v0, 0x80000000, v0
	v_cndmask_b32_e32 v3, v5, v7, vcc
	v_lshl_add_u32 v0, v1, 23, v0
	v_lshl_or_b32 v0, v3, 21, v0
	v_add_u32_e32 v3, 0x38000000, v0
                                        ; implicit-def: $vgpr5
                                        ; implicit-def: $vgpr0_vgpr1
.LBB6_24636:                            ;   in Loop: Header=BB6_20708 Depth=3
	s_andn2_saveexec_b64 s[34:35], s[34:35]
; %bb.24637:                            ;   in Loop: Header=BB6_20708 Depth=3
	v_cmp_lt_i32_e32 vcc, -1, v0
	v_mov_b32_e32 v0, 0xff800000
	v_mov_b32_e32 v1, 0x7f800000
	v_cndmask_b32_e32 v0, v0, v1, vcc
	v_cmp_eq_u32_e32 vcc, 0, v5
	v_mov_b32_e32 v1, 0x7f800001
	v_cndmask_b32_e32 v3, v1, v0, vcc
; %bb.24638:                            ;   in Loop: Header=BB6_20708 Depth=3
	s_or_b64 exec, exec, s[34:35]
.LBB6_24639:                            ;   in Loop: Header=BB6_20708 Depth=3
	s_or_b64 exec, exec, s[30:31]
.LBB6_24640:                            ;   in Loop: Header=BB6_20708 Depth=3
	s_or_b64 exec, exec, s[28:29]
	v_cmp_lt_u32_e32 vcc, s57, v10
	s_and_saveexec_b64 s[28:29], vcc
	s_cbranch_execz .LBB6_24648
; %bb.24641:                            ;   in Loop: Header=BB6_20708 Depth=3
	v_lshrrev_b32_e32 v0, 24, v10
	v_cmp_ne_u32_e32 vcc, s97, v0
	v_bfrev_b32_e32 v2, 1
	s_and_saveexec_b64 s[30:31], vcc
	s_cbranch_execz .LBB6_24647
; %bb.24642:                            ;   in Loop: Header=BB6_20708 Depth=3
	v_and_b32_e32 v2, 0x7c000000, v10
	v_bfe_u32 v1, v10, 24, 2
	v_cmp_ne_u32_e32 vcc, s68, v2
                                        ; implicit-def: $vgpr2
	s_and_saveexec_b64 s[62:63], vcc
	s_xor_b64 s[34:35], exec, s[62:63]
	s_cbranch_execz .LBB6_24644
; %bb.24643:                            ;   in Loop: Header=BB6_20708 Depth=3
	v_ffbh_u32_e32 v5, v1
	v_min_u32_e32 v5, 32, v5
	v_subrev_u32_e32 v7, 29, v5
	v_bfe_u32 v2, v10, 26, 5
	v_lshlrev_b64 v[16:17], v7, v[0:1]
	v_sub_u32_e32 v0, 30, v5
	v_cmp_eq_u32_e32 vcc, 0, v2
	v_and_b32_e32 v5, 3, v16
	v_cndmask_b32_e32 v0, v2, v0, vcc
	v_and_b32_e32 v2, 0x80000000, v10
	v_cndmask_b32_e32 v1, v1, v5, vcc
	v_lshl_add_u32 v0, v0, 23, v2
	v_lshl_or_b32 v0, v1, 21, v0
	v_add_u32_e32 v2, 0x38000000, v0
                                        ; implicit-def: $vgpr1
.LBB6_24644:                            ;   in Loop: Header=BB6_20708 Depth=3
	s_andn2_saveexec_b64 s[34:35], s[34:35]
; %bb.24645:                            ;   in Loop: Header=BB6_20708 Depth=3
	v_cmp_lt_i32_e32 vcc, -1, v10
	v_mov_b32_e32 v0, 0xff800000
	v_mov_b32_e32 v2, 0x7f800000
	v_cndmask_b32_e32 v0, v0, v2, vcc
	v_cmp_eq_u32_e32 vcc, 0, v1
	v_mov_b32_e32 v1, 0x7f800001
	v_cndmask_b32_e32 v2, v1, v0, vcc
; %bb.24646:                            ;   in Loop: Header=BB6_20708 Depth=3
	s_or_b64 exec, exec, s[34:35]
.LBB6_24647:                            ;   in Loop: Header=BB6_20708 Depth=3
	s_or_b64 exec, exec, s[30:31]
.LBB6_24648:                            ;   in Loop: Header=BB6_20708 Depth=3
	s_or_b64 exec, exec, s[28:29]
	v_add_f32_e32 v2, v3, v2
	v_and_b32_e32 v16, 0x7f800000, v2
	v_mov_b32_e32 v17, v33
	v_cmp_ne_u64_e32 vcc, s[76:77], v[16:17]
	v_and_b32_e32 v0, 0x7fffff, v2
	v_mov_b32_e32 v1, v33
                                        ; implicit-def: $vgpr5
	s_and_saveexec_b64 s[28:29], vcc
	s_xor_b64 s[30:31], exec, s[28:29]
	s_cbranch_execz .LBB6_24662
; %bb.24649:                            ;   in Loop: Header=BB6_20708 Depth=3
	v_and_b32_e32 v16, 0x7fffffff, v2
	v_mov_b32_e32 v17, v33
	v_cmp_gt_u64_e32 vcc, s[78:79], v[16:17]
	v_and_b32_sdwa v3, v2, s97 dst_sel:DWORD dst_unused:UNUSED_PAD src0_sel:BYTE_3 src1_sel:DWORD
                                        ; implicit-def: $vgpr5
	s_and_saveexec_b64 s[28:29], vcc
	s_xor_b64 s[34:35], exec, s[28:29]
	s_cbranch_execz .LBB6_24659
; %bb.24650:                            ;   in Loop: Header=BB6_20708 Depth=3
	v_mov_b32_e32 v5, 0
	v_cmp_ne_u32_e32 vcc, 0, v2
	s_and_saveexec_b64 s[36:37], vcc
	s_cbranch_execz .LBB6_24658
; %bb.24651:                            ;   in Loop: Header=BB6_20708 Depth=3
	v_bfe_u32 v5, v2, 23, 8
	v_cmp_gt_u32_e64 s[28:29], s47, v5
	v_sub_u32_e32 v2, 0x71, v5
	v_cmp_eq_u32_e32 vcc, 0, v5
	v_cndmask_b32_e64 v2, 0, v2, s[28:29]
	v_mov_b32_e32 v16, 0x70
	v_cndmask_b32_e32 v22, v2, v16, vcc
	v_add_u32_e32 v2, 21, v22
	v_or_b32_e32 v7, 0x800000, v0
	v_lshlrev_b64 v[16:17], v2, -1
	v_cndmask_b32_e32 v0, v7, v0, vcc
	v_add_u32_e32 v2, 20, v22
	v_bfi_b32 v16, v16, 0, v0
	v_lshlrev_b64 v[36:37], v2, 1
	v_lshrrev_b64 v[0:1], v22, v[0:1]
	v_bfi_b32 v17, v17, 0, 0
	v_cmp_eq_u64_e64 s[28:29], v[16:17], v[36:37]
	v_mov_b32_e32 v2, v1
	v_mov_b32_e32 v1, v0
	s_and_saveexec_b64 s[38:39], s[28:29]
; %bb.24652:                            ;   in Loop: Header=BB6_20708 Depth=3
	v_bfe_u32 v1, v0, 21, 1
	v_add_co_u32_e64 v1, s[28:29], v0, v1
	v_add_co_u32_e64 v1, s[28:29], -1, v1
; %bb.24653:                            ;   in Loop: Header=BB6_20708 Depth=3
	s_or_b64 exec, exec, s[38:39]
	v_add_u32_e32 v2, 0xffffff81, v5
	v_mov_b32_e32 v5, 0xffffff82
	v_cndmask_b32_e32 v2, v2, v5, vcc
	v_lshrrev_b32_e32 v5, 23, v0
	v_add3_u32 v7, v22, v2, v5
	v_add_u32_e32 v5, 14, v7
	v_and_b32_e32 v1, 0x1fffff, v1
	v_add_u32_e32 v0, v1, v0
	v_mov_b32_e32 v1, v33
	v_cmp_ne_u32_e32 vcc, 0, v5
                                        ; implicit-def: $vgpr2
	s_and_saveexec_b64 s[28:29], vcc
	s_xor_b64 s[28:29], exec, s[28:29]
; %bb.24654:                            ;   in Loop: Header=BB6_20708 Depth=3
	v_cmp_lt_u64_e32 vcc, s[88:89], v[0:1]
	v_add_u32_e32 v2, 15, v7
	v_cndmask_b32_e32 v2, v5, v2, vcc
	v_cndmask_b32_e64 v5, 0, 1, vcc
	v_lshrrev_b64 v[0:1], v5, v[0:1]
; %bb.24655:                            ;   in Loop: Header=BB6_20708 Depth=3
	s_andn2_saveexec_b64 s[28:29], s[28:29]
; %bb.24656:                            ;   in Loop: Header=BB6_20708 Depth=3
	v_bfe_u32 v2, v0, 23, 1
; %bb.24657:                            ;   in Loop: Header=BB6_20708 Depth=3
	s_or_b64 exec, exec, s[28:29]
	v_lshrrev_b64 v[0:1], 21, v[0:1]
	v_cmp_gt_i32_e32 vcc, 32, v2
	v_cndmask_b32_e32 v1, 0, v1, vcc
	v_cndmask_b32_e32 v0, 3, v0, vcc
	v_cmp_eq_u64_e64 s[28:29], 0, v[0:1]
	v_min_i32_e32 v1, 31, v2
	v_lshlrev_b32_e32 v1, 2, v1
	v_cmp_eq_u32_e32 vcc, 0, v2
	v_and_b32_e32 v1, 0xfc, v1
	v_and_or_b32 v0, v0, 3, v1
	s_and_b64 s[28:29], vcc, s[28:29]
	v_cndmask_b32_e64 v0, v0, 0, s[28:29]
	v_or_b32_e32 v5, v0, v3
.LBB6_24658:                            ;   in Loop: Header=BB6_20708 Depth=3
	s_or_b64 exec, exec, s[36:37]
                                        ; implicit-def: $vgpr3
.LBB6_24659:                            ;   in Loop: Header=BB6_20708 Depth=3
	s_andn2_saveexec_b64 s[28:29], s[34:35]
; %bb.24660:                            ;   in Loop: Header=BB6_20708 Depth=3
	v_or_b32_e32 v5, 0x7b, v3
; %bb.24661:                            ;   in Loop: Header=BB6_20708 Depth=3
	s_or_b64 exec, exec, s[28:29]
                                        ; implicit-def: $vgpr2
                                        ; implicit-def: $vgpr0_vgpr1
.LBB6_24662:                            ;   in Loop: Header=BB6_20708 Depth=3
	s_andn2_saveexec_b64 s[28:29], s[30:31]
	s_cbranch_execz .LBB6_24668
; %bb.24663:                            ;   in Loop: Header=BB6_20708 Depth=3
	v_cmp_ne_u64_e32 vcc, 0, v[0:1]
                                        ; implicit-def: $vgpr5
	s_and_saveexec_b64 s[62:63], vcc
	s_xor_b64 vcc, exec, s[62:63]
; %bb.24664:                            ;   in Loop: Header=BB6_20708 Depth=3
	v_or_b32_sdwa v5, v2, s44 dst_sel:DWORD dst_unused:UNUSED_PAD src0_sel:BYTE_3 src1_sel:DWORD
                                        ; implicit-def: $vgpr2
; %bb.24665:                            ;   in Loop: Header=BB6_20708 Depth=3
	s_andn2_saveexec_b64 s[30:31], vcc
; %bb.24666:                            ;   in Loop: Header=BB6_20708 Depth=3
	v_cmp_lt_i32_e32 vcc, -1, v2
	v_bfrev_b32_e32 v0, 0.5
	v_mov_b32_e32 v1, 0x7c
	v_cndmask_b32_e32 v5, v0, v1, vcc
; %bb.24667:                            ;   in Loop: Header=BB6_20708 Depth=3
	s_or_b64 exec, exec, s[30:31]
.LBB6_24668:                            ;   in Loop: Header=BB6_20708 Depth=3
	s_or_b64 exec, exec, s[28:29]
	buffer_load_dword v0, off, s[0:3], s33 offset:148 ; 4-byte Folded Reload
	buffer_load_dword v1, off, s[0:3], s33 offset:116 ; 4-byte Folded Reload
	;; [unrolled: 1-line block ×3, first 2 shown]
	v_cmp_ne_u32_e32 vcc, 0, v24
	v_mov_b32_e32 v3, 0
	s_waitcnt vmcnt(2)
	v_lshlrev_b32_e32 v0, 24, v0
	s_waitcnt vmcnt(1)
	v_lshlrev_b32_e32 v1, 16, v1
	s_waitcnt vmcnt(0)
	v_lshl_or_b32 v25, v2, 8, v24
	v_or3_b32 v0, v1, v0, v25
	v_mov_b32_e32 v1, v33
	v_mov_b32_e32 v2, 0
	s_and_saveexec_b64 s[30:31], vcc
	s_cbranch_execz .LBB6_24676
; %bb.24669:                            ;   in Loop: Header=BB6_20708 Depth=3
	v_cmp_ne_u32_e32 vcc, s97, v24
	v_bfrev_b32_e32 v3, 1
	s_and_saveexec_b64 s[34:35], vcc
	s_cbranch_execz .LBB6_24675
; %bb.24670:                            ;   in Loop: Header=BB6_20708 Depth=3
	v_and_b32_e32 v3, 0x7c, v24
	v_and_b32_e32 v7, 3, v24
	v_cmp_ne_u32_e32 vcc, s86, v3
                                        ; implicit-def: $vgpr3
	s_and_saveexec_b64 s[28:29], vcc
	s_xor_b64 s[28:29], exec, s[28:29]
	s_cbranch_execz .LBB6_24672
; %bb.24671:                            ;   in Loop: Header=BB6_20708 Depth=3
	v_ffbh_u32_e32 v16, v7
	v_min_u32_e32 v22, 32, v16
	v_subrev_u32_e32 v16, 29, v22
	v_lshlrev_b64 v[16:17], v16, v[0:1]
	v_bfe_u32 v3, v24, 2, 5
	v_sub_u32_e32 v1, 30, v22
	v_and_b32_e32 v16, 3, v16
	v_cmp_eq_u32_e32 vcc, 0, v3
	v_cndmask_b32_e32 v1, v3, v1, vcc
	v_cndmask_b32_e32 v3, v7, v16, vcc
	v_lshlrev_b32_e32 v7, 24, v24
	v_and_b32_e32 v7, 0x80000000, v7
	v_lshl_add_u32 v1, v1, 23, v7
	v_lshl_or_b32 v1, v3, 21, v1
	v_add_u32_e32 v3, 0x38000000, v1
                                        ; implicit-def: $vgpr7
                                        ; implicit-def: $vgpr24
.LBB6_24672:                            ;   in Loop: Header=BB6_20708 Depth=3
	s_andn2_saveexec_b64 s[36:37], s[28:29]
; %bb.24673:                            ;   in Loop: Header=BB6_20708 Depth=3
	v_and_b32_e32 v1, 0x80, v24
	v_cmp_eq_u32_e64 s[28:29], 0, v1
	v_mov_b32_e32 v1, 0xff800000
	v_mov_b32_e32 v3, 0x7f800000
	v_cmp_eq_u32_e32 vcc, 0, v7
	v_cndmask_b32_e64 v1, v1, v3, s[28:29]
	v_mov_b32_e32 v3, 0x7f800001
	v_cndmask_b32_e32 v3, v3, v1, vcc
; %bb.24674:                            ;   in Loop: Header=BB6_20708 Depth=3
	s_or_b64 exec, exec, s[36:37]
.LBB6_24675:                            ;   in Loop: Header=BB6_20708 Depth=3
	s_or_b64 exec, exec, s[34:35]
.LBB6_24676:                            ;   in Loop: Header=BB6_20708 Depth=3
	s_or_b64 exec, exec, s[30:31]
	v_cmp_ne_u16_sdwa s[62:63], v11, v33 src0_sel:BYTE_0 src1_sel:DWORD
	s_and_saveexec_b64 s[28:29], s[62:63]
	s_cbranch_execz .LBB6_24684
; %bb.24677:                            ;   in Loop: Header=BB6_20708 Depth=3
	v_cmp_ne_u16_sdwa s[62:63], v11, s97 src0_sel:BYTE_0 src1_sel:DWORD
	v_bfrev_b32_e32 v2, 1
	s_and_saveexec_b64 s[30:31], s[62:63]
	s_cbranch_execz .LBB6_24683
; %bb.24678:                            ;   in Loop: Header=BB6_20708 Depth=3
	v_and_b32_e32 v2, 0x7c, v11
	v_and_b32_e32 v1, 3, v11
	v_cmp_ne_u32_e32 vcc, s86, v2
                                        ; implicit-def: $vgpr2
	s_and_saveexec_b64 s[62:63], vcc
	s_xor_b64 s[34:35], exec, s[62:63]
	s_cbranch_execz .LBB6_24680
; %bb.24679:                            ;   in Loop: Header=BB6_20708 Depth=3
	v_ffbh_u32_e32 v7, v1
	v_min_u32_e32 v7, 32, v7
	v_mov_b32_e32 v16, v11
	v_mov_b32_e32 v17, v33
	v_bfe_u32 v2, v11, 2, 5
	v_subrev_u32_e32 v22, 29, v7
	v_lshlrev_b64 v[16:17], v22, v[16:17]
	v_sub_u32_e32 v7, 30, v7
	v_cmp_eq_u32_e32 vcc, 0, v2
	v_cndmask_b32_e32 v2, v2, v7, vcc
	v_lshlrev_b32_e32 v7, 24, v11
	v_and_b32_e32 v16, 3, v16
	v_and_b32_e32 v7, 0x80000000, v7
	v_cndmask_b32_e32 v1, v1, v16, vcc
	v_lshl_add_u32 v2, v2, 23, v7
	v_lshl_or_b32 v1, v1, 21, v2
	v_add_u32_e32 v2, 0x38000000, v1
                                        ; implicit-def: $vgpr1
.LBB6_24680:                            ;   in Loop: Header=BB6_20708 Depth=3
	s_andn2_saveexec_b64 s[34:35], s[34:35]
; %bb.24681:                            ;   in Loop: Header=BB6_20708 Depth=3
	v_mov_b32_e32 v2, -1
	v_cmp_gt_i16_sdwa vcc, sext(v11), v2 src0_sel:BYTE_0 src1_sel:DWORD
	v_mov_b32_e32 v2, 0xff800000
	v_mov_b32_e32 v7, 0x7f800000
	v_cndmask_b32_e32 v2, v2, v7, vcc
	v_cmp_eq_u32_e32 vcc, 0, v1
	v_mov_b32_e32 v1, 0x7f800001
	v_cndmask_b32_e32 v2, v1, v2, vcc
; %bb.24682:                            ;   in Loop: Header=BB6_20708 Depth=3
	s_or_b64 exec, exec, s[34:35]
.LBB6_24683:                            ;   in Loop: Header=BB6_20708 Depth=3
	s_or_b64 exec, exec, s[30:31]
.LBB6_24684:                            ;   in Loop: Header=BB6_20708 Depth=3
	s_or_b64 exec, exec, s[28:29]
	v_add_f32_e32 v3, v3, v2
	v_and_b32_e32 v16, 0x7f800000, v3
	v_mov_b32_e32 v17, v33
	v_cmp_ne_u64_e32 vcc, s[76:77], v[16:17]
	v_and_b32_e32 v1, 0x7fffff, v3
	v_mov_b32_e32 v2, v33
                                        ; implicit-def: $vgpr24
	s_and_saveexec_b64 s[28:29], vcc
	s_xor_b64 s[30:31], exec, s[28:29]
	s_cbranch_execz .LBB6_24698
; %bb.24685:                            ;   in Loop: Header=BB6_20708 Depth=3
	v_and_b32_e32 v16, 0x7fffffff, v3
	v_mov_b32_e32 v17, v33
	v_cmp_gt_u64_e32 vcc, s[78:79], v[16:17]
	v_and_b32_sdwa v29, v3, s97 dst_sel:DWORD dst_unused:UNUSED_PAD src0_sel:BYTE_3 src1_sel:DWORD
                                        ; implicit-def: $vgpr24
	s_and_saveexec_b64 s[28:29], vcc
	s_xor_b64 s[34:35], exec, s[28:29]
	s_cbranch_execz .LBB6_24695
; %bb.24686:                            ;   in Loop: Header=BB6_20708 Depth=3
	v_mov_b32_e32 v24, 0
	v_cmp_ne_u32_e32 vcc, 0, v3
	s_and_saveexec_b64 s[36:37], vcc
	s_cbranch_execz .LBB6_24694
; %bb.24687:                            ;   in Loop: Header=BB6_20708 Depth=3
	v_bfe_u32 v22, v3, 23, 8
	v_cmp_gt_u32_e64 s[28:29], s47, v22
	v_sub_u32_e32 v3, 0x71, v22
	v_cmp_eq_u32_e32 vcc, 0, v22
	v_cndmask_b32_e64 v3, 0, v3, s[28:29]
	v_mov_b32_e32 v16, 0x70
	v_cndmask_b32_e32 v24, v3, v16, vcc
	v_add_u32_e32 v3, 21, v24
	v_or_b32_e32 v7, 0x800000, v1
	v_lshlrev_b64 v[16:17], v3, -1
	v_cndmask_b32_e32 v1, v7, v1, vcc
	v_add_u32_e32 v3, 20, v24
	v_bfi_b32 v16, v16, 0, v1
	v_lshlrev_b64 v[36:37], v3, 1
	v_lshrrev_b64 v[1:2], v24, v[1:2]
	v_bfi_b32 v17, v17, 0, 0
	v_cmp_eq_u64_e64 s[28:29], v[16:17], v[36:37]
	v_mov_b32_e32 v3, v2
	v_mov_b32_e32 v2, v1
	s_and_saveexec_b64 s[38:39], s[28:29]
; %bb.24688:                            ;   in Loop: Header=BB6_20708 Depth=3
	v_bfe_u32 v2, v1, 21, 1
	v_add_co_u32_e64 v2, s[28:29], v1, v2
	v_add_co_u32_e64 v2, s[28:29], -1, v2
; %bb.24689:                            ;   in Loop: Header=BB6_20708 Depth=3
	s_or_b64 exec, exec, s[38:39]
	v_add_u32_e32 v3, 0xffffff81, v22
	v_mov_b32_e32 v7, 0xffffff82
	v_cndmask_b32_e32 v3, v3, v7, vcc
	v_lshrrev_b32_e32 v7, 23, v1
	v_add3_u32 v22, v24, v3, v7
	v_add_u32_e32 v7, 14, v22
	v_and_b32_e32 v2, 0x1fffff, v2
	v_add_u32_e32 v1, v2, v1
	v_mov_b32_e32 v2, v33
	v_cmp_ne_u32_e32 vcc, 0, v7
                                        ; implicit-def: $vgpr3
	s_and_saveexec_b64 s[28:29], vcc
	s_xor_b64 s[28:29], exec, s[28:29]
; %bb.24690:                            ;   in Loop: Header=BB6_20708 Depth=3
	v_cmp_lt_u64_e32 vcc, s[88:89], v[1:2]
	v_add_u32_e32 v3, 15, v22
	v_cndmask_b32_e32 v3, v7, v3, vcc
	v_cndmask_b32_e64 v7, 0, 1, vcc
	v_lshrrev_b64 v[1:2], v7, v[1:2]
; %bb.24691:                            ;   in Loop: Header=BB6_20708 Depth=3
	s_andn2_saveexec_b64 s[28:29], s[28:29]
; %bb.24692:                            ;   in Loop: Header=BB6_20708 Depth=3
	v_bfe_u32 v3, v1, 23, 1
; %bb.24693:                            ;   in Loop: Header=BB6_20708 Depth=3
	s_or_b64 exec, exec, s[28:29]
	v_lshrrev_b64 v[1:2], 21, v[1:2]
	v_cmp_gt_i32_e32 vcc, 32, v3
	v_cndmask_b32_e32 v2, 0, v2, vcc
	v_cndmask_b32_e32 v1, 3, v1, vcc
	v_cmp_eq_u64_e64 s[28:29], 0, v[1:2]
	v_min_i32_e32 v2, 31, v3
	v_lshlrev_b32_e32 v2, 2, v2
	v_cmp_eq_u32_e32 vcc, 0, v3
	v_and_b32_e32 v2, 0xfc, v2
	v_and_or_b32 v1, v1, 3, v2
	s_and_b64 s[28:29], vcc, s[28:29]
	v_cndmask_b32_e64 v1, v1, 0, s[28:29]
	v_or_b32_e32 v24, v1, v29
.LBB6_24694:                            ;   in Loop: Header=BB6_20708 Depth=3
	s_or_b64 exec, exec, s[36:37]
                                        ; implicit-def: $vgpr29
.LBB6_24695:                            ;   in Loop: Header=BB6_20708 Depth=3
	s_andn2_saveexec_b64 s[28:29], s[34:35]
; %bb.24696:                            ;   in Loop: Header=BB6_20708 Depth=3
	v_or_b32_e32 v24, 0x7b, v29
; %bb.24697:                            ;   in Loop: Header=BB6_20708 Depth=3
	s_or_b64 exec, exec, s[28:29]
                                        ; implicit-def: $vgpr3
                                        ; implicit-def: $vgpr1_vgpr2
.LBB6_24698:                            ;   in Loop: Header=BB6_20708 Depth=3
	s_andn2_saveexec_b64 s[28:29], s[30:31]
	s_cbranch_execz .LBB6_24704
; %bb.24699:                            ;   in Loop: Header=BB6_20708 Depth=3
	v_cmp_ne_u64_e32 vcc, 0, v[1:2]
                                        ; implicit-def: $vgpr24
	s_and_saveexec_b64 s[62:63], vcc
	s_xor_b64 vcc, exec, s[62:63]
; %bb.24700:                            ;   in Loop: Header=BB6_20708 Depth=3
	v_or_b32_sdwa v24, v3, s44 dst_sel:DWORD dst_unused:UNUSED_PAD src0_sel:BYTE_3 src1_sel:DWORD
                                        ; implicit-def: $vgpr3
; %bb.24701:                            ;   in Loop: Header=BB6_20708 Depth=3
	s_andn2_saveexec_b64 s[30:31], vcc
; %bb.24702:                            ;   in Loop: Header=BB6_20708 Depth=3
	v_cmp_lt_i32_e32 vcc, -1, v3
	v_bfrev_b32_e32 v1, 0.5
	v_mov_b32_e32 v2, 0x7c
	v_cndmask_b32_e32 v24, v1, v2, vcc
; %bb.24703:                            ;   in Loop: Header=BB6_20708 Depth=3
	s_or_b64 exec, exec, s[30:31]
.LBB6_24704:                            ;   in Loop: Header=BB6_20708 Depth=3
	s_or_b64 exec, exec, s[28:29]
	v_lshrrev_b16_e32 v1, 8, v25
	v_cmp_ne_u16_e32 vcc, 0, v1
	v_mov_b32_e32 v3, 0
	v_mov_b32_e32 v29, 0
	s_and_saveexec_b64 s[28:29], vcc
	s_cbranch_execz .LBB6_24712
; %bb.24705:                            ;   in Loop: Header=BB6_20708 Depth=3
	v_cmp_ne_u16_e32 vcc, s97, v1
	v_bfrev_b32_e32 v29, 1
	s_and_saveexec_b64 s[30:31], vcc
	s_cbranch_execz .LBB6_24711
; %bb.24706:                            ;   in Loop: Header=BB6_20708 Depth=3
	v_and_b32_e32 v2, 0x7c, v1
	v_and_b32_e32 v7, 3, v1
	v_cmp_ne_u32_e32 vcc, s86, v2
                                        ; implicit-def: $vgpr29
	s_and_saveexec_b64 s[62:63], vcc
	s_xor_b64 s[34:35], exec, s[62:63]
	s_cbranch_execz .LBB6_24708
; %bb.24707:                            ;   in Loop: Header=BB6_20708 Depth=3
	v_ffbh_u32_e32 v17, v7
	v_min_u32_e32 v17, 32, v17
	v_mov_b32_e32 v2, v33
	v_subrev_u32_e32 v22, 29, v17
	v_bfe_u32 v16, v1, 2, 5
	v_lshlrev_b64 v[1:2], v22, v[1:2]
	v_cmp_eq_u32_e32 vcc, 0, v16
	v_and_b32_e32 v1, 3, v1
	v_sub_u32_e32 v2, 30, v17
	v_cndmask_b32_e32 v1, v7, v1, vcc
	v_lshlrev_b32_e32 v7, 16, v25
	v_cndmask_b32_e32 v2, v16, v2, vcc
	v_and_b32_e32 v7, 0x80000000, v7
	v_lshl_add_u32 v2, v2, 23, v7
	v_lshl_or_b32 v1, v1, 21, v2
	v_add_u32_e32 v29, 0x38000000, v1
                                        ; implicit-def: $vgpr7
                                        ; implicit-def: $vgpr25
.LBB6_24708:                            ;   in Loop: Header=BB6_20708 Depth=3
	s_andn2_saveexec_b64 s[34:35], s[34:35]
; %bb.24709:                            ;   in Loop: Header=BB6_20708 Depth=3
	v_cmp_lt_i16_e32 vcc, -1, v25
	v_mov_b32_e32 v1, 0xff800000
	v_mov_b32_e32 v2, 0x7f800000
	v_cndmask_b32_e32 v1, v1, v2, vcc
	v_cmp_eq_u32_e32 vcc, 0, v7
	v_mov_b32_e32 v2, 0x7f800001
	v_cndmask_b32_e32 v29, v2, v1, vcc
; %bb.24710:                            ;   in Loop: Header=BB6_20708 Depth=3
	s_or_b64 exec, exec, s[34:35]
.LBB6_24711:                            ;   in Loop: Header=BB6_20708 Depth=3
	s_or_b64 exec, exec, s[30:31]
.LBB6_24712:                            ;   in Loop: Header=BB6_20708 Depth=3
	s_or_b64 exec, exec, s[28:29]
	v_lshrrev_b16_e32 v1, 8, v11
	v_cmp_ne_u16_e32 vcc, 0, v1
	s_and_saveexec_b64 s[28:29], vcc
	s_cbranch_execz .LBB6_24720
; %bb.24713:                            ;   in Loop: Header=BB6_20708 Depth=3
	v_cmp_ne_u16_e32 vcc, s97, v1
	v_bfrev_b32_e32 v3, 1
	s_and_saveexec_b64 s[30:31], vcc
	s_cbranch_execz .LBB6_24719
; %bb.24714:                            ;   in Loop: Header=BB6_20708 Depth=3
	v_and_b32_e32 v2, 0x7c, v1
	v_and_b32_e32 v7, 3, v1
	v_cmp_ne_u32_e32 vcc, s86, v2
                                        ; implicit-def: $vgpr3
	s_and_saveexec_b64 s[62:63], vcc
	s_xor_b64 s[34:35], exec, s[62:63]
	s_cbranch_execz .LBB6_24716
; %bb.24715:                            ;   in Loop: Header=BB6_20708 Depth=3
	v_ffbh_u32_e32 v16, v7
	v_min_u32_e32 v16, 32, v16
	v_mov_b32_e32 v2, v33
	v_subrev_u32_e32 v17, 29, v16
	v_bfe_u32 v3, v1, 2, 5
	v_lshlrev_b64 v[1:2], v17, v[1:2]
	v_sub_u32_e32 v2, 30, v16
	v_cmp_eq_u32_e32 vcc, 0, v3
	v_cndmask_b32_e32 v2, v3, v2, vcc
	v_lshlrev_b32_e32 v3, 16, v11
	v_and_b32_e32 v1, 3, v1
	v_and_b32_e32 v3, 0x80000000, v3
	v_cndmask_b32_e32 v1, v7, v1, vcc
	v_lshl_add_u32 v2, v2, 23, v3
	v_lshl_or_b32 v1, v1, 21, v2
	v_add_u32_e32 v3, 0x38000000, v1
                                        ; implicit-def: $vgpr7
.LBB6_24716:                            ;   in Loop: Header=BB6_20708 Depth=3
	s_andn2_saveexec_b64 s[34:35], s[34:35]
; %bb.24717:                            ;   in Loop: Header=BB6_20708 Depth=3
	v_cmp_lt_i16_e32 vcc, -1, v11
	v_mov_b32_e32 v1, 0xff800000
	v_mov_b32_e32 v2, 0x7f800000
	v_cndmask_b32_e32 v1, v1, v2, vcc
	v_cmp_eq_u32_e32 vcc, 0, v7
	v_mov_b32_e32 v2, 0x7f800001
	v_cndmask_b32_e32 v3, v2, v1, vcc
; %bb.24718:                            ;   in Loop: Header=BB6_20708 Depth=3
	s_or_b64 exec, exec, s[34:35]
.LBB6_24719:                            ;   in Loop: Header=BB6_20708 Depth=3
	s_or_b64 exec, exec, s[30:31]
.LBB6_24720:                            ;   in Loop: Header=BB6_20708 Depth=3
	s_or_b64 exec, exec, s[28:29]
	v_add_f32_e32 v3, v29, v3
	v_and_b32_e32 v16, 0x7f800000, v3
	v_mov_b32_e32 v17, v33
	v_cmp_ne_u64_e32 vcc, s[76:77], v[16:17]
	v_and_b32_e32 v1, 0x7fffff, v3
	v_mov_b32_e32 v2, v33
                                        ; implicit-def: $vgpr25
	s_and_saveexec_b64 s[28:29], vcc
	s_xor_b64 s[30:31], exec, s[28:29]
	s_cbranch_execz .LBB6_24734
; %bb.24721:                            ;   in Loop: Header=BB6_20708 Depth=3
	v_and_b32_e32 v16, 0x7fffffff, v3
	v_mov_b32_e32 v17, v33
	v_cmp_gt_u64_e32 vcc, s[78:79], v[16:17]
	v_and_b32_sdwa v29, v3, s97 dst_sel:DWORD dst_unused:UNUSED_PAD src0_sel:BYTE_3 src1_sel:DWORD
                                        ; implicit-def: $vgpr25
	s_and_saveexec_b64 s[28:29], vcc
	s_xor_b64 s[34:35], exec, s[28:29]
	s_cbranch_execz .LBB6_24731
; %bb.24722:                            ;   in Loop: Header=BB6_20708 Depth=3
	v_mov_b32_e32 v25, 0
	v_cmp_ne_u32_e32 vcc, 0, v3
	s_and_saveexec_b64 s[36:37], vcc
	s_cbranch_execz .LBB6_24730
; %bb.24723:                            ;   in Loop: Header=BB6_20708 Depth=3
	v_bfe_u32 v22, v3, 23, 8
	v_cmp_gt_u32_e64 s[28:29], s47, v22
	v_sub_u32_e32 v3, 0x71, v22
	v_cmp_eq_u32_e32 vcc, 0, v22
	v_cndmask_b32_e64 v3, 0, v3, s[28:29]
	v_mov_b32_e32 v16, 0x70
	v_cndmask_b32_e32 v25, v3, v16, vcc
	v_add_u32_e32 v3, 21, v25
	v_or_b32_e32 v7, 0x800000, v1
	v_lshlrev_b64 v[16:17], v3, -1
	v_cndmask_b32_e32 v1, v7, v1, vcc
	v_add_u32_e32 v3, 20, v25
	v_bfi_b32 v16, v16, 0, v1
	v_lshlrev_b64 v[36:37], v3, 1
	v_lshrrev_b64 v[1:2], v25, v[1:2]
	v_bfi_b32 v17, v17, 0, 0
	v_cmp_eq_u64_e64 s[28:29], v[16:17], v[36:37]
	v_mov_b32_e32 v3, v2
	v_mov_b32_e32 v2, v1
	s_and_saveexec_b64 s[38:39], s[28:29]
; %bb.24724:                            ;   in Loop: Header=BB6_20708 Depth=3
	v_bfe_u32 v2, v1, 21, 1
	v_add_co_u32_e64 v2, s[28:29], v1, v2
	v_add_co_u32_e64 v2, s[28:29], -1, v2
; %bb.24725:                            ;   in Loop: Header=BB6_20708 Depth=3
	s_or_b64 exec, exec, s[38:39]
	v_add_u32_e32 v3, 0xffffff81, v22
	v_mov_b32_e32 v7, 0xffffff82
	v_cndmask_b32_e32 v3, v3, v7, vcc
	v_lshrrev_b32_e32 v7, 23, v1
	v_add3_u32 v22, v25, v3, v7
	v_add_u32_e32 v7, 14, v22
	v_and_b32_e32 v2, 0x1fffff, v2
	v_add_u32_e32 v1, v2, v1
	v_mov_b32_e32 v2, v33
	v_cmp_ne_u32_e32 vcc, 0, v7
                                        ; implicit-def: $vgpr3
	s_and_saveexec_b64 s[28:29], vcc
	s_xor_b64 s[28:29], exec, s[28:29]
; %bb.24726:                            ;   in Loop: Header=BB6_20708 Depth=3
	v_cmp_lt_u64_e32 vcc, s[88:89], v[1:2]
	v_add_u32_e32 v3, 15, v22
	v_cndmask_b32_e32 v3, v7, v3, vcc
	v_cndmask_b32_e64 v7, 0, 1, vcc
	v_lshrrev_b64 v[1:2], v7, v[1:2]
; %bb.24727:                            ;   in Loop: Header=BB6_20708 Depth=3
	s_andn2_saveexec_b64 s[28:29], s[28:29]
; %bb.24728:                            ;   in Loop: Header=BB6_20708 Depth=3
	v_bfe_u32 v3, v1, 23, 1
; %bb.24729:                            ;   in Loop: Header=BB6_20708 Depth=3
	s_or_b64 exec, exec, s[28:29]
	v_lshrrev_b64 v[1:2], 21, v[1:2]
	v_cmp_gt_i32_e32 vcc, 32, v3
	v_cndmask_b32_e32 v2, 0, v2, vcc
	v_cndmask_b32_e32 v1, 3, v1, vcc
	v_cmp_eq_u64_e64 s[28:29], 0, v[1:2]
	v_min_i32_e32 v2, 31, v3
	v_lshlrev_b32_e32 v2, 2, v2
	v_cmp_eq_u32_e32 vcc, 0, v3
	v_and_b32_e32 v2, 0xfc, v2
	v_and_or_b32 v1, v1, 3, v2
	s_and_b64 s[28:29], vcc, s[28:29]
	v_cndmask_b32_e64 v1, v1, 0, s[28:29]
	v_or_b32_e32 v25, v1, v29
.LBB6_24730:                            ;   in Loop: Header=BB6_20708 Depth=3
	s_or_b64 exec, exec, s[36:37]
                                        ; implicit-def: $vgpr29
.LBB6_24731:                            ;   in Loop: Header=BB6_20708 Depth=3
	s_andn2_saveexec_b64 s[28:29], s[34:35]
; %bb.24732:                            ;   in Loop: Header=BB6_20708 Depth=3
	v_or_b32_e32 v25, 0x7b, v29
; %bb.24733:                            ;   in Loop: Header=BB6_20708 Depth=3
	s_or_b64 exec, exec, s[28:29]
                                        ; implicit-def: $vgpr3
                                        ; implicit-def: $vgpr1_vgpr2
.LBB6_24734:                            ;   in Loop: Header=BB6_20708 Depth=3
	s_andn2_saveexec_b64 s[28:29], s[30:31]
	s_cbranch_execz .LBB6_24740
; %bb.24735:                            ;   in Loop: Header=BB6_20708 Depth=3
	v_cmp_ne_u64_e32 vcc, 0, v[1:2]
                                        ; implicit-def: $vgpr25
	s_and_saveexec_b64 s[62:63], vcc
	s_xor_b64 vcc, exec, s[62:63]
; %bb.24736:                            ;   in Loop: Header=BB6_20708 Depth=3
	v_or_b32_sdwa v25, v3, s44 dst_sel:DWORD dst_unused:UNUSED_PAD src0_sel:BYTE_3 src1_sel:DWORD
                                        ; implicit-def: $vgpr3
; %bb.24737:                            ;   in Loop: Header=BB6_20708 Depth=3
	s_andn2_saveexec_b64 s[30:31], vcc
; %bb.24738:                            ;   in Loop: Header=BB6_20708 Depth=3
	v_cmp_lt_i32_e32 vcc, -1, v3
	v_bfrev_b32_e32 v1, 0.5
	v_mov_b32_e32 v2, 0x7c
	v_cndmask_b32_e32 v25, v1, v2, vcc
; %bb.24739:                            ;   in Loop: Header=BB6_20708 Depth=3
	s_or_b64 exec, exec, s[30:31]
.LBB6_24740:                            ;   in Loop: Header=BB6_20708 Depth=3
	s_or_b64 exec, exec, s[28:29]
	v_and_b32_sdwa v7, v0, s96 dst_sel:DWORD dst_unused:UNUSED_PAD src0_sel:WORD_1 src1_sel:DWORD
	v_lshrrev_b32_e32 v1, 16, v0
	v_cmp_ne_u16_e32 vcc, 0, v7
	v_mov_b32_e32 v2, 0
	v_mov_b32_e32 v3, 0
	s_and_saveexec_b64 s[28:29], vcc
	s_cbranch_execz .LBB6_24748
; %bb.24741:                            ;   in Loop: Header=BB6_20708 Depth=3
	v_cmp_ne_u16_e32 vcc, s97, v7
	v_bfrev_b32_e32 v3, 1
	s_and_saveexec_b64 s[30:31], vcc
	s_cbranch_execz .LBB6_24747
; %bb.24742:                            ;   in Loop: Header=BB6_20708 Depth=3
	v_and_b32_e32 v3, 0x7c0000, v0
	v_bfe_u32 v7, v0, 16, 2
	v_cmp_ne_u32_e32 vcc, s45, v3
                                        ; implicit-def: $vgpr3
	s_and_saveexec_b64 s[62:63], vcc
	s_xor_b64 s[34:35], exec, s[62:63]
	s_cbranch_execz .LBB6_24744
; %bb.24743:                            ;   in Loop: Header=BB6_20708 Depth=3
	v_ffbh_u32_e32 v16, v7
	v_min_u32_e32 v22, 32, v16
	v_subrev_u32_e32 v16, 29, v22
	v_lshlrev_b64 v[16:17], v16, v[1:2]
	v_bfe_u32 v3, v0, 18, 5
	v_sub_u32_e32 v1, 30, v22
	v_and_b32_e32 v16, 3, v16
	v_cmp_eq_u32_e32 vcc, 0, v3
	v_cndmask_b32_e32 v1, v3, v1, vcc
	v_cndmask_b32_e32 v3, v7, v16, vcc
	v_lshlrev_b32_e32 v7, 8, v0
	v_and_b32_e32 v7, 0x80000000, v7
	v_lshl_add_u32 v1, v1, 23, v7
	v_lshl_or_b32 v1, v3, 21, v1
	v_add_u32_e32 v3, 0x38000000, v1
                                        ; implicit-def: $vgpr7
                                        ; implicit-def: $vgpr1
.LBB6_24744:                            ;   in Loop: Header=BB6_20708 Depth=3
	s_andn2_saveexec_b64 s[34:35], s[34:35]
; %bb.24745:                            ;   in Loop: Header=BB6_20708 Depth=3
	v_mov_b32_e32 v3, -1
	v_cmp_gt_i16_sdwa vcc, sext(v1), v3 src0_sel:BYTE_0 src1_sel:DWORD
	v_mov_b32_e32 v1, 0xff800000
	v_mov_b32_e32 v3, 0x7f800000
	v_cndmask_b32_e32 v1, v1, v3, vcc
	v_cmp_eq_u32_e32 vcc, 0, v7
	v_mov_b32_e32 v3, 0x7f800001
	v_cndmask_b32_e32 v3, v3, v1, vcc
; %bb.24746:                            ;   in Loop: Header=BB6_20708 Depth=3
	s_or_b64 exec, exec, s[34:35]
.LBB6_24747:                            ;   in Loop: Header=BB6_20708 Depth=3
	s_or_b64 exec, exec, s[30:31]
.LBB6_24748:                            ;   in Loop: Header=BB6_20708 Depth=3
	s_or_b64 exec, exec, s[28:29]
	v_lshrrev_b32_e32 v1, 16, v11
	v_cmp_ne_u16_sdwa s[62:63], v1, v33 src0_sel:BYTE_0 src1_sel:DWORD
	s_and_saveexec_b64 s[28:29], s[62:63]
	s_cbranch_execz .LBB6_24756
; %bb.24749:                            ;   in Loop: Header=BB6_20708 Depth=3
	v_cmp_ne_u16_sdwa s[62:63], v1, s97 src0_sel:BYTE_0 src1_sel:DWORD
	v_bfrev_b32_e32 v2, 1
	s_and_saveexec_b64 s[30:31], s[62:63]
	s_cbranch_execz .LBB6_24755
; %bb.24750:                            ;   in Loop: Header=BB6_20708 Depth=3
	v_and_b32_e32 v2, 0x7c0000, v11
	v_bfe_u32 v7, v11, 16, 2
	v_cmp_ne_u32_e32 vcc, s45, v2
                                        ; implicit-def: $vgpr2
	s_and_saveexec_b64 s[62:63], vcc
	s_xor_b64 s[34:35], exec, s[62:63]
	s_cbranch_execz .LBB6_24752
; %bb.24751:                            ;   in Loop: Header=BB6_20708 Depth=3
	v_ffbh_u32_e32 v2, v7
	v_min_u32_e32 v17, 32, v2
	v_subrev_u32_e32 v2, 29, v17
	v_lshlrev_b64 v[1:2], v2, v[1:2]
	v_bfe_u32 v16, v11, 18, 5
	v_and_b32_e32 v1, 3, v1
	v_cmp_eq_u32_e32 vcc, 0, v16
	v_sub_u32_e32 v2, 30, v17
	v_cndmask_b32_e32 v1, v7, v1, vcc
	v_lshlrev_b32_e32 v7, 8, v11
	v_cndmask_b32_e32 v2, v16, v2, vcc
	v_and_b32_e32 v7, 0x80000000, v7
	v_lshl_add_u32 v2, v2, 23, v7
	v_lshl_or_b32 v1, v1, 21, v2
	v_add_u32_e32 v2, 0x38000000, v1
                                        ; implicit-def: $vgpr7
                                        ; implicit-def: $vgpr1
.LBB6_24752:                            ;   in Loop: Header=BB6_20708 Depth=3
	s_andn2_saveexec_b64 s[34:35], s[34:35]
; %bb.24753:                            ;   in Loop: Header=BB6_20708 Depth=3
	v_mov_b32_e32 v2, -1
	v_cmp_gt_i16_sdwa vcc, sext(v1), v2 src0_sel:BYTE_0 src1_sel:DWORD
	v_mov_b32_e32 v1, 0xff800000
	v_mov_b32_e32 v2, 0x7f800000
	v_cndmask_b32_e32 v1, v1, v2, vcc
	v_cmp_eq_u32_e32 vcc, 0, v7
	v_mov_b32_e32 v2, 0x7f800001
	v_cndmask_b32_e32 v2, v2, v1, vcc
; %bb.24754:                            ;   in Loop: Header=BB6_20708 Depth=3
	s_or_b64 exec, exec, s[34:35]
.LBB6_24755:                            ;   in Loop: Header=BB6_20708 Depth=3
	s_or_b64 exec, exec, s[30:31]
.LBB6_24756:                            ;   in Loop: Header=BB6_20708 Depth=3
	s_or_b64 exec, exec, s[28:29]
	v_add_f32_e32 v22, v3, v2
	v_and_b32_e32 v2, 0x7f800000, v22
	v_mov_b32_e32 v3, v33
	v_cmp_ne_u64_e32 vcc, s[76:77], v[2:3]
	v_and_b32_e32 v1, 0x7fffff, v22
	v_mov_b32_e32 v2, v33
                                        ; implicit-def: $vgpr3
	s_and_saveexec_b64 s[28:29], vcc
	s_xor_b64 s[30:31], exec, s[28:29]
	s_cbranch_execz .LBB6_24770
; %bb.24757:                            ;   in Loop: Header=BB6_20708 Depth=3
	v_and_b32_e32 v16, 0x7fffffff, v22
	v_mov_b32_e32 v17, v33
	v_cmp_gt_u64_e32 vcc, s[78:79], v[16:17]
	v_and_b32_sdwa v29, v22, s97 dst_sel:DWORD dst_unused:UNUSED_PAD src0_sel:BYTE_3 src1_sel:DWORD
                                        ; implicit-def: $vgpr3
	s_and_saveexec_b64 s[28:29], vcc
	s_xor_b64 s[34:35], exec, s[28:29]
	s_cbranch_execz .LBB6_24767
; %bb.24758:                            ;   in Loop: Header=BB6_20708 Depth=3
	v_mov_b32_e32 v3, 0
	v_cmp_ne_u32_e32 vcc, 0, v22
	s_and_saveexec_b64 s[36:37], vcc
	s_cbranch_execz .LBB6_24766
; %bb.24759:                            ;   in Loop: Header=BB6_20708 Depth=3
	v_bfe_u32 v22, v22, 23, 8
	v_cmp_gt_u32_e64 s[28:29], s47, v22
	v_sub_u32_e32 v3, 0x71, v22
	v_cmp_eq_u32_e32 vcc, 0, v22
	v_cndmask_b32_e64 v3, 0, v3, s[28:29]
	v_mov_b32_e32 v7, 0x70
	v_cndmask_b32_e32 v7, v3, v7, vcc
	v_or_b32_e32 v16, 0x800000, v1
	v_add_u32_e32 v3, 21, v7
	v_cndmask_b32_e32 v1, v16, v1, vcc
	v_lshlrev_b64 v[16:17], v3, -1
	v_add_u32_e32 v3, 20, v7
	v_bfi_b32 v16, v16, 0, v1
	v_lshlrev_b64 v[36:37], v3, 1
	v_lshrrev_b64 v[1:2], v7, v[1:2]
	v_bfi_b32 v17, v17, 0, 0
	v_cmp_eq_u64_e64 s[28:29], v[16:17], v[36:37]
	v_mov_b32_e32 v3, v2
	v_mov_b32_e32 v2, v1
	s_and_saveexec_b64 s[38:39], s[28:29]
; %bb.24760:                            ;   in Loop: Header=BB6_20708 Depth=3
	v_bfe_u32 v2, v1, 21, 1
	v_add_co_u32_e64 v2, s[28:29], v1, v2
	v_add_co_u32_e64 v2, s[28:29], -1, v2
; %bb.24761:                            ;   in Loop: Header=BB6_20708 Depth=3
	s_or_b64 exec, exec, s[38:39]
	v_add_u32_e32 v3, 0xffffff81, v22
	v_mov_b32_e32 v16, 0xffffff82
	v_cndmask_b32_e32 v3, v3, v16, vcc
	v_lshrrev_b32_e32 v16, 23, v1
	v_add3_u32 v22, v7, v3, v16
	v_add_u32_e32 v7, 14, v22
	v_and_b32_e32 v2, 0x1fffff, v2
	v_add_u32_e32 v1, v2, v1
	v_mov_b32_e32 v2, v33
	v_cmp_ne_u32_e32 vcc, 0, v7
                                        ; implicit-def: $vgpr3
	s_and_saveexec_b64 s[28:29], vcc
	s_xor_b64 s[28:29], exec, s[28:29]
; %bb.24762:                            ;   in Loop: Header=BB6_20708 Depth=3
	v_cmp_lt_u64_e32 vcc, s[88:89], v[1:2]
	v_add_u32_e32 v3, 15, v22
	v_cndmask_b32_e32 v3, v7, v3, vcc
	v_cndmask_b32_e64 v7, 0, 1, vcc
	v_lshrrev_b64 v[1:2], v7, v[1:2]
; %bb.24763:                            ;   in Loop: Header=BB6_20708 Depth=3
	s_andn2_saveexec_b64 s[28:29], s[28:29]
; %bb.24764:                            ;   in Loop: Header=BB6_20708 Depth=3
	v_bfe_u32 v3, v1, 23, 1
; %bb.24765:                            ;   in Loop: Header=BB6_20708 Depth=3
	s_or_b64 exec, exec, s[28:29]
	v_lshrrev_b64 v[1:2], 21, v[1:2]
	v_cmp_gt_i32_e32 vcc, 32, v3
	v_cndmask_b32_e32 v2, 0, v2, vcc
	v_cndmask_b32_e32 v1, 3, v1, vcc
	v_cmp_eq_u64_e64 s[28:29], 0, v[1:2]
	v_min_i32_e32 v2, 31, v3
	v_lshlrev_b32_e32 v2, 2, v2
	v_cmp_eq_u32_e32 vcc, 0, v3
	v_and_b32_e32 v2, 0xfc, v2
	v_and_or_b32 v1, v1, 3, v2
	s_and_b64 s[28:29], vcc, s[28:29]
	v_cndmask_b32_e64 v1, v1, 0, s[28:29]
	v_or_b32_e32 v3, v1, v29
.LBB6_24766:                            ;   in Loop: Header=BB6_20708 Depth=3
	s_or_b64 exec, exec, s[36:37]
                                        ; implicit-def: $vgpr29
.LBB6_24767:                            ;   in Loop: Header=BB6_20708 Depth=3
	s_andn2_saveexec_b64 s[28:29], s[34:35]
; %bb.24768:                            ;   in Loop: Header=BB6_20708 Depth=3
	v_or_b32_e32 v3, 0x7b, v29
; %bb.24769:                            ;   in Loop: Header=BB6_20708 Depth=3
	s_or_b64 exec, exec, s[28:29]
                                        ; implicit-def: $vgpr22
                                        ; implicit-def: $vgpr1_vgpr2
.LBB6_24770:                            ;   in Loop: Header=BB6_20708 Depth=3
	s_andn2_saveexec_b64 s[28:29], s[30:31]
	s_cbranch_execz .LBB6_24776
; %bb.24771:                            ;   in Loop: Header=BB6_20708 Depth=3
	v_cmp_ne_u64_e32 vcc, 0, v[1:2]
                                        ; implicit-def: $vgpr3
	s_and_saveexec_b64 s[62:63], vcc
	s_xor_b64 vcc, exec, s[62:63]
; %bb.24772:                            ;   in Loop: Header=BB6_20708 Depth=3
	v_or_b32_sdwa v3, v22, s44 dst_sel:DWORD dst_unused:UNUSED_PAD src0_sel:BYTE_3 src1_sel:DWORD
                                        ; implicit-def: $vgpr22
; %bb.24773:                            ;   in Loop: Header=BB6_20708 Depth=3
	s_andn2_saveexec_b64 s[30:31], vcc
; %bb.24774:                            ;   in Loop: Header=BB6_20708 Depth=3
	v_cmp_lt_i32_e32 vcc, -1, v22
	v_bfrev_b32_e32 v1, 0.5
	v_mov_b32_e32 v2, 0x7c
	v_cndmask_b32_e32 v3, v1, v2, vcc
; %bb.24775:                            ;   in Loop: Header=BB6_20708 Depth=3
	s_or_b64 exec, exec, s[30:31]
.LBB6_24776:                            ;   in Loop: Header=BB6_20708 Depth=3
	s_or_b64 exec, exec, s[28:29]
	v_cmp_lt_u32_e32 vcc, s57, v0
	v_mov_b32_e32 v2, 0
	v_mov_b32_e32 v29, 0
	s_and_saveexec_b64 s[28:29], vcc
	s_cbranch_execz .LBB6_24784
; %bb.24777:                            ;   in Loop: Header=BB6_20708 Depth=3
	v_lshrrev_b32_e32 v1, 24, v0
	v_cmp_ne_u32_e32 vcc, s97, v1
	v_bfrev_b32_e32 v29, 1
	s_and_saveexec_b64 s[30:31], vcc
	s_cbranch_execz .LBB6_24783
; %bb.24778:                            ;   in Loop: Header=BB6_20708 Depth=3
	v_and_b32_e32 v16, 0x7c000000, v0
	v_bfe_u32 v7, v0, 24, 2
	v_cmp_ne_u32_e32 vcc, s68, v16
                                        ; implicit-def: $vgpr29
	s_and_saveexec_b64 s[62:63], vcc
	s_xor_b64 s[34:35], exec, s[62:63]
	s_cbranch_execz .LBB6_24780
; %bb.24779:                            ;   in Loop: Header=BB6_20708 Depth=3
	v_ffbh_u32_e32 v16, v7
	v_min_u32_e32 v23, 32, v16
	v_subrev_u32_e32 v16, 29, v23
	v_bfe_u32 v22, v0, 26, 5
	v_lshlrev_b64 v[16:17], v16, v[1:2]
	v_sub_u32_e32 v1, 30, v23
	v_cmp_eq_u32_e32 vcc, 0, v22
	v_and_b32_e32 v16, 3, v16
	v_cndmask_b32_e32 v1, v22, v1, vcc
	v_and_b32_e32 v0, 0x80000000, v0
	v_cndmask_b32_e32 v7, v7, v16, vcc
	v_lshl_add_u32 v0, v1, 23, v0
	v_lshl_or_b32 v0, v7, 21, v0
	v_add_u32_e32 v29, 0x38000000, v0
                                        ; implicit-def: $vgpr7
                                        ; implicit-def: $vgpr0_vgpr1
.LBB6_24780:                            ;   in Loop: Header=BB6_20708 Depth=3
	s_andn2_saveexec_b64 s[34:35], s[34:35]
; %bb.24781:                            ;   in Loop: Header=BB6_20708 Depth=3
	v_cmp_lt_i32_e32 vcc, -1, v0
	v_mov_b32_e32 v0, 0xff800000
	v_mov_b32_e32 v1, 0x7f800000
	v_cndmask_b32_e32 v0, v0, v1, vcc
	v_cmp_eq_u32_e32 vcc, 0, v7
	v_mov_b32_e32 v1, 0x7f800001
	v_cndmask_b32_e32 v29, v1, v0, vcc
; %bb.24782:                            ;   in Loop: Header=BB6_20708 Depth=3
	s_or_b64 exec, exec, s[34:35]
.LBB6_24783:                            ;   in Loop: Header=BB6_20708 Depth=3
	s_or_b64 exec, exec, s[30:31]
.LBB6_24784:                            ;   in Loop: Header=BB6_20708 Depth=3
	s_or_b64 exec, exec, s[28:29]
	v_cmp_lt_u64_e32 vcc, s[56:57], v[10:11]
	s_and_saveexec_b64 s[28:29], vcc
	s_cbranch_execz .LBB6_24792
; %bb.24785:                            ;   in Loop: Header=BB6_20708 Depth=3
	v_lshrrev_b32_e32 v0, 24, v11
	v_cmp_ne_u32_e32 vcc, s97, v0
	v_bfrev_b32_e32 v2, 1
	s_and_saveexec_b64 s[30:31], vcc
	s_cbranch_execz .LBB6_24791
; %bb.24786:                            ;   in Loop: Header=BB6_20708 Depth=3
	v_and_b32_e32 v2, 0x7c000000, v11
	v_bfe_u32 v1, v11, 24, 2
	v_cmp_ne_u32_e32 vcc, s68, v2
                                        ; implicit-def: $vgpr2
	s_and_saveexec_b64 s[62:63], vcc
	s_xor_b64 s[34:35], exec, s[62:63]
	s_cbranch_execz .LBB6_24788
; %bb.24787:                            ;   in Loop: Header=BB6_20708 Depth=3
	v_ffbh_u32_e32 v7, v1
	v_min_u32_e32 v7, 32, v7
	v_subrev_u32_e32 v10, 29, v7
	v_bfe_u32 v2, v11, 26, 5
	v_lshlrev_b64 v[16:17], v10, v[0:1]
	v_sub_u32_e32 v0, 30, v7
	v_cmp_eq_u32_e32 vcc, 0, v2
	v_and_b32_e32 v7, 3, v16
	v_cndmask_b32_e32 v0, v2, v0, vcc
	v_and_b32_e32 v2, 0x80000000, v11
	v_cndmask_b32_e32 v1, v1, v7, vcc
	v_lshl_add_u32 v0, v0, 23, v2
	v_lshl_or_b32 v0, v1, 21, v0
	v_add_u32_e32 v2, 0x38000000, v0
                                        ; implicit-def: $vgpr1
                                        ; implicit-def: $vgpr10_vgpr11
.LBB6_24788:                            ;   in Loop: Header=BB6_20708 Depth=3
	s_andn2_saveexec_b64 s[34:35], s[34:35]
; %bb.24789:                            ;   in Loop: Header=BB6_20708 Depth=3
	v_cmp_lt_i64_e32 vcc, -1, v[10:11]
	v_mov_b32_e32 v0, 0xff800000
	v_mov_b32_e32 v2, 0x7f800000
	v_cndmask_b32_e32 v0, v0, v2, vcc
	v_cmp_eq_u32_e32 vcc, 0, v1
	v_mov_b32_e32 v1, 0x7f800001
	v_cndmask_b32_e32 v2, v1, v0, vcc
; %bb.24790:                            ;   in Loop: Header=BB6_20708 Depth=3
	s_or_b64 exec, exec, s[34:35]
.LBB6_24791:                            ;   in Loop: Header=BB6_20708 Depth=3
	s_or_b64 exec, exec, s[30:31]
.LBB6_24792:                            ;   in Loop: Header=BB6_20708 Depth=3
	s_or_b64 exec, exec, s[28:29]
	v_add_f32_e32 v11, v29, v2
	v_and_b32_e32 v1, 0x7f800000, v11
	v_mov_b32_e32 v2, v33
	v_cmp_ne_u64_e32 vcc, s[76:77], v[1:2]
	v_and_b32_e32 v0, 0x7fffff, v11
	v_mov_b32_e32 v1, v33
                                        ; implicit-def: $vgpr2
	s_and_saveexec_b64 s[28:29], vcc
	s_xor_b64 s[30:31], exec, s[28:29]
	s_cbranch_execz .LBB6_24806
; %bb.24793:                            ;   in Loop: Header=BB6_20708 Depth=3
	v_and_b32_e32 v16, 0x7fffffff, v11
	v_mov_b32_e32 v17, v33
	v_cmp_gt_u64_e32 vcc, s[78:79], v[16:17]
	v_and_b32_sdwa v10, v11, s97 dst_sel:DWORD dst_unused:UNUSED_PAD src0_sel:BYTE_3 src1_sel:DWORD
                                        ; implicit-def: $vgpr2
	s_and_saveexec_b64 s[28:29], vcc
	s_xor_b64 s[34:35], exec, s[28:29]
	s_cbranch_execz .LBB6_24803
; %bb.24794:                            ;   in Loop: Header=BB6_20708 Depth=3
	v_mov_b32_e32 v2, 0
	v_cmp_ne_u32_e32 vcc, 0, v11
	s_and_saveexec_b64 s[36:37], vcc
	s_cbranch_execz .LBB6_24802
; %bb.24795:                            ;   in Loop: Header=BB6_20708 Depth=3
	v_bfe_u32 v11, v11, 23, 8
	v_cmp_gt_u32_e64 s[28:29], s47, v11
	v_sub_u32_e32 v2, 0x71, v11
	v_cmp_eq_u32_e32 vcc, 0, v11
	v_cndmask_b32_e64 v2, 0, v2, s[28:29]
	v_mov_b32_e32 v7, 0x70
	v_cndmask_b32_e32 v7, v2, v7, vcc
	v_or_b32_e32 v16, 0x800000, v0
	v_add_u32_e32 v2, 21, v7
	v_cndmask_b32_e32 v0, v16, v0, vcc
	v_lshlrev_b64 v[16:17], v2, -1
	v_add_u32_e32 v2, 20, v7
	v_bfi_b32 v16, v16, 0, v0
	v_lshlrev_b64 v[22:23], v2, 1
	v_lshrrev_b64 v[0:1], v7, v[0:1]
	v_bfi_b32 v17, v17, 0, 0
	v_cmp_eq_u64_e64 s[28:29], v[16:17], v[22:23]
	v_mov_b32_e32 v2, v1
	v_mov_b32_e32 v1, v0
	s_and_saveexec_b64 s[38:39], s[28:29]
; %bb.24796:                            ;   in Loop: Header=BB6_20708 Depth=3
	v_bfe_u32 v1, v0, 21, 1
	v_add_co_u32_e64 v1, s[28:29], v0, v1
	v_add_co_u32_e64 v1, s[28:29], -1, v1
; %bb.24797:                            ;   in Loop: Header=BB6_20708 Depth=3
	s_or_b64 exec, exec, s[38:39]
	v_add_u32_e32 v2, 0xffffff81, v11
	v_mov_b32_e32 v11, 0xffffff82
	v_cndmask_b32_e32 v2, v2, v11, vcc
	v_lshrrev_b32_e32 v11, 23, v0
	v_add3_u32 v11, v7, v2, v11
	v_add_u32_e32 v7, 14, v11
	v_and_b32_e32 v1, 0x1fffff, v1
	v_add_u32_e32 v0, v1, v0
	v_mov_b32_e32 v1, v33
	v_cmp_ne_u32_e32 vcc, 0, v7
                                        ; implicit-def: $vgpr2
	s_and_saveexec_b64 s[28:29], vcc
	s_xor_b64 s[28:29], exec, s[28:29]
; %bb.24798:                            ;   in Loop: Header=BB6_20708 Depth=3
	v_cmp_lt_u64_e32 vcc, s[88:89], v[0:1]
	v_add_u32_e32 v2, 15, v11
	v_cndmask_b32_e32 v2, v7, v2, vcc
	v_cndmask_b32_e64 v7, 0, 1, vcc
	v_lshrrev_b64 v[0:1], v7, v[0:1]
; %bb.24799:                            ;   in Loop: Header=BB6_20708 Depth=3
	s_andn2_saveexec_b64 s[28:29], s[28:29]
; %bb.24800:                            ;   in Loop: Header=BB6_20708 Depth=3
	v_bfe_u32 v2, v0, 23, 1
; %bb.24801:                            ;   in Loop: Header=BB6_20708 Depth=3
	s_or_b64 exec, exec, s[28:29]
	v_lshrrev_b64 v[0:1], 21, v[0:1]
	v_cmp_gt_i32_e32 vcc, 32, v2
	v_cndmask_b32_e32 v1, 0, v1, vcc
	v_cndmask_b32_e32 v0, 3, v0, vcc
	v_cmp_eq_u64_e64 s[28:29], 0, v[0:1]
	v_min_i32_e32 v1, 31, v2
	v_lshlrev_b32_e32 v1, 2, v1
	v_cmp_eq_u32_e32 vcc, 0, v2
	v_and_b32_e32 v1, 0xfc, v1
	v_and_or_b32 v0, v0, 3, v1
	s_and_b64 s[28:29], vcc, s[28:29]
	v_cndmask_b32_e64 v0, v0, 0, s[28:29]
	v_or_b32_e32 v2, v0, v10
.LBB6_24802:                            ;   in Loop: Header=BB6_20708 Depth=3
	s_or_b64 exec, exec, s[36:37]
                                        ; implicit-def: $vgpr10
.LBB6_24803:                            ;   in Loop: Header=BB6_20708 Depth=3
	s_andn2_saveexec_b64 s[28:29], s[34:35]
; %bb.24804:                            ;   in Loop: Header=BB6_20708 Depth=3
	v_or_b32_e32 v2, 0x7b, v10
; %bb.24805:                            ;   in Loop: Header=BB6_20708 Depth=3
	s_or_b64 exec, exec, s[28:29]
                                        ; implicit-def: $vgpr11
                                        ; implicit-def: $vgpr0_vgpr1
.LBB6_24806:                            ;   in Loop: Header=BB6_20708 Depth=3
	s_andn2_saveexec_b64 s[28:29], s[30:31]
	s_cbranch_execz .LBB6_20707
; %bb.24807:                            ;   in Loop: Header=BB6_20708 Depth=3
	v_cmp_ne_u64_e32 vcc, 0, v[0:1]
                                        ; implicit-def: $vgpr2
	s_and_saveexec_b64 s[62:63], vcc
	s_xor_b64 vcc, exec, s[62:63]
; %bb.24808:                            ;   in Loop: Header=BB6_20708 Depth=3
	v_or_b32_sdwa v2, v11, s44 dst_sel:DWORD dst_unused:UNUSED_PAD src0_sel:BYTE_3 src1_sel:DWORD
                                        ; implicit-def: $vgpr11
; %bb.24809:                            ;   in Loop: Header=BB6_20708 Depth=3
	s_andn2_saveexec_b64 s[30:31], vcc
	s_cbranch_execz .LBB6_20706
; %bb.24810:                            ;   in Loop: Header=BB6_20708 Depth=3
	v_cmp_lt_i32_e32 vcc, -1, v11
	v_bfrev_b32_e32 v0, 0.5
	v_mov_b32_e32 v1, 0x7c
	v_cndmask_b32_e32 v2, v0, v1, vcc
	s_branch .LBB6_20706
.LBB6_24811:                            ;   in Loop: Header=BB6_13101 Depth=2
	s_or_b64 exec, exec, s[40:41]
	buffer_load_dword v1, off, s[0:3], s33 offset:448 ; 4-byte Folded Reload
.LBB6_24812:                            ;   in Loop: Header=BB6_13101 Depth=2
	s_or_b64 exec, exec, s[42:43]
	buffer_load_dword v0, off, s[0:3], s33 offset:452 ; 4-byte Folded Reload
	s_waitcnt vmcnt(0)
	v_lshlrev_b32_e32 v17, 12, v1
	s_mov_b64 s[28:29], 0
	v_mov_b32_e32 v3, 0
                                        ; implicit-def: $vgpr5
                                        ; implicit-def: $vgpr2
	v_cmp_ne_u32_e32 vcc, v0, v17
	s_and_saveexec_b64 s[30:31], vcc
	s_cbranch_execz .LBB6_25818
; %bb.24813:                            ;   in Loop: Header=BB6_13101 Depth=2
	buffer_load_dword v0, off, s[0:3], s33 offset:452 ; 4-byte Folded Reload
	buffer_load_dword v2, off, s[0:3], s33 offset:688 ; 4-byte Folded Reload
	s_waitcnt vmcnt(0)
	v_sub_u32_e32 v1, v0, v17
	v_lshlrev_b32_e32 v0, 6, v4
	v_sub_u32_e32 v0, v2, v0
	v_ashrrev_i32_e32 v2, 31, v0
	v_lshrrev_b32_e32 v2, 26, v2
	v_add_u32_e32 v2, v0, v2
	v_ashrrev_i32_e32 v3, 6, v2
	v_and_b32_e32 v2, 0xffffffc0, v2
	v_sub_u32_e32 v18, v0, v2
	v_ashrrev_i32_e32 v2, 31, v1
	v_lshrrev_b32_e32 v2, 22, v2
	v_add_u32_e32 v2, v1, v2
	v_and_b32_e32 v19, 0xfffffc00, v2
	v_lshlrev_b32_e32 v0, 4, v18
	v_sub_u32_e32 v20, v1, v19
	v_lshl_add_u32 v0, v3, 10, v0
	v_ashrrev_i32_e32 v4, 10, v2
	v_cmp_lt_i32_e64 s[28:29], 15, v20
	v_sub_u32_e32 v22, v1, v0
	v_addc_co_u32_e64 v1, vcc, 0, v4, s[28:29]
	v_sub_u32_e32 v21, v1, v3
	v_cmp_lt_i32_e32 vcc, 15, v22
	s_and_saveexec_b64 s[34:35], vcc
	s_cbranch_execz .LBB6_25817
; %bb.24814:                            ;   in Loop: Header=BB6_13101 Depth=2
	v_add_u32_e32 v6, v0, v17
	s_trap 2
	ds_read_b64 v[0:1], v0
	buffer_load_dword v2, off, s[0:3], s33 offset:516 ; 4-byte Folded Reload
	buffer_load_dword v3, off, s[0:3], s33 offset:520 ; 4-byte Folded Reload
	;; [unrolled: 1-line block ×4, first 2 shown]
	v_ashrrev_i32_e32 v7, 31, v6
	s_mov_b64 s[36:37], 0
	s_waitcnt lgkmcnt(0)
	v_readfirstlane_b32 s42, v0
	s_bfe_i32 s62, s42, 0x80000
	s_and_b32 s43, s42, 3
	s_bfe_u32 s40, s42, 0x50002
	s_and_b32 s41, s42, 0x7c
	s_cmpk_eq_i32 s41, 0x7c
	s_flbit_i32_b32 s41, s43
	s_waitcnt vmcnt(3)
	v_add_co_u32_e32 v2, vcc, v6, v2
	s_waitcnt vmcnt(2)
	v_addc_co_u32_e32 v3, vcc, v7, v3, vcc
	v_add_co_u32_e32 v4, vcc, v0, v6
	v_addc_co_u32_e32 v5, vcc, v1, v7, vcc
	s_waitcnt vmcnt(1)
	v_add_co_u32_e32 v12, vcc, v6, v8
	s_waitcnt vmcnt(0)
	v_addc_co_u32_e32 v13, vcc, v7, v9, vcc
	s_cselect_b64 vcc, -1, 0
	s_min_u32 s41, s41, 32
	s_sub_i32 s63, s41, 29
	v_lshlrev_b64 v[0:1], s63, v[0:1]
	s_sub_i32 s41, 30, s41
	s_cmp_eq_u32 s40, 0
	v_and_b32_e32 v0, 3, v0
	s_cselect_b32 s63, s41, s40
	v_mov_b32_e32 v1, s43
	s_cselect_b64 s[40:41], -1, 0
	v_cndmask_b32_e64 v0, v1, v0, s[40:41]
	s_lshl_b32 s40, s42, 24
	s_and_b32 s40, s40, 0x80000000
	s_lshl_b32 s41, s63, 23
	s_add_i32 s41, s41, s40
	v_lshlrev_b32_e32 v0, 21, v0
	s_cmp_eq_u32 s43, 0
	s_sext_i32_i8 s42, s42
	v_or_b32_e32 v0, s41, v0
	s_cselect_b64 s[40:41], -1, 0
	s_cmp_gt_i32 s42, -1
	s_cselect_b64 s[42:43], -1, 0
	v_mov_b32_e32 v1, 0xff800000
	v_mov_b32_e32 v6, 0x7f800000
	v_cndmask_b32_e64 v1, v1, v6, s[42:43]
	v_mov_b32_e32 v6, 0x7f800001
	v_add_u32_e32 v0, 0x38000000, v0
	v_cndmask_b32_e64 v1, v6, v1, s[40:41]
	v_cndmask_b32_e32 v23, v0, v1, vcc
	s_and_b32 s52, s62, 0xff
	s_branch .LBB6_24817
.LBB6_24815:                            ;   in Loop: Header=BB6_24817 Depth=3
	s_or_b64 exec, exec, s[42:43]
.LBB6_24816:                            ;   in Loop: Header=BB6_24817 Depth=3
	s_or_b64 exec, exec, s[40:41]
	v_lshl_or_b32 v0, v36, 8, v16
	v_lshlrev_b32_e32 v1, 16, v14
	v_lshlrev_b32_e32 v7, 24, v15
	v_or3_b32 v30, v0, v1, v7
	v_lshl_or_b32 v0, v26, 8, v24
	v_lshlrev_b32_e32 v1, 16, v29
	v_lshlrev_b32_e32 v7, 24, v32
	v_or3_b32 v29, v0, v1, v7
	;; [unrolled: 4-line block ×3, first 2 shown]
	v_lshlrev_b32_e32 v0, 24, v6
	v_lshlrev_b32_e32 v1, 16, v8
	v_lshl_or_b32 v6, v25, 8, v9
	v_or3_b32 v32, v6, v1, v0
	buffer_load_dword v0, off, s[0:3], s33 offset:444 ; 4-byte Folded Reload
	s_waitcnt vmcnt(0)
	v_add_co_u32_e32 v2, vcc, v2, v0
	v_addc_co_u32_e32 v3, vcc, 0, v3, vcc
	v_add_co_u32_e32 v4, vcc, v4, v0
	v_addc_co_u32_e32 v5, vcc, 0, v5, vcc
	global_store_dwordx4 v[12:13], v[29:32], off glc slc
	v_add_co_u32_e32 v12, vcc, v12, v0
	v_sub_u32_e32 v22, v22, v0
	buffer_load_dword v0, off, s[0:3], s33 offset:284 ; 4-byte Folded Reload
	v_addc_co_u32_e32 v13, vcc, 0, v13, vcc
	v_cmp_gt_i32_e32 vcc, 16, v22
	s_or_b64 s[36:37], vcc, s[36:37]
	s_waitcnt vmcnt(0)
	v_sub_u32_e32 v21, v21, v0
	s_andn2_b64 exec, exec, s[36:37]
	s_cbranch_execz .LBB6_25816
.LBB6_24817:                            ;   Parent Loop BB6_47 Depth=1
                                        ;     Parent Loop BB6_13101 Depth=2
                                        ; =>    This Inner Loop Header: Depth=3
	s_cmpk_lt_i32 s52, 0x80
	s_cbranch_scc1 .LBB6_24821
; %bb.24818:                            ;   in Loop: Header=BB6_24817 Depth=3
	s_and_b32 s42, 0xffff, s52
	s_mov_b64 s[40:41], -1
	s_cmpk_eq_i32 s42, 0x80
	s_cbranch_scc0 .LBB6_24820
; %bb.24819:                            ;   in Loop: Header=BB6_24817 Depth=3
	s_mov_b64 s[40:41], 0
.LBB6_24820:                            ;   in Loop: Header=BB6_24817 Depth=3
	s_brev_b32 s62, 1
	s_branch .LBB6_24823
.LBB6_24821:                            ;   in Loop: Header=BB6_24817 Depth=3
	s_mov_b64 s[40:41], 0
	s_brev_b32 s62, 1
	s_cbranch_execz .LBB6_24823
; %bb.24822:                            ;   in Loop: Header=BB6_24817 Depth=3
	s_and_b32 s40, 0xffff, s52
	s_cmp_lg_u32 s40, 0
	s_mov_b32 s62, 0
	s_cselect_b64 s[40:41], -1, 0
.LBB6_24823:                            ;   in Loop: Header=BB6_24817 Depth=3
	s_andn2_b64 vcc, exec, s[40:41]
	v_mov_b32_e32 v26, s62
	s_cbranch_vccnz .LBB6_24825
; %bb.24824:                            ;   in Loop: Header=BB6_24817 Depth=3
	v_mov_b32_e32 v26, v23
.LBB6_24825:                            ;   in Loop: Header=BB6_24817 Depth=3
	global_load_dwordx4 v[8:11], v[2:3], off glc slc
	v_mov_b32_e32 v0, 0
	s_waitcnt vmcnt(0)
	v_cmp_ne_u16_sdwa s[42:43], v8, v33 src0_sel:BYTE_0 src1_sel:DWORD
	s_and_saveexec_b64 s[40:41], s[42:43]
	s_cbranch_execz .LBB6_24833
; %bb.24826:                            ;   in Loop: Header=BB6_24817 Depth=3
	v_cmp_ne_u16_sdwa s[62:63], sext(v8), s46 src0_sel:BYTE_0 src1_sel:DWORD
	v_bfrev_b32_e32 v0, 1
	s_and_saveexec_b64 s[42:43], s[62:63]
	s_cbranch_execz .LBB6_24832
; %bb.24827:                            ;   in Loop: Header=BB6_24817 Depth=3
	v_and_b32_e32 v0, 0x7c, v8
	v_and_b32_e32 v1, 3, v8
	v_cmp_ne_u32_e32 vcc, s86, v0
                                        ; implicit-def: $vgpr0
	s_and_saveexec_b64 s[62:63], vcc
	s_xor_b64 s[38:39], exec, s[62:63]
	s_cbranch_execz .LBB6_24829
; %bb.24828:                            ;   in Loop: Header=BB6_24817 Depth=3
	v_ffbh_u32_e32 v6, v1
	v_min_u32_e32 v14, 32, v6
	v_subrev_u32_e32 v6, 29, v14
	v_lshlrev_b64 v[6:7], v6, v[8:9]
	v_bfe_u32 v0, v8, 2, 5
	v_and_b32_e32 v6, 3, v6
	v_cmp_eq_u32_e32 vcc, 0, v0
	v_sub_u32_e32 v7, 30, v14
	v_cndmask_b32_e32 v1, v1, v6, vcc
	v_lshlrev_b32_e32 v6, 24, v8
	v_cndmask_b32_e32 v0, v0, v7, vcc
	v_and_b32_e32 v6, 0x80000000, v6
	v_lshl_add_u32 v0, v0, 23, v6
	v_lshl_or_b32 v0, v1, 21, v0
	v_add_u32_e32 v0, 0x38000000, v0
                                        ; implicit-def: $vgpr1
.LBB6_24829:                            ;   in Loop: Header=BB6_24817 Depth=3
	s_andn2_saveexec_b64 s[38:39], s[38:39]
; %bb.24830:                            ;   in Loop: Header=BB6_24817 Depth=3
	v_mov_b32_e32 v0, -1
	v_cmp_gt_i16_sdwa vcc, sext(v8), v0 src0_sel:BYTE_0 src1_sel:DWORD
	v_mov_b32_e32 v0, 0xff800000
	v_mov_b32_e32 v6, 0x7f800000
	v_cndmask_b32_e32 v0, v0, v6, vcc
	v_cmp_eq_u32_e32 vcc, 0, v1
	v_mov_b32_e32 v1, 0x7f800001
	v_cndmask_b32_e32 v0, v1, v0, vcc
; %bb.24831:                            ;   in Loop: Header=BB6_24817 Depth=3
	s_or_b64 exec, exec, s[38:39]
.LBB6_24832:                            ;   in Loop: Header=BB6_24817 Depth=3
	s_or_b64 exec, exec, s[42:43]
.LBB6_24833:                            ;   in Loop: Header=BB6_24817 Depth=3
	s_or_b64 exec, exec, s[40:41]
	v_mul_f32_e32 v6, v26, v0
	v_and_b32_e32 v14, 0x7f800000, v6
	v_mov_b32_e32 v15, v33
	v_cmp_ne_u64_e32 vcc, s[76:77], v[14:15]
	v_and_b32_e32 v0, 0x7fffff, v6
	v_mov_b32_e32 v1, v33
                                        ; implicit-def: $vgpr24
	s_and_saveexec_b64 s[40:41], vcc
	s_xor_b64 s[42:43], exec, s[40:41]
	s_cbranch_execz .LBB6_24847
; %bb.24834:                            ;   in Loop: Header=BB6_24817 Depth=3
	v_and_b32_e32 v14, 0x7fffffff, v6
	v_mov_b32_e32 v15, v33
	v_cmp_gt_u64_e32 vcc, s[78:79], v[14:15]
	v_and_b32_sdwa v14, v6, s97 dst_sel:DWORD dst_unused:UNUSED_PAD src0_sel:BYTE_3 src1_sel:DWORD
                                        ; implicit-def: $vgpr24
	s_and_saveexec_b64 s[40:41], vcc
	s_xor_b64 s[38:39], exec, s[40:41]
	s_cbranch_execz .LBB6_24844
; %bb.24835:                            ;   in Loop: Header=BB6_24817 Depth=3
	v_mov_b32_e32 v24, 0
	v_cmp_ne_u32_e32 vcc, 0, v6
	s_and_saveexec_b64 s[48:49], vcc
	s_cbranch_execz .LBB6_24843
; %bb.24836:                            ;   in Loop: Header=BB6_24817 Depth=3
	v_bfe_u32 v15, v6, 23, 8
	v_cmp_gt_u32_e64 s[40:41], s47, v15
	v_sub_u32_e32 v6, 0x71, v15
	v_cmp_eq_u32_e32 vcc, 0, v15
	v_cndmask_b32_e64 v6, 0, v6, s[40:41]
	v_mov_b32_e32 v16, 0x70
	v_cndmask_b32_e32 v16, v6, v16, vcc
	v_or_b32_e32 v7, 0x800000, v0
	v_add_u32_e32 v6, 21, v16
	v_cndmask_b32_e32 v0, v7, v0, vcc
	v_lshlrev_b64 v[6:7], v6, -1
	v_add_u32_e32 v24, 20, v16
	v_bfi_b32 v6, v6, 0, v0
	v_lshlrev_b64 v[24:25], v24, 1
	v_lshrrev_b64 v[0:1], v16, v[0:1]
	v_bfi_b32 v7, v7, 0, 0
	v_cmp_eq_u64_e64 s[40:41], v[6:7], v[24:25]
	v_mov_b32_e32 v7, v1
	v_mov_b32_e32 v6, v0
	s_and_saveexec_b64 s[50:51], s[40:41]
; %bb.24837:                            ;   in Loop: Header=BB6_24817 Depth=3
	v_bfe_u32 v1, v0, 21, 1
	v_add_co_u32_e64 v1, s[40:41], v0, v1
	v_add_co_u32_e64 v6, s[40:41], -1, v1
; %bb.24838:                            ;   in Loop: Header=BB6_24817 Depth=3
	s_or_b64 exec, exec, s[50:51]
	v_add_u32_e32 v1, 0xffffff81, v15
	v_mov_b32_e32 v7, 0xffffff82
	v_cndmask_b32_e32 v1, v1, v7, vcc
	v_lshrrev_b32_e32 v7, 23, v0
	v_add3_u32 v15, v16, v1, v7
	v_add_u32_e32 v7, 14, v15
	v_and_b32_e32 v1, 0x1fffff, v6
	v_add_u32_e32 v0, v1, v0
	v_mov_b32_e32 v1, v33
	v_cmp_ne_u32_e32 vcc, 0, v7
                                        ; implicit-def: $vgpr6
	s_and_saveexec_b64 s[40:41], vcc
	s_xor_b64 s[40:41], exec, s[40:41]
; %bb.24839:                            ;   in Loop: Header=BB6_24817 Depth=3
	v_cmp_lt_u64_e32 vcc, s[88:89], v[0:1]
	v_add_u32_e32 v6, 15, v15
	v_cndmask_b32_e32 v6, v7, v6, vcc
	v_cndmask_b32_e64 v7, 0, 1, vcc
	v_lshrrev_b64 v[0:1], v7, v[0:1]
; %bb.24840:                            ;   in Loop: Header=BB6_24817 Depth=3
	s_andn2_saveexec_b64 s[40:41], s[40:41]
; %bb.24841:                            ;   in Loop: Header=BB6_24817 Depth=3
	v_bfe_u32 v6, v0, 23, 1
; %bb.24842:                            ;   in Loop: Header=BB6_24817 Depth=3
	s_or_b64 exec, exec, s[40:41]
	v_lshrrev_b64 v[0:1], 21, v[0:1]
	v_cmp_gt_i32_e32 vcc, 32, v6
	v_cndmask_b32_e32 v1, 0, v1, vcc
	v_cndmask_b32_e32 v0, 3, v0, vcc
	v_cmp_eq_u64_e64 s[40:41], 0, v[0:1]
	v_min_i32_e32 v1, 31, v6
	v_lshlrev_b32_e32 v1, 2, v1
	v_cmp_eq_u32_e32 vcc, 0, v6
	v_and_b32_e32 v1, 0xfc, v1
	v_and_or_b32 v0, v0, 3, v1
	s_and_b64 s[40:41], vcc, s[40:41]
	v_cndmask_b32_e64 v0, v0, 0, s[40:41]
	v_or_b32_e32 v24, v0, v14
.LBB6_24843:                            ;   in Loop: Header=BB6_24817 Depth=3
	s_or_b64 exec, exec, s[48:49]
                                        ; implicit-def: $vgpr14
.LBB6_24844:                            ;   in Loop: Header=BB6_24817 Depth=3
	s_andn2_saveexec_b64 s[40:41], s[38:39]
; %bb.24845:                            ;   in Loop: Header=BB6_24817 Depth=3
	v_or_b32_e32 v24, 0x7b, v14
; %bb.24846:                            ;   in Loop: Header=BB6_24817 Depth=3
	s_or_b64 exec, exec, s[40:41]
                                        ; implicit-def: $vgpr6
                                        ; implicit-def: $vgpr0_vgpr1
.LBB6_24847:                            ;   in Loop: Header=BB6_24817 Depth=3
	s_andn2_saveexec_b64 s[40:41], s[42:43]
	s_cbranch_execz .LBB6_24853
; %bb.24848:                            ;   in Loop: Header=BB6_24817 Depth=3
	v_cmp_ne_u64_e32 vcc, 0, v[0:1]
                                        ; implicit-def: $vgpr24
	s_and_saveexec_b64 s[42:43], vcc
	s_xor_b64 s[42:43], exec, s[42:43]
; %bb.24849:                            ;   in Loop: Header=BB6_24817 Depth=3
	v_or_b32_sdwa v24, v6, s44 dst_sel:DWORD dst_unused:UNUSED_PAD src0_sel:BYTE_3 src1_sel:DWORD
                                        ; implicit-def: $vgpr6
; %bb.24850:                            ;   in Loop: Header=BB6_24817 Depth=3
	s_andn2_saveexec_b64 s[42:43], s[42:43]
; %bb.24851:                            ;   in Loop: Header=BB6_24817 Depth=3
	v_cmp_lt_i32_e32 vcc, -1, v6
	v_bfrev_b32_e32 v0, 0.5
	v_mov_b32_e32 v1, 0x7c
	v_cndmask_b32_e32 v24, v0, v1, vcc
; %bb.24852:                            ;   in Loop: Header=BB6_24817 Depth=3
	s_or_b64 exec, exec, s[42:43]
.LBB6_24853:                            ;   in Loop: Header=BB6_24817 Depth=3
	s_or_b64 exec, exec, s[40:41]
	v_lshrrev_b16_e32 v0, 8, v8
	v_cmp_ne_u16_e32 vcc, 0, v0
	v_mov_b32_e32 v1, 0
	s_and_saveexec_b64 s[40:41], vcc
	s_cbranch_execz .LBB6_24861
; %bb.24854:                            ;   in Loop: Header=BB6_24817 Depth=3
	v_cmp_ne_u16_e32 vcc, s97, v0
	v_bfrev_b32_e32 v1, 1
	s_and_saveexec_b64 s[42:43], vcc
	s_cbranch_execz .LBB6_24860
; %bb.24855:                            ;   in Loop: Header=BB6_24817 Depth=3
	v_and_b32_e32 v1, 0x7c, v0
	v_and_b32_e32 v6, 3, v0
	v_cmp_ne_u32_e32 vcc, s86, v1
                                        ; implicit-def: $vgpr1
	s_and_saveexec_b64 s[62:63], vcc
	s_xor_b64 s[38:39], exec, s[62:63]
	s_cbranch_execz .LBB6_24857
; %bb.24856:                            ;   in Loop: Header=BB6_24817 Depth=3
	v_ffbh_u32_e32 v14, v6
	v_min_u32_e32 v14, 32, v14
	v_mov_b32_e32 v1, v33
	v_subrev_u32_e32 v15, 29, v14
	v_bfe_u32 v7, v0, 2, 5
	v_lshlrev_b64 v[0:1], v15, v[0:1]
	v_cmp_eq_u32_e32 vcc, 0, v7
	v_and_b32_e32 v0, 3, v0
	v_sub_u32_e32 v1, 30, v14
	v_cndmask_b32_e32 v0, v6, v0, vcc
	v_lshlrev_b32_e32 v6, 16, v8
	v_cndmask_b32_e32 v1, v7, v1, vcc
	v_and_b32_e32 v6, 0x80000000, v6
	v_lshl_add_u32 v1, v1, 23, v6
	v_lshl_or_b32 v0, v0, 21, v1
	v_add_u32_e32 v1, 0x38000000, v0
                                        ; implicit-def: $vgpr6
.LBB6_24857:                            ;   in Loop: Header=BB6_24817 Depth=3
	s_andn2_saveexec_b64 s[38:39], s[38:39]
; %bb.24858:                            ;   in Loop: Header=BB6_24817 Depth=3
	v_cmp_lt_i16_e32 vcc, -1, v8
	v_mov_b32_e32 v0, 0xff800000
	v_mov_b32_e32 v1, 0x7f800000
	v_cndmask_b32_e32 v0, v0, v1, vcc
	v_cmp_eq_u32_e32 vcc, 0, v6
	v_mov_b32_e32 v1, 0x7f800001
	v_cndmask_b32_e32 v1, v1, v0, vcc
; %bb.24859:                            ;   in Loop: Header=BB6_24817 Depth=3
	s_or_b64 exec, exec, s[38:39]
.LBB6_24860:                            ;   in Loop: Header=BB6_24817 Depth=3
	s_or_b64 exec, exec, s[42:43]
.LBB6_24861:                            ;   in Loop: Header=BB6_24817 Depth=3
	s_or_b64 exec, exec, s[40:41]
	v_mul_f32_e32 v6, v26, v1
	v_and_b32_e32 v14, 0x7f800000, v6
	v_mov_b32_e32 v15, v33
	v_cmp_ne_u64_e32 vcc, s[76:77], v[14:15]
	v_and_b32_e32 v0, 0x7fffff, v6
	v_mov_b32_e32 v1, v33
                                        ; implicit-def: $vgpr29
	s_and_saveexec_b64 s[40:41], vcc
	s_xor_b64 s[42:43], exec, s[40:41]
	s_cbranch_execz .LBB6_24875
; %bb.24862:                            ;   in Loop: Header=BB6_24817 Depth=3
	v_and_b32_e32 v14, 0x7fffffff, v6
	v_mov_b32_e32 v15, v33
	v_cmp_gt_u64_e32 vcc, s[78:79], v[14:15]
	v_and_b32_sdwa v14, v6, s97 dst_sel:DWORD dst_unused:UNUSED_PAD src0_sel:BYTE_3 src1_sel:DWORD
                                        ; implicit-def: $vgpr29
	s_and_saveexec_b64 s[40:41], vcc
	s_xor_b64 s[38:39], exec, s[40:41]
	s_cbranch_execz .LBB6_24872
; %bb.24863:                            ;   in Loop: Header=BB6_24817 Depth=3
	v_mov_b32_e32 v29, 0
	v_cmp_ne_u32_e32 vcc, 0, v6
	s_and_saveexec_b64 s[48:49], vcc
	s_cbranch_execz .LBB6_24871
; %bb.24864:                            ;   in Loop: Header=BB6_24817 Depth=3
	v_bfe_u32 v15, v6, 23, 8
	v_cmp_gt_u32_e64 s[40:41], s47, v15
	v_sub_u32_e32 v6, 0x71, v15
	v_cmp_eq_u32_e32 vcc, 0, v15
	v_cndmask_b32_e64 v6, 0, v6, s[40:41]
	v_mov_b32_e32 v16, 0x70
	v_cndmask_b32_e32 v16, v6, v16, vcc
	v_or_b32_e32 v7, 0x800000, v0
	v_add_u32_e32 v6, 21, v16
	v_cndmask_b32_e32 v0, v7, v0, vcc
	v_lshlrev_b64 v[6:7], v6, -1
	v_add_u32_e32 v25, 20, v16
	v_bfi_b32 v6, v6, 0, v0
	v_lshlrev_b64 v[27:28], v25, 1
	v_lshrrev_b64 v[0:1], v16, v[0:1]
	v_bfi_b32 v7, v7, 0, 0
	v_cmp_eq_u64_e64 s[40:41], v[6:7], v[27:28]
	v_mov_b32_e32 v7, v1
	v_mov_b32_e32 v6, v0
	s_and_saveexec_b64 s[50:51], s[40:41]
; %bb.24865:                            ;   in Loop: Header=BB6_24817 Depth=3
	v_bfe_u32 v1, v0, 21, 1
	v_add_co_u32_e64 v1, s[40:41], v0, v1
	v_add_co_u32_e64 v6, s[40:41], -1, v1
; %bb.24866:                            ;   in Loop: Header=BB6_24817 Depth=3
	s_or_b64 exec, exec, s[50:51]
	v_add_u32_e32 v1, 0xffffff81, v15
	v_mov_b32_e32 v7, 0xffffff82
	v_cndmask_b32_e32 v1, v1, v7, vcc
	v_lshrrev_b32_e32 v7, 23, v0
	v_add3_u32 v15, v16, v1, v7
	v_add_u32_e32 v7, 14, v15
	v_and_b32_e32 v1, 0x1fffff, v6
	v_add_u32_e32 v0, v1, v0
	v_mov_b32_e32 v1, v33
	v_cmp_ne_u32_e32 vcc, 0, v7
                                        ; implicit-def: $vgpr6
	s_and_saveexec_b64 s[40:41], vcc
	s_xor_b64 s[40:41], exec, s[40:41]
; %bb.24867:                            ;   in Loop: Header=BB6_24817 Depth=3
	v_cmp_lt_u64_e32 vcc, s[88:89], v[0:1]
	v_add_u32_e32 v6, 15, v15
	v_cndmask_b32_e32 v6, v7, v6, vcc
	v_cndmask_b32_e64 v7, 0, 1, vcc
	v_lshrrev_b64 v[0:1], v7, v[0:1]
; %bb.24868:                            ;   in Loop: Header=BB6_24817 Depth=3
	s_andn2_saveexec_b64 s[40:41], s[40:41]
; %bb.24869:                            ;   in Loop: Header=BB6_24817 Depth=3
	v_bfe_u32 v6, v0, 23, 1
; %bb.24870:                            ;   in Loop: Header=BB6_24817 Depth=3
	s_or_b64 exec, exec, s[40:41]
	v_lshrrev_b64 v[0:1], 21, v[0:1]
	v_cmp_gt_i32_e32 vcc, 32, v6
	v_cndmask_b32_e32 v1, 0, v1, vcc
	v_cndmask_b32_e32 v0, 3, v0, vcc
	v_cmp_eq_u64_e64 s[40:41], 0, v[0:1]
	v_min_i32_e32 v1, 31, v6
	v_lshlrev_b32_e32 v1, 2, v1
	v_cmp_eq_u32_e32 vcc, 0, v6
	v_and_b32_e32 v1, 0xfc, v1
	v_and_or_b32 v0, v0, 3, v1
	s_and_b64 s[40:41], vcc, s[40:41]
	v_cndmask_b32_e64 v0, v0, 0, s[40:41]
	v_or_b32_e32 v29, v0, v14
.LBB6_24871:                            ;   in Loop: Header=BB6_24817 Depth=3
	s_or_b64 exec, exec, s[48:49]
                                        ; implicit-def: $vgpr14
.LBB6_24872:                            ;   in Loop: Header=BB6_24817 Depth=3
	s_andn2_saveexec_b64 s[40:41], s[38:39]
; %bb.24873:                            ;   in Loop: Header=BB6_24817 Depth=3
	v_or_b32_e32 v29, 0x7b, v14
; %bb.24874:                            ;   in Loop: Header=BB6_24817 Depth=3
	s_or_b64 exec, exec, s[40:41]
                                        ; implicit-def: $vgpr6
                                        ; implicit-def: $vgpr0_vgpr1
.LBB6_24875:                            ;   in Loop: Header=BB6_24817 Depth=3
	s_andn2_saveexec_b64 s[40:41], s[42:43]
	s_cbranch_execz .LBB6_24881
; %bb.24876:                            ;   in Loop: Header=BB6_24817 Depth=3
	v_cmp_ne_u64_e32 vcc, 0, v[0:1]
                                        ; implicit-def: $vgpr29
	s_and_saveexec_b64 s[42:43], vcc
	s_xor_b64 s[42:43], exec, s[42:43]
; %bb.24877:                            ;   in Loop: Header=BB6_24817 Depth=3
	v_or_b32_sdwa v29, v6, s44 dst_sel:DWORD dst_unused:UNUSED_PAD src0_sel:BYTE_3 src1_sel:DWORD
                                        ; implicit-def: $vgpr6
; %bb.24878:                            ;   in Loop: Header=BB6_24817 Depth=3
	s_andn2_saveexec_b64 s[42:43], s[42:43]
; %bb.24879:                            ;   in Loop: Header=BB6_24817 Depth=3
	v_cmp_lt_i32_e32 vcc, -1, v6
	v_bfrev_b32_e32 v0, 0.5
	v_mov_b32_e32 v1, 0x7c
	v_cndmask_b32_e32 v29, v0, v1, vcc
; %bb.24880:                            ;   in Loop: Header=BB6_24817 Depth=3
	s_or_b64 exec, exec, s[42:43]
.LBB6_24881:                            ;   in Loop: Header=BB6_24817 Depth=3
	s_or_b64 exec, exec, s[40:41]
	v_lshrrev_b32_e32 v0, 16, v8
	v_cmp_ne_u16_sdwa s[42:43], v0, v33 src0_sel:BYTE_0 src1_sel:DWORD
	v_mov_b32_e32 v1, 0
	s_and_saveexec_b64 s[40:41], s[42:43]
	s_cbranch_execz .LBB6_24889
; %bb.24882:                            ;   in Loop: Header=BB6_24817 Depth=3
	v_cmp_ne_u16_sdwa s[62:63], v0, s97 src0_sel:BYTE_0 src1_sel:DWORD
	v_bfrev_b32_e32 v1, 1
	s_and_saveexec_b64 s[42:43], s[62:63]
	s_cbranch_execz .LBB6_24888
; %bb.24883:                            ;   in Loop: Header=BB6_24817 Depth=3
	v_and_b32_e32 v1, 0x7c0000, v8
	v_bfe_u32 v6, v8, 16, 2
	v_cmp_ne_u32_e32 vcc, s45, v1
                                        ; implicit-def: $vgpr1
	s_and_saveexec_b64 s[62:63], vcc
	s_xor_b64 s[38:39], exec, s[62:63]
	s_cbranch_execz .LBB6_24885
; %bb.24884:                            ;   in Loop: Header=BB6_24817 Depth=3
	v_ffbh_u32_e32 v1, v6
	v_min_u32_e32 v14, 32, v1
	v_subrev_u32_e32 v1, 29, v14
	v_lshlrev_b64 v[0:1], v1, v[0:1]
	v_bfe_u32 v7, v8, 18, 5
	v_and_b32_e32 v0, 3, v0
	v_cmp_eq_u32_e32 vcc, 0, v7
	v_sub_u32_e32 v1, 30, v14
	v_cndmask_b32_e32 v0, v6, v0, vcc
	v_lshlrev_b32_e32 v6, 8, v8
	v_cndmask_b32_e32 v1, v7, v1, vcc
	v_and_b32_e32 v6, 0x80000000, v6
	v_lshl_add_u32 v1, v1, 23, v6
	v_lshl_or_b32 v0, v0, 21, v1
	v_add_u32_e32 v1, 0x38000000, v0
                                        ; implicit-def: $vgpr6
                                        ; implicit-def: $vgpr0
.LBB6_24885:                            ;   in Loop: Header=BB6_24817 Depth=3
	s_andn2_saveexec_b64 s[38:39], s[38:39]
; %bb.24886:                            ;   in Loop: Header=BB6_24817 Depth=3
	v_mov_b32_e32 v1, -1
	v_cmp_gt_i16_sdwa vcc, sext(v0), v1 src0_sel:BYTE_0 src1_sel:DWORD
	v_mov_b32_e32 v0, 0xff800000
	v_mov_b32_e32 v1, 0x7f800000
	v_cndmask_b32_e32 v0, v0, v1, vcc
	v_cmp_eq_u32_e32 vcc, 0, v6
	v_mov_b32_e32 v1, 0x7f800001
	v_cndmask_b32_e32 v1, v1, v0, vcc
; %bb.24887:                            ;   in Loop: Header=BB6_24817 Depth=3
	s_or_b64 exec, exec, s[38:39]
.LBB6_24888:                            ;   in Loop: Header=BB6_24817 Depth=3
	s_or_b64 exec, exec, s[42:43]
.LBB6_24889:                            ;   in Loop: Header=BB6_24817 Depth=3
	s_or_b64 exec, exec, s[40:41]
	v_mul_f32_e32 v6, v26, v1
	v_and_b32_e32 v14, 0x7f800000, v6
	v_mov_b32_e32 v15, v33
	v_cmp_ne_u64_e32 vcc, s[76:77], v[14:15]
	v_and_b32_e32 v0, 0x7fffff, v6
	v_mov_b32_e32 v1, v33
                                        ; implicit-def: $vgpr32
	s_and_saveexec_b64 s[40:41], vcc
	s_xor_b64 s[42:43], exec, s[40:41]
	s_cbranch_execz .LBB6_24903
; %bb.24890:                            ;   in Loop: Header=BB6_24817 Depth=3
	v_and_b32_e32 v14, 0x7fffffff, v6
	v_mov_b32_e32 v15, v33
	v_cmp_gt_u64_e32 vcc, s[78:79], v[14:15]
	v_and_b32_sdwa v14, v6, s97 dst_sel:DWORD dst_unused:UNUSED_PAD src0_sel:BYTE_3 src1_sel:DWORD
                                        ; implicit-def: $vgpr32
	s_and_saveexec_b64 s[40:41], vcc
	s_xor_b64 s[38:39], exec, s[40:41]
	s_cbranch_execz .LBB6_24900
; %bb.24891:                            ;   in Loop: Header=BB6_24817 Depth=3
	v_mov_b32_e32 v32, 0
	v_cmp_ne_u32_e32 vcc, 0, v6
	s_and_saveexec_b64 s[48:49], vcc
	s_cbranch_execz .LBB6_24899
; %bb.24892:                            ;   in Loop: Header=BB6_24817 Depth=3
	v_bfe_u32 v15, v6, 23, 8
	v_cmp_gt_u32_e64 s[40:41], s47, v15
	v_sub_u32_e32 v6, 0x71, v15
	v_cmp_eq_u32_e32 vcc, 0, v15
	v_cndmask_b32_e64 v6, 0, v6, s[40:41]
	v_mov_b32_e32 v16, 0x70
	v_cndmask_b32_e32 v16, v6, v16, vcc
	v_or_b32_e32 v7, 0x800000, v0
	v_add_u32_e32 v6, 21, v16
	v_cndmask_b32_e32 v0, v7, v0, vcc
	v_lshlrev_b64 v[6:7], v6, -1
	v_add_u32_e32 v25, 20, v16
	v_bfi_b32 v6, v6, 0, v0
	v_lshlrev_b64 v[27:28], v25, 1
	v_lshrrev_b64 v[0:1], v16, v[0:1]
	v_bfi_b32 v7, v7, 0, 0
	v_cmp_eq_u64_e64 s[40:41], v[6:7], v[27:28]
	v_mov_b32_e32 v7, v1
	v_mov_b32_e32 v6, v0
	s_and_saveexec_b64 s[50:51], s[40:41]
; %bb.24893:                            ;   in Loop: Header=BB6_24817 Depth=3
	v_bfe_u32 v1, v0, 21, 1
	v_add_co_u32_e64 v1, s[40:41], v0, v1
	v_add_co_u32_e64 v6, s[40:41], -1, v1
; %bb.24894:                            ;   in Loop: Header=BB6_24817 Depth=3
	s_or_b64 exec, exec, s[50:51]
	v_add_u32_e32 v1, 0xffffff81, v15
	v_mov_b32_e32 v7, 0xffffff82
	v_cndmask_b32_e32 v1, v1, v7, vcc
	v_lshrrev_b32_e32 v7, 23, v0
	v_add3_u32 v15, v16, v1, v7
	v_add_u32_e32 v7, 14, v15
	v_and_b32_e32 v1, 0x1fffff, v6
	v_add_u32_e32 v0, v1, v0
	v_mov_b32_e32 v1, v33
	v_cmp_ne_u32_e32 vcc, 0, v7
                                        ; implicit-def: $vgpr6
	s_and_saveexec_b64 s[40:41], vcc
	s_xor_b64 s[40:41], exec, s[40:41]
; %bb.24895:                            ;   in Loop: Header=BB6_24817 Depth=3
	v_cmp_lt_u64_e32 vcc, s[88:89], v[0:1]
	v_add_u32_e32 v6, 15, v15
	v_cndmask_b32_e32 v6, v7, v6, vcc
	v_cndmask_b32_e64 v7, 0, 1, vcc
	v_lshrrev_b64 v[0:1], v7, v[0:1]
; %bb.24896:                            ;   in Loop: Header=BB6_24817 Depth=3
	s_andn2_saveexec_b64 s[40:41], s[40:41]
; %bb.24897:                            ;   in Loop: Header=BB6_24817 Depth=3
	v_bfe_u32 v6, v0, 23, 1
; %bb.24898:                            ;   in Loop: Header=BB6_24817 Depth=3
	s_or_b64 exec, exec, s[40:41]
	v_lshrrev_b64 v[0:1], 21, v[0:1]
	v_cmp_gt_i32_e32 vcc, 32, v6
	v_cndmask_b32_e32 v1, 0, v1, vcc
	v_cndmask_b32_e32 v0, 3, v0, vcc
	v_cmp_eq_u64_e64 s[40:41], 0, v[0:1]
	v_min_i32_e32 v1, 31, v6
	v_lshlrev_b32_e32 v1, 2, v1
	v_cmp_eq_u32_e32 vcc, 0, v6
	v_and_b32_e32 v1, 0xfc, v1
	v_and_or_b32 v0, v0, 3, v1
	s_and_b64 s[40:41], vcc, s[40:41]
	v_cndmask_b32_e64 v0, v0, 0, s[40:41]
	v_or_b32_e32 v32, v0, v14
.LBB6_24899:                            ;   in Loop: Header=BB6_24817 Depth=3
	s_or_b64 exec, exec, s[48:49]
                                        ; implicit-def: $vgpr14
.LBB6_24900:                            ;   in Loop: Header=BB6_24817 Depth=3
	s_andn2_saveexec_b64 s[40:41], s[38:39]
; %bb.24901:                            ;   in Loop: Header=BB6_24817 Depth=3
	v_or_b32_e32 v32, 0x7b, v14
; %bb.24902:                            ;   in Loop: Header=BB6_24817 Depth=3
	s_or_b64 exec, exec, s[40:41]
                                        ; implicit-def: $vgpr6
                                        ; implicit-def: $vgpr0_vgpr1
.LBB6_24903:                            ;   in Loop: Header=BB6_24817 Depth=3
	s_andn2_saveexec_b64 s[40:41], s[42:43]
	s_cbranch_execz .LBB6_24909
; %bb.24904:                            ;   in Loop: Header=BB6_24817 Depth=3
	v_cmp_ne_u64_e32 vcc, 0, v[0:1]
                                        ; implicit-def: $vgpr32
	s_and_saveexec_b64 s[42:43], vcc
	s_xor_b64 s[42:43], exec, s[42:43]
; %bb.24905:                            ;   in Loop: Header=BB6_24817 Depth=3
	v_or_b32_sdwa v32, v6, s44 dst_sel:DWORD dst_unused:UNUSED_PAD src0_sel:BYTE_3 src1_sel:DWORD
                                        ; implicit-def: $vgpr6
; %bb.24906:                            ;   in Loop: Header=BB6_24817 Depth=3
	s_andn2_saveexec_b64 s[42:43], s[42:43]
; %bb.24907:                            ;   in Loop: Header=BB6_24817 Depth=3
	v_cmp_lt_i32_e32 vcc, -1, v6
	v_bfrev_b32_e32 v0, 0.5
	v_mov_b32_e32 v1, 0x7c
	v_cndmask_b32_e32 v32, v0, v1, vcc
; %bb.24908:                            ;   in Loop: Header=BB6_24817 Depth=3
	s_or_b64 exec, exec, s[42:43]
.LBB6_24909:                            ;   in Loop: Header=BB6_24817 Depth=3
	s_or_b64 exec, exec, s[40:41]
	v_cmp_lt_u32_e32 vcc, s57, v8
	v_mov_b32_e32 v1, 0
	s_and_saveexec_b64 s[40:41], vcc
	s_cbranch_execz .LBB6_24917
; %bb.24910:                            ;   in Loop: Header=BB6_24817 Depth=3
	v_lshrrev_b32_e32 v0, 24, v8
	v_cmp_ne_u32_e32 vcc, s97, v0
	v_bfrev_b32_e32 v1, 1
	s_and_saveexec_b64 s[42:43], vcc
	s_cbranch_execz .LBB6_24916
; %bb.24911:                            ;   in Loop: Header=BB6_24817 Depth=3
	v_and_b32_e32 v1, 0x7c000000, v8
	v_bfe_u32 v6, v8, 24, 2
	v_cmp_ne_u32_e32 vcc, s68, v1
                                        ; implicit-def: $vgpr1
	s_and_saveexec_b64 s[62:63], vcc
	s_xor_b64 s[38:39], exec, s[62:63]
	s_cbranch_execz .LBB6_24913
; %bb.24912:                            ;   in Loop: Header=BB6_24817 Depth=3
	v_ffbh_u32_e32 v1, v6
	v_min_u32_e32 v14, 32, v1
	v_subrev_u32_e32 v1, 29, v14
	v_lshlrev_b64 v[0:1], v1, v[0:1]
	v_bfe_u32 v7, v8, 26, 5
	v_sub_u32_e32 v1, 30, v14
	v_and_b32_e32 v0, 3, v0
	v_cmp_eq_u32_e32 vcc, 0, v7
	v_cndmask_b32_e32 v1, v7, v1, vcc
	v_cndmask_b32_e32 v0, v6, v0, vcc
	v_and_b32_e32 v6, 0x80000000, v8
	v_lshl_add_u32 v1, v1, 23, v6
	v_lshl_or_b32 v0, v0, 21, v1
	v_add_u32_e32 v1, 0x38000000, v0
                                        ; implicit-def: $vgpr6
.LBB6_24913:                            ;   in Loop: Header=BB6_24817 Depth=3
	s_andn2_saveexec_b64 s[38:39], s[38:39]
; %bb.24914:                            ;   in Loop: Header=BB6_24817 Depth=3
	v_cmp_lt_i32_e32 vcc, -1, v8
	v_mov_b32_e32 v0, 0xff800000
	v_mov_b32_e32 v1, 0x7f800000
	v_cndmask_b32_e32 v0, v0, v1, vcc
	v_cmp_eq_u32_e32 vcc, 0, v6
	v_mov_b32_e32 v1, 0x7f800001
	v_cndmask_b32_e32 v1, v1, v0, vcc
; %bb.24915:                            ;   in Loop: Header=BB6_24817 Depth=3
	s_or_b64 exec, exec, s[38:39]
.LBB6_24916:                            ;   in Loop: Header=BB6_24817 Depth=3
	s_or_b64 exec, exec, s[42:43]
.LBB6_24917:                            ;   in Loop: Header=BB6_24817 Depth=3
	s_or_b64 exec, exec, s[40:41]
	v_mul_f32_e32 v6, v26, v1
	v_and_b32_e32 v14, 0x7f800000, v6
	v_mov_b32_e32 v15, v33
	v_cmp_ne_u64_e32 vcc, s[76:77], v[14:15]
	v_and_b32_e32 v0, 0x7fffff, v6
	v_mov_b32_e32 v1, v33
                                        ; implicit-def: $vgpr48
	s_and_saveexec_b64 s[40:41], vcc
	s_xor_b64 s[42:43], exec, s[40:41]
	s_cbranch_execz .LBB6_24931
; %bb.24918:                            ;   in Loop: Header=BB6_24817 Depth=3
	v_and_b32_e32 v14, 0x7fffffff, v6
	v_mov_b32_e32 v15, v33
	v_cmp_gt_u64_e32 vcc, s[78:79], v[14:15]
	v_and_b32_sdwa v14, v6, s97 dst_sel:DWORD dst_unused:UNUSED_PAD src0_sel:BYTE_3 src1_sel:DWORD
                                        ; implicit-def: $vgpr48
	s_and_saveexec_b64 s[40:41], vcc
	s_xor_b64 s[38:39], exec, s[40:41]
	s_cbranch_execz .LBB6_24928
; %bb.24919:                            ;   in Loop: Header=BB6_24817 Depth=3
	v_mov_b32_e32 v48, 0
	v_cmp_ne_u32_e32 vcc, 0, v6
	s_and_saveexec_b64 s[48:49], vcc
	s_cbranch_execz .LBB6_24927
; %bb.24920:                            ;   in Loop: Header=BB6_24817 Depth=3
	v_bfe_u32 v15, v6, 23, 8
	v_cmp_gt_u32_e64 s[40:41], s47, v15
	v_sub_u32_e32 v6, 0x71, v15
	v_cmp_eq_u32_e32 vcc, 0, v15
	v_cndmask_b32_e64 v6, 0, v6, s[40:41]
	v_mov_b32_e32 v16, 0x70
	v_cndmask_b32_e32 v16, v6, v16, vcc
	v_or_b32_e32 v7, 0x800000, v0
	v_add_u32_e32 v6, 21, v16
	v_cndmask_b32_e32 v0, v7, v0, vcc
	v_lshlrev_b64 v[6:7], v6, -1
	v_add_u32_e32 v25, 20, v16
	v_bfi_b32 v6, v6, 0, v0
	v_lshlrev_b64 v[27:28], v25, 1
	v_lshrrev_b64 v[0:1], v16, v[0:1]
	v_bfi_b32 v7, v7, 0, 0
	v_cmp_eq_u64_e64 s[40:41], v[6:7], v[27:28]
	v_mov_b32_e32 v7, v1
	v_mov_b32_e32 v6, v0
	s_and_saveexec_b64 s[50:51], s[40:41]
; %bb.24921:                            ;   in Loop: Header=BB6_24817 Depth=3
	v_bfe_u32 v1, v0, 21, 1
	v_add_co_u32_e64 v1, s[40:41], v0, v1
	v_add_co_u32_e64 v6, s[40:41], -1, v1
; %bb.24922:                            ;   in Loop: Header=BB6_24817 Depth=3
	s_or_b64 exec, exec, s[50:51]
	v_add_u32_e32 v1, 0xffffff81, v15
	v_mov_b32_e32 v7, 0xffffff82
	v_cndmask_b32_e32 v1, v1, v7, vcc
	v_lshrrev_b32_e32 v7, 23, v0
	v_add3_u32 v15, v16, v1, v7
	v_add_u32_e32 v7, 14, v15
	v_and_b32_e32 v1, 0x1fffff, v6
	v_add_u32_e32 v0, v1, v0
	v_mov_b32_e32 v1, v33
	v_cmp_ne_u32_e32 vcc, 0, v7
                                        ; implicit-def: $vgpr6
	s_and_saveexec_b64 s[40:41], vcc
	s_xor_b64 s[40:41], exec, s[40:41]
; %bb.24923:                            ;   in Loop: Header=BB6_24817 Depth=3
	v_cmp_lt_u64_e32 vcc, s[88:89], v[0:1]
	v_add_u32_e32 v6, 15, v15
	v_cndmask_b32_e32 v6, v7, v6, vcc
	v_cndmask_b32_e64 v7, 0, 1, vcc
	v_lshrrev_b64 v[0:1], v7, v[0:1]
; %bb.24924:                            ;   in Loop: Header=BB6_24817 Depth=3
	s_andn2_saveexec_b64 s[40:41], s[40:41]
; %bb.24925:                            ;   in Loop: Header=BB6_24817 Depth=3
	v_bfe_u32 v6, v0, 23, 1
; %bb.24926:                            ;   in Loop: Header=BB6_24817 Depth=3
	s_or_b64 exec, exec, s[40:41]
	v_lshrrev_b64 v[0:1], 21, v[0:1]
	v_cmp_gt_i32_e32 vcc, 32, v6
	v_cndmask_b32_e32 v1, 0, v1, vcc
	v_cndmask_b32_e32 v0, 3, v0, vcc
	v_cmp_eq_u64_e64 s[40:41], 0, v[0:1]
	v_min_i32_e32 v1, 31, v6
	v_lshlrev_b32_e32 v1, 2, v1
	v_cmp_eq_u32_e32 vcc, 0, v6
	v_and_b32_e32 v1, 0xfc, v1
	v_and_or_b32 v0, v0, 3, v1
	s_and_b64 s[40:41], vcc, s[40:41]
	v_cndmask_b32_e64 v0, v0, 0, s[40:41]
	v_or_b32_e32 v48, v0, v14
.LBB6_24927:                            ;   in Loop: Header=BB6_24817 Depth=3
	s_or_b64 exec, exec, s[48:49]
                                        ; implicit-def: $vgpr14
.LBB6_24928:                            ;   in Loop: Header=BB6_24817 Depth=3
	s_andn2_saveexec_b64 s[40:41], s[38:39]
; %bb.24929:                            ;   in Loop: Header=BB6_24817 Depth=3
	v_or_b32_e32 v48, 0x7b, v14
; %bb.24930:                            ;   in Loop: Header=BB6_24817 Depth=3
	s_or_b64 exec, exec, s[40:41]
                                        ; implicit-def: $vgpr6
                                        ; implicit-def: $vgpr0_vgpr1
.LBB6_24931:                            ;   in Loop: Header=BB6_24817 Depth=3
	s_andn2_saveexec_b64 s[40:41], s[42:43]
	s_cbranch_execz .LBB6_24937
; %bb.24932:                            ;   in Loop: Header=BB6_24817 Depth=3
	v_cmp_ne_u64_e32 vcc, 0, v[0:1]
                                        ; implicit-def: $vgpr48
	s_and_saveexec_b64 s[42:43], vcc
	s_xor_b64 s[42:43], exec, s[42:43]
; %bb.24933:                            ;   in Loop: Header=BB6_24817 Depth=3
	v_or_b32_sdwa v48, v6, s44 dst_sel:DWORD dst_unused:UNUSED_PAD src0_sel:BYTE_3 src1_sel:DWORD
                                        ; implicit-def: $vgpr6
; %bb.24934:                            ;   in Loop: Header=BB6_24817 Depth=3
	s_andn2_saveexec_b64 s[42:43], s[42:43]
; %bb.24935:                            ;   in Loop: Header=BB6_24817 Depth=3
	v_cmp_lt_i32_e32 vcc, -1, v6
	v_bfrev_b32_e32 v0, 0.5
	v_mov_b32_e32 v1, 0x7c
	v_cndmask_b32_e32 v48, v0, v1, vcc
; %bb.24936:                            ;   in Loop: Header=BB6_24817 Depth=3
	s_or_b64 exec, exec, s[42:43]
.LBB6_24937:                            ;   in Loop: Header=BB6_24817 Depth=3
	s_or_b64 exec, exec, s[40:41]
	v_mov_b32_e32 v0, v9
	v_mov_b32_e32 v1, v33
	v_cmp_ne_u16_sdwa s[42:43], v9, v33 src0_sel:BYTE_0 src1_sel:DWORD
	v_mov_b32_e32 v6, 0
	s_and_saveexec_b64 s[40:41], s[42:43]
	s_cbranch_execz .LBB6_24945
; %bb.24938:                            ;   in Loop: Header=BB6_24817 Depth=3
	v_cmp_ne_u16_sdwa s[62:63], v9, s97 src0_sel:BYTE_0 src1_sel:DWORD
	v_bfrev_b32_e32 v6, 1
	s_and_saveexec_b64 s[42:43], s[62:63]
	s_cbranch_execz .LBB6_24944
; %bb.24939:                            ;   in Loop: Header=BB6_24817 Depth=3
	v_and_b32_e32 v6, 0x7c, v9
	v_and_b32_e32 v7, 3, v9
	v_cmp_ne_u32_e32 vcc, s86, v6
                                        ; implicit-def: $vgpr6
	s_and_saveexec_b64 s[62:63], vcc
	s_xor_b64 s[38:39], exec, s[62:63]
	s_cbranch_execz .LBB6_24941
; %bb.24940:                            ;   in Loop: Header=BB6_24817 Depth=3
	v_ffbh_u32_e32 v14, v7
	v_min_u32_e32 v16, 32, v14
	v_subrev_u32_e32 v14, 29, v16
	v_lshlrev_b64 v[14:15], v14, v[0:1]
	v_bfe_u32 v6, v9, 2, 5
	v_sub_u32_e32 v1, 30, v16
	v_and_b32_e32 v14, 3, v14
	v_cmp_eq_u32_e32 vcc, 0, v6
	v_cndmask_b32_e32 v1, v6, v1, vcc
	v_cndmask_b32_e32 v6, v7, v14, vcc
	v_lshlrev_b32_e32 v7, 24, v9
	v_and_b32_e32 v7, 0x80000000, v7
	v_lshl_add_u32 v1, v1, 23, v7
	v_lshl_or_b32 v1, v6, 21, v1
	v_add_u32_e32 v6, 0x38000000, v1
                                        ; implicit-def: $vgpr7
.LBB6_24941:                            ;   in Loop: Header=BB6_24817 Depth=3
	s_andn2_saveexec_b64 s[38:39], s[38:39]
; %bb.24942:                            ;   in Loop: Header=BB6_24817 Depth=3
	v_mov_b32_e32 v1, -1
	v_cmp_gt_i16_sdwa vcc, sext(v9), v1 src0_sel:BYTE_0 src1_sel:DWORD
	v_mov_b32_e32 v1, 0xff800000
	v_mov_b32_e32 v6, 0x7f800000
	v_cndmask_b32_e32 v1, v1, v6, vcc
	v_cmp_eq_u32_e32 vcc, 0, v7
	v_mov_b32_e32 v6, 0x7f800001
	v_cndmask_b32_e32 v6, v6, v1, vcc
; %bb.24943:                            ;   in Loop: Header=BB6_24817 Depth=3
	s_or_b64 exec, exec, s[38:39]
.LBB6_24944:                            ;   in Loop: Header=BB6_24817 Depth=3
	s_or_b64 exec, exec, s[42:43]
.LBB6_24945:                            ;   in Loop: Header=BB6_24817 Depth=3
	s_or_b64 exec, exec, s[40:41]
	v_mul_f32_e32 v14, v26, v6
	v_and_b32_e32 v15, 0x7f800000, v14
	v_mov_b32_e32 v16, v33
	v_cmp_ne_u64_e32 vcc, s[76:77], v[15:16]
	v_and_b32_e32 v6, 0x7fffff, v14
	v_mov_b32_e32 v7, v33
                                        ; implicit-def: $vgpr16
	s_and_saveexec_b64 s[40:41], vcc
	s_xor_b64 s[42:43], exec, s[40:41]
	s_cbranch_execz .LBB6_24959
; %bb.24946:                            ;   in Loop: Header=BB6_24817 Depth=3
	v_and_b32_e32 v15, 0x7fffffff, v14
	v_mov_b32_e32 v16, v33
	v_cmp_gt_u64_e32 vcc, s[78:79], v[15:16]
	v_and_b32_sdwa v1, v14, s97 dst_sel:DWORD dst_unused:UNUSED_PAD src0_sel:BYTE_3 src1_sel:DWORD
                                        ; implicit-def: $vgpr16
	s_and_saveexec_b64 s[40:41], vcc
	s_xor_b64 s[38:39], exec, s[40:41]
	s_cbranch_execz .LBB6_24956
; %bb.24947:                            ;   in Loop: Header=BB6_24817 Depth=3
	v_mov_b32_e32 v16, 0
	v_cmp_ne_u32_e32 vcc, 0, v14
	s_and_saveexec_b64 s[48:49], vcc
	s_cbranch_execz .LBB6_24955
; %bb.24948:                            ;   in Loop: Header=BB6_24817 Depth=3
	v_bfe_u32 v16, v14, 23, 8
	v_cmp_gt_u32_e64 s[40:41], s47, v16
	v_sub_u32_e32 v14, 0x71, v16
	v_cmp_eq_u32_e32 vcc, 0, v16
	v_cndmask_b32_e64 v14, 0, v14, s[40:41]
	v_mov_b32_e32 v25, 0x70
	v_cndmask_b32_e32 v25, v14, v25, vcc
	v_or_b32_e32 v15, 0x800000, v6
	v_add_u32_e32 v14, 21, v25
	v_cndmask_b32_e32 v6, v15, v6, vcc
	v_lshlrev_b64 v[14:15], v14, -1
	v_add_u32_e32 v27, 20, v25
	v_bfi_b32 v14, v14, 0, v6
	v_lshlrev_b64 v[27:28], v27, 1
	v_lshrrev_b64 v[6:7], v25, v[6:7]
	v_bfi_b32 v15, v15, 0, 0
	v_cmp_eq_u64_e64 s[40:41], v[14:15], v[27:28]
	v_mov_b32_e32 v15, v7
	v_mov_b32_e32 v14, v6
	s_and_saveexec_b64 s[50:51], s[40:41]
; %bb.24949:                            ;   in Loop: Header=BB6_24817 Depth=3
	v_bfe_u32 v7, v6, 21, 1
	v_add_co_u32_e64 v7, s[40:41], v6, v7
	v_add_co_u32_e64 v14, s[40:41], -1, v7
; %bb.24950:                            ;   in Loop: Header=BB6_24817 Depth=3
	s_or_b64 exec, exec, s[50:51]
	v_add_u32_e32 v7, 0xffffff81, v16
	v_mov_b32_e32 v15, 0xffffff82
	v_cndmask_b32_e32 v7, v7, v15, vcc
	v_lshrrev_b32_e32 v15, 23, v6
	v_add3_u32 v16, v25, v7, v15
	v_add_u32_e32 v15, 14, v16
	v_and_b32_e32 v7, 0x1fffff, v14
	v_add_u32_e32 v6, v7, v6
	v_mov_b32_e32 v7, v33
	v_cmp_ne_u32_e32 vcc, 0, v15
                                        ; implicit-def: $vgpr14
	s_and_saveexec_b64 s[40:41], vcc
	s_xor_b64 s[40:41], exec, s[40:41]
; %bb.24951:                            ;   in Loop: Header=BB6_24817 Depth=3
	v_cmp_lt_u64_e32 vcc, s[88:89], v[6:7]
	v_add_u32_e32 v14, 15, v16
	v_cndmask_b32_e32 v14, v15, v14, vcc
	v_cndmask_b32_e64 v15, 0, 1, vcc
	v_lshrrev_b64 v[6:7], v15, v[6:7]
; %bb.24952:                            ;   in Loop: Header=BB6_24817 Depth=3
	s_andn2_saveexec_b64 s[40:41], s[40:41]
; %bb.24953:                            ;   in Loop: Header=BB6_24817 Depth=3
	v_bfe_u32 v14, v6, 23, 1
; %bb.24954:                            ;   in Loop: Header=BB6_24817 Depth=3
	s_or_b64 exec, exec, s[40:41]
	v_lshrrev_b64 v[6:7], 21, v[6:7]
	v_cmp_gt_i32_e32 vcc, 32, v14
	v_cndmask_b32_e32 v7, 0, v7, vcc
	v_cndmask_b32_e32 v6, 3, v6, vcc
	v_cmp_eq_u64_e64 s[40:41], 0, v[6:7]
	v_min_i32_e32 v7, 31, v14
	v_lshlrev_b32_e32 v7, 2, v7
	v_cmp_eq_u32_e32 vcc, 0, v14
	v_and_b32_e32 v7, 0xfc, v7
	v_and_or_b32 v6, v6, 3, v7
	s_and_b64 s[40:41], vcc, s[40:41]
	v_cndmask_b32_e64 v6, v6, 0, s[40:41]
	v_or_b32_e32 v16, v6, v1
.LBB6_24955:                            ;   in Loop: Header=BB6_24817 Depth=3
	s_or_b64 exec, exec, s[48:49]
                                        ; implicit-def: $vgpr1
.LBB6_24956:                            ;   in Loop: Header=BB6_24817 Depth=3
	s_andn2_saveexec_b64 s[40:41], s[38:39]
; %bb.24957:                            ;   in Loop: Header=BB6_24817 Depth=3
	v_or_b32_e32 v16, 0x7b, v1
; %bb.24958:                            ;   in Loop: Header=BB6_24817 Depth=3
	s_or_b64 exec, exec, s[40:41]
                                        ; implicit-def: $vgpr14
                                        ; implicit-def: $vgpr6_vgpr7
.LBB6_24959:                            ;   in Loop: Header=BB6_24817 Depth=3
	s_andn2_saveexec_b64 s[40:41], s[42:43]
	s_cbranch_execz .LBB6_24965
; %bb.24960:                            ;   in Loop: Header=BB6_24817 Depth=3
	v_cmp_ne_u64_e32 vcc, 0, v[6:7]
                                        ; implicit-def: $vgpr16
	s_and_saveexec_b64 s[42:43], vcc
	s_xor_b64 s[42:43], exec, s[42:43]
; %bb.24961:                            ;   in Loop: Header=BB6_24817 Depth=3
	v_or_b32_sdwa v16, v14, s44 dst_sel:DWORD dst_unused:UNUSED_PAD src0_sel:BYTE_3 src1_sel:DWORD
                                        ; implicit-def: $vgpr14
; %bb.24962:                            ;   in Loop: Header=BB6_24817 Depth=3
	s_andn2_saveexec_b64 s[42:43], s[42:43]
; %bb.24963:                            ;   in Loop: Header=BB6_24817 Depth=3
	v_cmp_lt_i32_e32 vcc, -1, v14
	v_bfrev_b32_e32 v1, 0.5
	v_mov_b32_e32 v6, 0x7c
	v_cndmask_b32_e32 v16, v1, v6, vcc
; %bb.24964:                            ;   in Loop: Header=BB6_24817 Depth=3
	s_or_b64 exec, exec, s[42:43]
.LBB6_24965:                            ;   in Loop: Header=BB6_24817 Depth=3
	s_or_b64 exec, exec, s[40:41]
	v_lshrrev_b16_e32 v6, 8, v0
	v_cmp_ne_u16_e32 vcc, 0, v6
	v_mov_b32_e32 v7, 0
	s_and_saveexec_b64 s[40:41], vcc
	s_cbranch_execz .LBB6_24973
; %bb.24966:                            ;   in Loop: Header=BB6_24817 Depth=3
	v_cmp_ne_u16_e32 vcc, s97, v6
	v_bfrev_b32_e32 v7, 1
	s_and_saveexec_b64 s[42:43], vcc
	s_cbranch_execz .LBB6_24972
; %bb.24967:                            ;   in Loop: Header=BB6_24817 Depth=3
	v_and_b32_e32 v1, 0x7c, v6
	v_and_b32_e32 v14, 3, v6
	v_cmp_ne_u32_e32 vcc, s86, v1
                                        ; implicit-def: $vgpr7
	s_and_saveexec_b64 s[62:63], vcc
	s_xor_b64 s[38:39], exec, s[62:63]
	s_cbranch_execz .LBB6_24969
; %bb.24968:                            ;   in Loop: Header=BB6_24817 Depth=3
	v_ffbh_u32_e32 v15, v14
	v_min_u32_e32 v15, 32, v15
	v_mov_b32_e32 v7, v33
	v_subrev_u32_e32 v25, 29, v15
	v_bfe_u32 v1, v6, 2, 5
	v_lshlrev_b64 v[6:7], v25, v[6:7]
	v_sub_u32_e32 v7, 30, v15
	v_cmp_eq_u32_e32 vcc, 0, v1
	v_lshlrev_b32_e32 v0, 16, v0
	v_and_b32_e32 v6, 3, v6
	v_cndmask_b32_e32 v1, v1, v7, vcc
	v_and_b32_e32 v0, 0x80000000, v0
	v_cndmask_b32_e32 v6, v14, v6, vcc
	v_lshl_add_u32 v0, v1, 23, v0
	v_lshl_or_b32 v0, v6, 21, v0
	v_add_u32_e32 v7, 0x38000000, v0
                                        ; implicit-def: $vgpr14
                                        ; implicit-def: $vgpr0_vgpr1
.LBB6_24969:                            ;   in Loop: Header=BB6_24817 Depth=3
	s_andn2_saveexec_b64 s[38:39], s[38:39]
; %bb.24970:                            ;   in Loop: Header=BB6_24817 Depth=3
	v_cmp_lt_i16_e32 vcc, -1, v0
	v_mov_b32_e32 v0, 0xff800000
	v_mov_b32_e32 v1, 0x7f800000
	v_cndmask_b32_e32 v0, v0, v1, vcc
	v_cmp_eq_u32_e32 vcc, 0, v14
	v_mov_b32_e32 v1, 0x7f800001
	v_cndmask_b32_e32 v7, v1, v0, vcc
; %bb.24971:                            ;   in Loop: Header=BB6_24817 Depth=3
	s_or_b64 exec, exec, s[38:39]
.LBB6_24972:                            ;   in Loop: Header=BB6_24817 Depth=3
	s_or_b64 exec, exec, s[42:43]
.LBB6_24973:                            ;   in Loop: Header=BB6_24817 Depth=3
	s_or_b64 exec, exec, s[40:41]
	v_mul_f32_e32 v6, v26, v7
	v_and_b32_e32 v14, 0x7f800000, v6
	v_mov_b32_e32 v15, v33
	v_cmp_ne_u64_e32 vcc, s[76:77], v[14:15]
	v_and_b32_e32 v0, 0x7fffff, v6
	v_mov_b32_e32 v1, v33
                                        ; implicit-def: $vgpr36
	s_and_saveexec_b64 s[40:41], vcc
	s_xor_b64 s[42:43], exec, s[40:41]
	s_cbranch_execz .LBB6_24987
; %bb.24974:                            ;   in Loop: Header=BB6_24817 Depth=3
	v_and_b32_e32 v14, 0x7fffffff, v6
	v_mov_b32_e32 v15, v33
	v_cmp_gt_u64_e32 vcc, s[78:79], v[14:15]
	v_and_b32_sdwa v14, v6, s97 dst_sel:DWORD dst_unused:UNUSED_PAD src0_sel:BYTE_3 src1_sel:DWORD
                                        ; implicit-def: $vgpr36
	s_and_saveexec_b64 s[40:41], vcc
	s_xor_b64 s[38:39], exec, s[40:41]
	s_cbranch_execz .LBB6_24984
; %bb.24975:                            ;   in Loop: Header=BB6_24817 Depth=3
	v_mov_b32_e32 v36, 0
	v_cmp_ne_u32_e32 vcc, 0, v6
	s_and_saveexec_b64 s[48:49], vcc
	s_cbranch_execz .LBB6_24983
; %bb.24976:                            ;   in Loop: Header=BB6_24817 Depth=3
	v_bfe_u32 v15, v6, 23, 8
	v_cmp_gt_u32_e64 s[40:41], s47, v15
	v_sub_u32_e32 v6, 0x71, v15
	v_cmp_eq_u32_e32 vcc, 0, v15
	v_cndmask_b32_e64 v6, 0, v6, s[40:41]
	v_mov_b32_e32 v25, 0x70
	v_cndmask_b32_e32 v25, v6, v25, vcc
	v_or_b32_e32 v7, 0x800000, v0
	v_add_u32_e32 v6, 21, v25
	v_cndmask_b32_e32 v0, v7, v0, vcc
	v_lshlrev_b64 v[6:7], v6, -1
	v_add_u32_e32 v27, 20, v25
	v_bfi_b32 v6, v6, 0, v0
	v_lshlrev_b64 v[27:28], v27, 1
	v_lshrrev_b64 v[0:1], v25, v[0:1]
	v_bfi_b32 v7, v7, 0, 0
	v_cmp_eq_u64_e64 s[40:41], v[6:7], v[27:28]
	v_mov_b32_e32 v7, v1
	v_mov_b32_e32 v6, v0
	s_and_saveexec_b64 s[50:51], s[40:41]
; %bb.24977:                            ;   in Loop: Header=BB6_24817 Depth=3
	v_bfe_u32 v1, v0, 21, 1
	v_add_co_u32_e64 v1, s[40:41], v0, v1
	v_add_co_u32_e64 v6, s[40:41], -1, v1
; %bb.24978:                            ;   in Loop: Header=BB6_24817 Depth=3
	s_or_b64 exec, exec, s[50:51]
	v_add_u32_e32 v1, 0xffffff81, v15
	v_mov_b32_e32 v7, 0xffffff82
	v_cndmask_b32_e32 v1, v1, v7, vcc
	v_lshrrev_b32_e32 v7, 23, v0
	v_add3_u32 v15, v25, v1, v7
	v_add_u32_e32 v7, 14, v15
	v_and_b32_e32 v1, 0x1fffff, v6
	v_add_u32_e32 v0, v1, v0
	v_mov_b32_e32 v1, v33
	v_cmp_ne_u32_e32 vcc, 0, v7
                                        ; implicit-def: $vgpr6
	s_and_saveexec_b64 s[40:41], vcc
	s_xor_b64 s[40:41], exec, s[40:41]
; %bb.24979:                            ;   in Loop: Header=BB6_24817 Depth=3
	v_cmp_lt_u64_e32 vcc, s[88:89], v[0:1]
	v_add_u32_e32 v6, 15, v15
	v_cndmask_b32_e32 v6, v7, v6, vcc
	v_cndmask_b32_e64 v7, 0, 1, vcc
	v_lshrrev_b64 v[0:1], v7, v[0:1]
; %bb.24980:                            ;   in Loop: Header=BB6_24817 Depth=3
	s_andn2_saveexec_b64 s[40:41], s[40:41]
; %bb.24981:                            ;   in Loop: Header=BB6_24817 Depth=3
	v_bfe_u32 v6, v0, 23, 1
; %bb.24982:                            ;   in Loop: Header=BB6_24817 Depth=3
	s_or_b64 exec, exec, s[40:41]
	v_lshrrev_b64 v[0:1], 21, v[0:1]
	v_cmp_gt_i32_e32 vcc, 32, v6
	v_cndmask_b32_e32 v1, 0, v1, vcc
	v_cndmask_b32_e32 v0, 3, v0, vcc
	v_cmp_eq_u64_e64 s[40:41], 0, v[0:1]
	v_min_i32_e32 v1, 31, v6
	v_lshlrev_b32_e32 v1, 2, v1
	v_cmp_eq_u32_e32 vcc, 0, v6
	v_and_b32_e32 v1, 0xfc, v1
	v_and_or_b32 v0, v0, 3, v1
	s_and_b64 s[40:41], vcc, s[40:41]
	v_cndmask_b32_e64 v0, v0, 0, s[40:41]
	v_or_b32_e32 v36, v0, v14
.LBB6_24983:                            ;   in Loop: Header=BB6_24817 Depth=3
	s_or_b64 exec, exec, s[48:49]
                                        ; implicit-def: $vgpr14
.LBB6_24984:                            ;   in Loop: Header=BB6_24817 Depth=3
	s_andn2_saveexec_b64 s[40:41], s[38:39]
; %bb.24985:                            ;   in Loop: Header=BB6_24817 Depth=3
	v_or_b32_e32 v36, 0x7b, v14
; %bb.24986:                            ;   in Loop: Header=BB6_24817 Depth=3
	s_or_b64 exec, exec, s[40:41]
                                        ; implicit-def: $vgpr6
                                        ; implicit-def: $vgpr0_vgpr1
.LBB6_24987:                            ;   in Loop: Header=BB6_24817 Depth=3
	s_andn2_saveexec_b64 s[40:41], s[42:43]
	s_cbranch_execz .LBB6_24993
; %bb.24988:                            ;   in Loop: Header=BB6_24817 Depth=3
	v_cmp_ne_u64_e32 vcc, 0, v[0:1]
                                        ; implicit-def: $vgpr36
	s_and_saveexec_b64 s[42:43], vcc
	s_xor_b64 s[42:43], exec, s[42:43]
; %bb.24989:                            ;   in Loop: Header=BB6_24817 Depth=3
	v_or_b32_sdwa v36, v6, s44 dst_sel:DWORD dst_unused:UNUSED_PAD src0_sel:BYTE_3 src1_sel:DWORD
                                        ; implicit-def: $vgpr6
; %bb.24990:                            ;   in Loop: Header=BB6_24817 Depth=3
	s_andn2_saveexec_b64 s[42:43], s[42:43]
; %bb.24991:                            ;   in Loop: Header=BB6_24817 Depth=3
	v_cmp_lt_i32_e32 vcc, -1, v6
	v_bfrev_b32_e32 v0, 0.5
	v_mov_b32_e32 v1, 0x7c
	v_cndmask_b32_e32 v36, v0, v1, vcc
; %bb.24992:                            ;   in Loop: Header=BB6_24817 Depth=3
	s_or_b64 exec, exec, s[42:43]
.LBB6_24993:                            ;   in Loop: Header=BB6_24817 Depth=3
	s_or_b64 exec, exec, s[40:41]
	v_lshrrev_b32_e32 v0, 16, v9
	v_cmp_ne_u16_sdwa s[42:43], v0, v33 src0_sel:BYTE_0 src1_sel:DWORD
	v_mov_b32_e32 v1, 0
	s_and_saveexec_b64 s[40:41], s[42:43]
	s_cbranch_execz .LBB6_25001
; %bb.24994:                            ;   in Loop: Header=BB6_24817 Depth=3
	v_cmp_ne_u16_sdwa s[62:63], v0, s97 src0_sel:BYTE_0 src1_sel:DWORD
	v_bfrev_b32_e32 v1, 1
	s_and_saveexec_b64 s[42:43], s[62:63]
	s_cbranch_execz .LBB6_25000
; %bb.24995:                            ;   in Loop: Header=BB6_24817 Depth=3
	v_and_b32_e32 v1, 0x7c0000, v9
	v_bfe_u32 v6, v9, 16, 2
	v_cmp_ne_u32_e32 vcc, s45, v1
                                        ; implicit-def: $vgpr1
	s_and_saveexec_b64 s[62:63], vcc
	s_xor_b64 s[38:39], exec, s[62:63]
	s_cbranch_execz .LBB6_24997
; %bb.24996:                            ;   in Loop: Header=BB6_24817 Depth=3
	v_ffbh_u32_e32 v1, v6
	v_min_u32_e32 v14, 32, v1
	v_subrev_u32_e32 v1, 29, v14
	v_lshlrev_b64 v[0:1], v1, v[0:1]
	v_bfe_u32 v7, v9, 18, 5
	v_and_b32_e32 v0, 3, v0
	v_cmp_eq_u32_e32 vcc, 0, v7
	v_sub_u32_e32 v1, 30, v14
	v_cndmask_b32_e32 v0, v6, v0, vcc
	v_lshlrev_b32_e32 v6, 8, v9
	v_cndmask_b32_e32 v1, v7, v1, vcc
	v_and_b32_e32 v6, 0x80000000, v6
	v_lshl_add_u32 v1, v1, 23, v6
	v_lshl_or_b32 v0, v0, 21, v1
	v_add_u32_e32 v1, 0x38000000, v0
                                        ; implicit-def: $vgpr6
                                        ; implicit-def: $vgpr0
.LBB6_24997:                            ;   in Loop: Header=BB6_24817 Depth=3
	s_andn2_saveexec_b64 s[38:39], s[38:39]
; %bb.24998:                            ;   in Loop: Header=BB6_24817 Depth=3
	v_mov_b32_e32 v1, -1
	v_cmp_gt_i16_sdwa vcc, sext(v0), v1 src0_sel:BYTE_0 src1_sel:DWORD
	v_mov_b32_e32 v0, 0xff800000
	v_mov_b32_e32 v1, 0x7f800000
	v_cndmask_b32_e32 v0, v0, v1, vcc
	v_cmp_eq_u32_e32 vcc, 0, v6
	v_mov_b32_e32 v1, 0x7f800001
	v_cndmask_b32_e32 v1, v1, v0, vcc
; %bb.24999:                            ;   in Loop: Header=BB6_24817 Depth=3
	s_or_b64 exec, exec, s[38:39]
.LBB6_25000:                            ;   in Loop: Header=BB6_24817 Depth=3
	s_or_b64 exec, exec, s[42:43]
.LBB6_25001:                            ;   in Loop: Header=BB6_24817 Depth=3
	s_or_b64 exec, exec, s[40:41]
	v_mul_f32_e32 v6, v26, v1
	v_and_b32_e32 v14, 0x7f800000, v6
	v_mov_b32_e32 v15, v33
	v_cmp_ne_u64_e32 vcc, s[76:77], v[14:15]
	v_and_b32_e32 v0, 0x7fffff, v6
	v_mov_b32_e32 v1, v33
                                        ; implicit-def: $vgpr38
	s_and_saveexec_b64 s[40:41], vcc
	s_xor_b64 s[42:43], exec, s[40:41]
	s_cbranch_execz .LBB6_25015
; %bb.25002:                            ;   in Loop: Header=BB6_24817 Depth=3
	v_and_b32_e32 v14, 0x7fffffff, v6
	v_mov_b32_e32 v15, v33
	v_cmp_gt_u64_e32 vcc, s[78:79], v[14:15]
	v_and_b32_sdwa v14, v6, s97 dst_sel:DWORD dst_unused:UNUSED_PAD src0_sel:BYTE_3 src1_sel:DWORD
                                        ; implicit-def: $vgpr38
	s_and_saveexec_b64 s[40:41], vcc
	s_xor_b64 s[38:39], exec, s[40:41]
	s_cbranch_execz .LBB6_25012
; %bb.25003:                            ;   in Loop: Header=BB6_24817 Depth=3
	v_mov_b32_e32 v38, 0
	v_cmp_ne_u32_e32 vcc, 0, v6
	s_and_saveexec_b64 s[48:49], vcc
	s_cbranch_execz .LBB6_25011
; %bb.25004:                            ;   in Loop: Header=BB6_24817 Depth=3
	v_bfe_u32 v15, v6, 23, 8
	v_cmp_gt_u32_e64 s[40:41], s47, v15
	v_sub_u32_e32 v6, 0x71, v15
	v_cmp_eq_u32_e32 vcc, 0, v15
	v_cndmask_b32_e64 v6, 0, v6, s[40:41]
	v_mov_b32_e32 v25, 0x70
	v_cndmask_b32_e32 v25, v6, v25, vcc
	v_or_b32_e32 v7, 0x800000, v0
	v_add_u32_e32 v6, 21, v25
	v_cndmask_b32_e32 v0, v7, v0, vcc
	v_lshlrev_b64 v[6:7], v6, -1
	v_add_u32_e32 v27, 20, v25
	v_bfi_b32 v6, v6, 0, v0
	v_lshlrev_b64 v[27:28], v27, 1
	v_lshrrev_b64 v[0:1], v25, v[0:1]
	v_bfi_b32 v7, v7, 0, 0
	v_cmp_eq_u64_e64 s[40:41], v[6:7], v[27:28]
	v_mov_b32_e32 v7, v1
	v_mov_b32_e32 v6, v0
	s_and_saveexec_b64 s[50:51], s[40:41]
; %bb.25005:                            ;   in Loop: Header=BB6_24817 Depth=3
	v_bfe_u32 v1, v0, 21, 1
	v_add_co_u32_e64 v1, s[40:41], v0, v1
	v_add_co_u32_e64 v6, s[40:41], -1, v1
; %bb.25006:                            ;   in Loop: Header=BB6_24817 Depth=3
	s_or_b64 exec, exec, s[50:51]
	v_add_u32_e32 v1, 0xffffff81, v15
	v_mov_b32_e32 v7, 0xffffff82
	v_cndmask_b32_e32 v1, v1, v7, vcc
	v_lshrrev_b32_e32 v7, 23, v0
	v_add3_u32 v15, v25, v1, v7
	v_add_u32_e32 v7, 14, v15
	v_and_b32_e32 v1, 0x1fffff, v6
	v_add_u32_e32 v0, v1, v0
	v_mov_b32_e32 v1, v33
	v_cmp_ne_u32_e32 vcc, 0, v7
                                        ; implicit-def: $vgpr6
	s_and_saveexec_b64 s[40:41], vcc
	s_xor_b64 s[40:41], exec, s[40:41]
; %bb.25007:                            ;   in Loop: Header=BB6_24817 Depth=3
	v_cmp_lt_u64_e32 vcc, s[88:89], v[0:1]
	v_add_u32_e32 v6, 15, v15
	v_cndmask_b32_e32 v6, v7, v6, vcc
	v_cndmask_b32_e64 v7, 0, 1, vcc
	v_lshrrev_b64 v[0:1], v7, v[0:1]
; %bb.25008:                            ;   in Loop: Header=BB6_24817 Depth=3
	s_andn2_saveexec_b64 s[40:41], s[40:41]
; %bb.25009:                            ;   in Loop: Header=BB6_24817 Depth=3
	v_bfe_u32 v6, v0, 23, 1
; %bb.25010:                            ;   in Loop: Header=BB6_24817 Depth=3
	s_or_b64 exec, exec, s[40:41]
	v_lshrrev_b64 v[0:1], 21, v[0:1]
	v_cmp_gt_i32_e32 vcc, 32, v6
	v_cndmask_b32_e32 v1, 0, v1, vcc
	v_cndmask_b32_e32 v0, 3, v0, vcc
	v_cmp_eq_u64_e64 s[40:41], 0, v[0:1]
	v_min_i32_e32 v1, 31, v6
	v_lshlrev_b32_e32 v1, 2, v1
	v_cmp_eq_u32_e32 vcc, 0, v6
	v_and_b32_e32 v1, 0xfc, v1
	v_and_or_b32 v0, v0, 3, v1
	s_and_b64 s[40:41], vcc, s[40:41]
	v_cndmask_b32_e64 v0, v0, 0, s[40:41]
	v_or_b32_e32 v38, v0, v14
.LBB6_25011:                            ;   in Loop: Header=BB6_24817 Depth=3
	s_or_b64 exec, exec, s[48:49]
                                        ; implicit-def: $vgpr14
.LBB6_25012:                            ;   in Loop: Header=BB6_24817 Depth=3
	s_andn2_saveexec_b64 s[40:41], s[38:39]
; %bb.25013:                            ;   in Loop: Header=BB6_24817 Depth=3
	v_or_b32_e32 v38, 0x7b, v14
; %bb.25014:                            ;   in Loop: Header=BB6_24817 Depth=3
	s_or_b64 exec, exec, s[40:41]
                                        ; implicit-def: $vgpr6
                                        ; implicit-def: $vgpr0_vgpr1
.LBB6_25015:                            ;   in Loop: Header=BB6_24817 Depth=3
	s_andn2_saveexec_b64 s[40:41], s[42:43]
	s_cbranch_execz .LBB6_25021
; %bb.25016:                            ;   in Loop: Header=BB6_24817 Depth=3
	v_cmp_ne_u64_e32 vcc, 0, v[0:1]
                                        ; implicit-def: $vgpr38
	s_and_saveexec_b64 s[42:43], vcc
	s_xor_b64 s[42:43], exec, s[42:43]
; %bb.25017:                            ;   in Loop: Header=BB6_24817 Depth=3
	v_or_b32_sdwa v38, v6, s44 dst_sel:DWORD dst_unused:UNUSED_PAD src0_sel:BYTE_3 src1_sel:DWORD
                                        ; implicit-def: $vgpr6
; %bb.25018:                            ;   in Loop: Header=BB6_24817 Depth=3
	s_andn2_saveexec_b64 s[42:43], s[42:43]
; %bb.25019:                            ;   in Loop: Header=BB6_24817 Depth=3
	v_cmp_lt_i32_e32 vcc, -1, v6
	v_bfrev_b32_e32 v0, 0.5
	v_mov_b32_e32 v1, 0x7c
	v_cndmask_b32_e32 v38, v0, v1, vcc
; %bb.25020:                            ;   in Loop: Header=BB6_24817 Depth=3
	s_or_b64 exec, exec, s[42:43]
.LBB6_25021:                            ;   in Loop: Header=BB6_24817 Depth=3
	s_or_b64 exec, exec, s[40:41]
	v_cmp_lt_u64_e32 vcc, s[56:57], v[8:9]
	v_mov_b32_e32 v1, 0
	s_and_saveexec_b64 s[40:41], vcc
	s_cbranch_execz .LBB6_25029
; %bb.25022:                            ;   in Loop: Header=BB6_24817 Depth=3
	v_lshrrev_b32_e32 v0, 24, v9
	v_cmp_ne_u32_e32 vcc, s97, v0
	v_bfrev_b32_e32 v1, 1
	s_and_saveexec_b64 s[42:43], vcc
	s_cbranch_execz .LBB6_25028
; %bb.25023:                            ;   in Loop: Header=BB6_24817 Depth=3
	v_and_b32_e32 v1, 0x7c000000, v9
	v_bfe_u32 v6, v9, 24, 2
	v_cmp_ne_u32_e32 vcc, s68, v1
                                        ; implicit-def: $vgpr1
	s_and_saveexec_b64 s[62:63], vcc
	s_xor_b64 s[38:39], exec, s[62:63]
	s_cbranch_execz .LBB6_25025
; %bb.25024:                            ;   in Loop: Header=BB6_24817 Depth=3
	v_ffbh_u32_e32 v1, v6
	v_min_u32_e32 v14, 32, v1
	v_subrev_u32_e32 v1, 29, v14
	v_lshlrev_b64 v[0:1], v1, v[0:1]
	v_bfe_u32 v7, v9, 26, 5
	v_sub_u32_e32 v1, 30, v14
	v_and_b32_e32 v0, 3, v0
	v_cmp_eq_u32_e32 vcc, 0, v7
	v_cndmask_b32_e32 v1, v7, v1, vcc
	v_cndmask_b32_e32 v0, v6, v0, vcc
	v_and_b32_e32 v6, 0x80000000, v9
	v_lshl_add_u32 v1, v1, 23, v6
	v_lshl_or_b32 v0, v0, 21, v1
	v_add_u32_e32 v1, 0x38000000, v0
                                        ; implicit-def: $vgpr6
.LBB6_25025:                            ;   in Loop: Header=BB6_24817 Depth=3
	s_andn2_saveexec_b64 s[38:39], s[38:39]
; %bb.25026:                            ;   in Loop: Header=BB6_24817 Depth=3
	v_cmp_lt_i64_e32 vcc, -1, v[8:9]
	v_mov_b32_e32 v0, 0xff800000
	v_mov_b32_e32 v1, 0x7f800000
	v_cndmask_b32_e32 v0, v0, v1, vcc
	v_cmp_eq_u32_e32 vcc, 0, v6
	v_mov_b32_e32 v1, 0x7f800001
	v_cndmask_b32_e32 v1, v1, v0, vcc
; %bb.25027:                            ;   in Loop: Header=BB6_24817 Depth=3
	s_or_b64 exec, exec, s[38:39]
.LBB6_25028:                            ;   in Loop: Header=BB6_24817 Depth=3
	s_or_b64 exec, exec, s[42:43]
.LBB6_25029:                            ;   in Loop: Header=BB6_24817 Depth=3
	s_or_b64 exec, exec, s[40:41]
	v_mul_f32_e32 v6, v26, v1
	v_and_b32_e32 v7, 0x7f800000, v6
	v_mov_b32_e32 v8, v33
	v_cmp_ne_u64_e32 vcc, s[76:77], v[7:8]
	v_and_b32_e32 v0, 0x7fffff, v6
	v_mov_b32_e32 v1, v33
                                        ; implicit-def: $vgpr39
	s_and_saveexec_b64 s[40:41], vcc
	s_xor_b64 s[42:43], exec, s[40:41]
	s_cbranch_execz .LBB6_25043
; %bb.25030:                            ;   in Loop: Header=BB6_24817 Depth=3
	v_and_b32_e32 v7, 0x7fffffff, v6
	v_mov_b32_e32 v8, v33
	v_cmp_gt_u64_e32 vcc, s[78:79], v[7:8]
	v_and_b32_sdwa v8, v6, s97 dst_sel:DWORD dst_unused:UNUSED_PAD src0_sel:BYTE_3 src1_sel:DWORD
                                        ; implicit-def: $vgpr39
	s_and_saveexec_b64 s[40:41], vcc
	s_xor_b64 s[38:39], exec, s[40:41]
	s_cbranch_execz .LBB6_25040
; %bb.25031:                            ;   in Loop: Header=BB6_24817 Depth=3
	v_mov_b32_e32 v39, 0
	v_cmp_ne_u32_e32 vcc, 0, v6
	s_and_saveexec_b64 s[48:49], vcc
	s_cbranch_execz .LBB6_25039
; %bb.25032:                            ;   in Loop: Header=BB6_24817 Depth=3
	v_bfe_u32 v9, v6, 23, 8
	v_cmp_gt_u32_e64 s[40:41], s47, v9
	v_sub_u32_e32 v6, 0x71, v9
	v_cmp_eq_u32_e32 vcc, 0, v9
	v_cndmask_b32_e64 v6, 0, v6, s[40:41]
	v_mov_b32_e32 v14, 0x70
	v_cndmask_b32_e32 v14, v6, v14, vcc
	v_or_b32_e32 v7, 0x800000, v0
	v_add_u32_e32 v6, 21, v14
	v_cndmask_b32_e32 v0, v7, v0, vcc
	v_lshlrev_b64 v[6:7], v6, -1
	v_add_u32_e32 v15, 20, v14
	v_bfi_b32 v6, v6, 0, v0
	v_lshlrev_b64 v[27:28], v15, 1
	v_lshrrev_b64 v[0:1], v14, v[0:1]
	v_bfi_b32 v7, v7, 0, 0
	v_cmp_eq_u64_e64 s[40:41], v[6:7], v[27:28]
	v_mov_b32_e32 v7, v1
	v_mov_b32_e32 v6, v0
	s_and_saveexec_b64 s[50:51], s[40:41]
; %bb.25033:                            ;   in Loop: Header=BB6_24817 Depth=3
	v_bfe_u32 v1, v0, 21, 1
	v_add_co_u32_e64 v1, s[40:41], v0, v1
	v_add_co_u32_e64 v6, s[40:41], -1, v1
; %bb.25034:                            ;   in Loop: Header=BB6_24817 Depth=3
	s_or_b64 exec, exec, s[50:51]
	v_add_u32_e32 v1, 0xffffff81, v9
	v_mov_b32_e32 v7, 0xffffff82
	v_cndmask_b32_e32 v1, v1, v7, vcc
	v_lshrrev_b32_e32 v7, 23, v0
	v_add3_u32 v9, v14, v1, v7
	v_add_u32_e32 v7, 14, v9
	v_and_b32_e32 v1, 0x1fffff, v6
	v_add_u32_e32 v0, v1, v0
	v_mov_b32_e32 v1, v33
	v_cmp_ne_u32_e32 vcc, 0, v7
                                        ; implicit-def: $vgpr6
	s_and_saveexec_b64 s[40:41], vcc
	s_xor_b64 s[40:41], exec, s[40:41]
; %bb.25035:                            ;   in Loop: Header=BB6_24817 Depth=3
	v_cmp_lt_u64_e32 vcc, s[88:89], v[0:1]
	v_add_u32_e32 v6, 15, v9
	v_cndmask_b32_e32 v6, v7, v6, vcc
	v_cndmask_b32_e64 v7, 0, 1, vcc
	v_lshrrev_b64 v[0:1], v7, v[0:1]
; %bb.25036:                            ;   in Loop: Header=BB6_24817 Depth=3
	s_andn2_saveexec_b64 s[40:41], s[40:41]
; %bb.25037:                            ;   in Loop: Header=BB6_24817 Depth=3
	v_bfe_u32 v6, v0, 23, 1
; %bb.25038:                            ;   in Loop: Header=BB6_24817 Depth=3
	s_or_b64 exec, exec, s[40:41]
	v_lshrrev_b64 v[0:1], 21, v[0:1]
	v_cmp_gt_i32_e32 vcc, 32, v6
	v_cndmask_b32_e32 v1, 0, v1, vcc
	v_cndmask_b32_e32 v0, 3, v0, vcc
	v_cmp_eq_u64_e64 s[40:41], 0, v[0:1]
	v_min_i32_e32 v1, 31, v6
	v_lshlrev_b32_e32 v1, 2, v1
	v_cmp_eq_u32_e32 vcc, 0, v6
	v_and_b32_e32 v1, 0xfc, v1
	v_and_or_b32 v0, v0, 3, v1
	s_and_b64 s[40:41], vcc, s[40:41]
	v_cndmask_b32_e64 v0, v0, 0, s[40:41]
	v_or_b32_e32 v39, v0, v8
.LBB6_25039:                            ;   in Loop: Header=BB6_24817 Depth=3
	s_or_b64 exec, exec, s[48:49]
                                        ; implicit-def: $vgpr8
.LBB6_25040:                            ;   in Loop: Header=BB6_24817 Depth=3
	s_andn2_saveexec_b64 s[40:41], s[38:39]
; %bb.25041:                            ;   in Loop: Header=BB6_24817 Depth=3
	v_or_b32_e32 v39, 0x7b, v8
; %bb.25042:                            ;   in Loop: Header=BB6_24817 Depth=3
	s_or_b64 exec, exec, s[40:41]
                                        ; implicit-def: $vgpr6
                                        ; implicit-def: $vgpr0_vgpr1
.LBB6_25043:                            ;   in Loop: Header=BB6_24817 Depth=3
	s_andn2_saveexec_b64 s[40:41], s[42:43]
	s_cbranch_execz .LBB6_25049
; %bb.25044:                            ;   in Loop: Header=BB6_24817 Depth=3
	v_cmp_ne_u64_e32 vcc, 0, v[0:1]
                                        ; implicit-def: $vgpr39
	s_and_saveexec_b64 s[42:43], vcc
	s_xor_b64 s[42:43], exec, s[42:43]
; %bb.25045:                            ;   in Loop: Header=BB6_24817 Depth=3
	v_or_b32_sdwa v39, v6, s44 dst_sel:DWORD dst_unused:UNUSED_PAD src0_sel:BYTE_3 src1_sel:DWORD
                                        ; implicit-def: $vgpr6
; %bb.25046:                            ;   in Loop: Header=BB6_24817 Depth=3
	s_andn2_saveexec_b64 s[42:43], s[42:43]
; %bb.25047:                            ;   in Loop: Header=BB6_24817 Depth=3
	v_cmp_lt_i32_e32 vcc, -1, v6
	v_bfrev_b32_e32 v0, 0.5
	v_mov_b32_e32 v1, 0x7c
	v_cndmask_b32_e32 v39, v0, v1, vcc
; %bb.25048:                            ;   in Loop: Header=BB6_24817 Depth=3
	s_or_b64 exec, exec, s[42:43]
.LBB6_25049:                            ;   in Loop: Header=BB6_24817 Depth=3
	s_or_b64 exec, exec, s[40:41]
	v_cmp_ne_u16_sdwa s[42:43], v10, v33 src0_sel:BYTE_0 src1_sel:DWORD
	v_mov_b32_e32 v0, 0
	s_and_saveexec_b64 s[40:41], s[42:43]
	s_cbranch_execz .LBB6_25057
; %bb.25050:                            ;   in Loop: Header=BB6_24817 Depth=3
	v_cmp_ne_u16_sdwa s[62:63], sext(v10), s46 src0_sel:BYTE_0 src1_sel:DWORD
	v_bfrev_b32_e32 v0, 1
	s_and_saveexec_b64 s[42:43], s[62:63]
	s_cbranch_execz .LBB6_25056
; %bb.25051:                            ;   in Loop: Header=BB6_24817 Depth=3
	v_and_b32_e32 v0, 0x7c, v10
	v_and_b32_e32 v1, 3, v10
	v_cmp_ne_u32_e32 vcc, s86, v0
                                        ; implicit-def: $vgpr0
	s_and_saveexec_b64 s[62:63], vcc
	s_xor_b64 s[38:39], exec, s[62:63]
	s_cbranch_execz .LBB6_25053
; %bb.25052:                            ;   in Loop: Header=BB6_24817 Depth=3
	v_ffbh_u32_e32 v6, v1
	v_min_u32_e32 v8, 32, v6
	v_subrev_u32_e32 v6, 29, v8
	v_lshlrev_b64 v[6:7], v6, v[10:11]
	v_bfe_u32 v0, v10, 2, 5
	v_and_b32_e32 v6, 3, v6
	v_cmp_eq_u32_e32 vcc, 0, v0
	v_sub_u32_e32 v7, 30, v8
	v_cndmask_b32_e32 v1, v1, v6, vcc
	v_lshlrev_b32_e32 v6, 24, v10
	v_cndmask_b32_e32 v0, v0, v7, vcc
	v_and_b32_e32 v6, 0x80000000, v6
	v_lshl_add_u32 v0, v0, 23, v6
	v_lshl_or_b32 v0, v1, 21, v0
	v_add_u32_e32 v0, 0x38000000, v0
                                        ; implicit-def: $vgpr1
.LBB6_25053:                            ;   in Loop: Header=BB6_24817 Depth=3
	s_andn2_saveexec_b64 s[38:39], s[38:39]
; %bb.25054:                            ;   in Loop: Header=BB6_24817 Depth=3
	v_mov_b32_e32 v0, -1
	v_cmp_gt_i16_sdwa vcc, sext(v10), v0 src0_sel:BYTE_0 src1_sel:DWORD
	v_mov_b32_e32 v0, 0xff800000
	v_mov_b32_e32 v6, 0x7f800000
	v_cndmask_b32_e32 v0, v0, v6, vcc
	v_cmp_eq_u32_e32 vcc, 0, v1
	v_mov_b32_e32 v1, 0x7f800001
	v_cndmask_b32_e32 v0, v1, v0, vcc
; %bb.25055:                            ;   in Loop: Header=BB6_24817 Depth=3
	s_or_b64 exec, exec, s[38:39]
.LBB6_25056:                            ;   in Loop: Header=BB6_24817 Depth=3
	s_or_b64 exec, exec, s[42:43]
.LBB6_25057:                            ;   in Loop: Header=BB6_24817 Depth=3
	s_or_b64 exec, exec, s[40:41]
	v_mul_f32_e32 v6, v26, v0
	v_and_b32_e32 v7, 0x7f800000, v6
	v_mov_b32_e32 v8, v33
	v_cmp_ne_u64_e32 vcc, s[76:77], v[7:8]
	v_and_b32_e32 v0, 0x7fffff, v6
	v_mov_b32_e32 v1, v33
                                        ; implicit-def: $vgpr27
	s_and_saveexec_b64 s[40:41], vcc
	s_xor_b64 s[42:43], exec, s[40:41]
	s_cbranch_execz .LBB6_25071
; %bb.25058:                            ;   in Loop: Header=BB6_24817 Depth=3
	v_and_b32_e32 v7, 0x7fffffff, v6
	v_mov_b32_e32 v8, v33
	v_cmp_gt_u64_e32 vcc, s[78:79], v[7:8]
	v_and_b32_sdwa v8, v6, s97 dst_sel:DWORD dst_unused:UNUSED_PAD src0_sel:BYTE_3 src1_sel:DWORD
                                        ; implicit-def: $vgpr27
	s_and_saveexec_b64 s[40:41], vcc
	s_xor_b64 s[38:39], exec, s[40:41]
	s_cbranch_execz .LBB6_25068
; %bb.25059:                            ;   in Loop: Header=BB6_24817 Depth=3
	v_mov_b32_e32 v27, 0
	v_cmp_ne_u32_e32 vcc, 0, v6
	s_and_saveexec_b64 s[48:49], vcc
	s_cbranch_execz .LBB6_25067
; %bb.25060:                            ;   in Loop: Header=BB6_24817 Depth=3
	v_bfe_u32 v9, v6, 23, 8
	v_cmp_gt_u32_e64 s[40:41], s47, v9
	v_sub_u32_e32 v6, 0x71, v9
	v_cmp_eq_u32_e32 vcc, 0, v9
	v_cndmask_b32_e64 v6, 0, v6, s[40:41]
	v_mov_b32_e32 v14, 0x70
	v_cndmask_b32_e32 v14, v6, v14, vcc
	v_or_b32_e32 v7, 0x800000, v0
	v_add_u32_e32 v6, 21, v14
	v_cndmask_b32_e32 v0, v7, v0, vcc
	v_lshlrev_b64 v[6:7], v6, -1
	v_add_u32_e32 v15, 20, v14
	v_bfi_b32 v6, v6, 0, v0
	v_lshlrev_b64 v[27:28], v15, 1
	v_lshrrev_b64 v[0:1], v14, v[0:1]
	v_bfi_b32 v7, v7, 0, 0
	v_cmp_eq_u64_e64 s[40:41], v[6:7], v[27:28]
	v_mov_b32_e32 v7, v1
	v_mov_b32_e32 v6, v0
	s_and_saveexec_b64 s[50:51], s[40:41]
; %bb.25061:                            ;   in Loop: Header=BB6_24817 Depth=3
	v_bfe_u32 v1, v0, 21, 1
	v_add_co_u32_e64 v1, s[40:41], v0, v1
	v_add_co_u32_e64 v6, s[40:41], -1, v1
; %bb.25062:                            ;   in Loop: Header=BB6_24817 Depth=3
	s_or_b64 exec, exec, s[50:51]
	v_add_u32_e32 v1, 0xffffff81, v9
	v_mov_b32_e32 v7, 0xffffff82
	v_cndmask_b32_e32 v1, v1, v7, vcc
	v_lshrrev_b32_e32 v7, 23, v0
	v_add3_u32 v9, v14, v1, v7
	v_add_u32_e32 v7, 14, v9
	v_and_b32_e32 v1, 0x1fffff, v6
	v_add_u32_e32 v0, v1, v0
	v_mov_b32_e32 v1, v33
	v_cmp_ne_u32_e32 vcc, 0, v7
                                        ; implicit-def: $vgpr6
	s_and_saveexec_b64 s[40:41], vcc
	s_xor_b64 s[40:41], exec, s[40:41]
; %bb.25063:                            ;   in Loop: Header=BB6_24817 Depth=3
	v_cmp_lt_u64_e32 vcc, s[88:89], v[0:1]
	v_add_u32_e32 v6, 15, v9
	v_cndmask_b32_e32 v6, v7, v6, vcc
	v_cndmask_b32_e64 v7, 0, 1, vcc
	v_lshrrev_b64 v[0:1], v7, v[0:1]
; %bb.25064:                            ;   in Loop: Header=BB6_24817 Depth=3
	s_andn2_saveexec_b64 s[40:41], s[40:41]
; %bb.25065:                            ;   in Loop: Header=BB6_24817 Depth=3
	v_bfe_u32 v6, v0, 23, 1
; %bb.25066:                            ;   in Loop: Header=BB6_24817 Depth=3
	s_or_b64 exec, exec, s[40:41]
	v_lshrrev_b64 v[0:1], 21, v[0:1]
	v_cmp_gt_i32_e32 vcc, 32, v6
	v_cndmask_b32_e32 v1, 0, v1, vcc
	v_cndmask_b32_e32 v0, 3, v0, vcc
	v_cmp_eq_u64_e64 s[40:41], 0, v[0:1]
	v_min_i32_e32 v1, 31, v6
	v_lshlrev_b32_e32 v1, 2, v1
	v_cmp_eq_u32_e32 vcc, 0, v6
	v_and_b32_e32 v1, 0xfc, v1
	v_and_or_b32 v0, v0, 3, v1
	s_and_b64 s[40:41], vcc, s[40:41]
	v_cndmask_b32_e64 v0, v0, 0, s[40:41]
	v_or_b32_e32 v27, v0, v8
.LBB6_25067:                            ;   in Loop: Header=BB6_24817 Depth=3
	s_or_b64 exec, exec, s[48:49]
                                        ; implicit-def: $vgpr8
.LBB6_25068:                            ;   in Loop: Header=BB6_24817 Depth=3
	s_andn2_saveexec_b64 s[40:41], s[38:39]
; %bb.25069:                            ;   in Loop: Header=BB6_24817 Depth=3
	v_or_b32_e32 v27, 0x7b, v8
; %bb.25070:                            ;   in Loop: Header=BB6_24817 Depth=3
	s_or_b64 exec, exec, s[40:41]
                                        ; implicit-def: $vgpr6
                                        ; implicit-def: $vgpr0_vgpr1
.LBB6_25071:                            ;   in Loop: Header=BB6_24817 Depth=3
	s_andn2_saveexec_b64 s[40:41], s[42:43]
	s_cbranch_execz .LBB6_25077
; %bb.25072:                            ;   in Loop: Header=BB6_24817 Depth=3
	v_cmp_ne_u64_e32 vcc, 0, v[0:1]
                                        ; implicit-def: $vgpr27
	s_and_saveexec_b64 s[42:43], vcc
	s_xor_b64 s[42:43], exec, s[42:43]
; %bb.25073:                            ;   in Loop: Header=BB6_24817 Depth=3
	v_or_b32_sdwa v27, v6, s44 dst_sel:DWORD dst_unused:UNUSED_PAD src0_sel:BYTE_3 src1_sel:DWORD
                                        ; implicit-def: $vgpr6
; %bb.25074:                            ;   in Loop: Header=BB6_24817 Depth=3
	s_andn2_saveexec_b64 s[42:43], s[42:43]
; %bb.25075:                            ;   in Loop: Header=BB6_24817 Depth=3
	v_cmp_lt_i32_e32 vcc, -1, v6
	v_bfrev_b32_e32 v0, 0.5
	v_mov_b32_e32 v1, 0x7c
	v_cndmask_b32_e32 v27, v0, v1, vcc
; %bb.25076:                            ;   in Loop: Header=BB6_24817 Depth=3
	s_or_b64 exec, exec, s[42:43]
.LBB6_25077:                            ;   in Loop: Header=BB6_24817 Depth=3
	s_or_b64 exec, exec, s[40:41]
	v_lshrrev_b16_e32 v0, 8, v10
	v_cmp_ne_u16_e32 vcc, 0, v0
	v_mov_b32_e32 v1, 0
	s_and_saveexec_b64 s[40:41], vcc
	s_cbranch_execz .LBB6_25085
; %bb.25078:                            ;   in Loop: Header=BB6_24817 Depth=3
	v_cmp_ne_u16_e32 vcc, s97, v0
	v_bfrev_b32_e32 v1, 1
	s_and_saveexec_b64 s[42:43], vcc
	s_cbranch_execz .LBB6_25084
; %bb.25079:                            ;   in Loop: Header=BB6_24817 Depth=3
	v_and_b32_e32 v1, 0x7c, v0
	v_and_b32_e32 v6, 3, v0
	v_cmp_ne_u32_e32 vcc, s86, v1
                                        ; implicit-def: $vgpr1
	s_and_saveexec_b64 s[62:63], vcc
	s_xor_b64 s[38:39], exec, s[62:63]
	s_cbranch_execz .LBB6_25081
; %bb.25080:                            ;   in Loop: Header=BB6_24817 Depth=3
	v_ffbh_u32_e32 v8, v6
	v_min_u32_e32 v8, 32, v8
	v_mov_b32_e32 v1, v33
	v_subrev_u32_e32 v9, 29, v8
	v_bfe_u32 v7, v0, 2, 5
	v_lshlrev_b64 v[0:1], v9, v[0:1]
	v_cmp_eq_u32_e32 vcc, 0, v7
	v_and_b32_e32 v0, 3, v0
	v_sub_u32_e32 v1, 30, v8
	v_cndmask_b32_e32 v0, v6, v0, vcc
	v_lshlrev_b32_e32 v6, 16, v10
	v_cndmask_b32_e32 v1, v7, v1, vcc
	v_and_b32_e32 v6, 0x80000000, v6
	v_lshl_add_u32 v1, v1, 23, v6
	v_lshl_or_b32 v0, v0, 21, v1
	v_add_u32_e32 v1, 0x38000000, v0
                                        ; implicit-def: $vgpr6
.LBB6_25081:                            ;   in Loop: Header=BB6_24817 Depth=3
	s_andn2_saveexec_b64 s[38:39], s[38:39]
; %bb.25082:                            ;   in Loop: Header=BB6_24817 Depth=3
	v_cmp_lt_i16_e32 vcc, -1, v10
	v_mov_b32_e32 v0, 0xff800000
	v_mov_b32_e32 v1, 0x7f800000
	v_cndmask_b32_e32 v0, v0, v1, vcc
	v_cmp_eq_u32_e32 vcc, 0, v6
	v_mov_b32_e32 v1, 0x7f800001
	v_cndmask_b32_e32 v1, v1, v0, vcc
; %bb.25083:                            ;   in Loop: Header=BB6_24817 Depth=3
	s_or_b64 exec, exec, s[38:39]
.LBB6_25084:                            ;   in Loop: Header=BB6_24817 Depth=3
	s_or_b64 exec, exec, s[42:43]
.LBB6_25085:                            ;   in Loop: Header=BB6_24817 Depth=3
	s_or_b64 exec, exec, s[40:41]
	v_mul_f32_e32 v6, v26, v1
	v_and_b32_e32 v7, 0x7f800000, v6
	v_mov_b32_e32 v8, v33
	v_cmp_ne_u64_e32 vcc, s[76:77], v[7:8]
	v_and_b32_e32 v0, 0x7fffff, v6
	v_mov_b32_e32 v1, v33
                                        ; implicit-def: $vgpr31
	s_and_saveexec_b64 s[40:41], vcc
	s_xor_b64 s[42:43], exec, s[40:41]
	s_cbranch_execz .LBB6_25099
; %bb.25086:                            ;   in Loop: Header=BB6_24817 Depth=3
	v_and_b32_e32 v7, 0x7fffffff, v6
	v_mov_b32_e32 v8, v33
	v_cmp_gt_u64_e32 vcc, s[78:79], v[7:8]
	v_and_b32_sdwa v8, v6, s97 dst_sel:DWORD dst_unused:UNUSED_PAD src0_sel:BYTE_3 src1_sel:DWORD
                                        ; implicit-def: $vgpr31
	s_and_saveexec_b64 s[40:41], vcc
	s_xor_b64 s[38:39], exec, s[40:41]
	s_cbranch_execz .LBB6_25096
; %bb.25087:                            ;   in Loop: Header=BB6_24817 Depth=3
	v_mov_b32_e32 v31, 0
	v_cmp_ne_u32_e32 vcc, 0, v6
	s_and_saveexec_b64 s[48:49], vcc
	s_cbranch_execz .LBB6_25095
; %bb.25088:                            ;   in Loop: Header=BB6_24817 Depth=3
	v_bfe_u32 v9, v6, 23, 8
	v_cmp_gt_u32_e64 s[40:41], s47, v9
	v_sub_u32_e32 v6, 0x71, v9
	v_cmp_eq_u32_e32 vcc, 0, v9
	v_cndmask_b32_e64 v6, 0, v6, s[40:41]
	v_mov_b32_e32 v14, 0x70
	v_cndmask_b32_e32 v14, v6, v14, vcc
	v_or_b32_e32 v7, 0x800000, v0
	v_add_u32_e32 v6, 21, v14
	v_cndmask_b32_e32 v0, v7, v0, vcc
	v_lshlrev_b64 v[6:7], v6, -1
	v_add_u32_e32 v15, 20, v14
	v_bfi_b32 v6, v6, 0, v0
	v_lshlrev_b64 v[30:31], v15, 1
	v_lshrrev_b64 v[0:1], v14, v[0:1]
	v_bfi_b32 v7, v7, 0, 0
	v_cmp_eq_u64_e64 s[40:41], v[6:7], v[30:31]
	v_mov_b32_e32 v7, v1
	v_mov_b32_e32 v6, v0
	s_and_saveexec_b64 s[50:51], s[40:41]
; %bb.25089:                            ;   in Loop: Header=BB6_24817 Depth=3
	v_bfe_u32 v1, v0, 21, 1
	v_add_co_u32_e64 v1, s[40:41], v0, v1
	v_add_co_u32_e64 v6, s[40:41], -1, v1
; %bb.25090:                            ;   in Loop: Header=BB6_24817 Depth=3
	s_or_b64 exec, exec, s[50:51]
	v_add_u32_e32 v1, 0xffffff81, v9
	v_mov_b32_e32 v7, 0xffffff82
	v_cndmask_b32_e32 v1, v1, v7, vcc
	v_lshrrev_b32_e32 v7, 23, v0
	v_add3_u32 v9, v14, v1, v7
	v_add_u32_e32 v7, 14, v9
	v_and_b32_e32 v1, 0x1fffff, v6
	v_add_u32_e32 v0, v1, v0
	v_mov_b32_e32 v1, v33
	v_cmp_ne_u32_e32 vcc, 0, v7
                                        ; implicit-def: $vgpr6
	s_and_saveexec_b64 s[40:41], vcc
	s_xor_b64 s[40:41], exec, s[40:41]
; %bb.25091:                            ;   in Loop: Header=BB6_24817 Depth=3
	v_cmp_lt_u64_e32 vcc, s[88:89], v[0:1]
	v_add_u32_e32 v6, 15, v9
	v_cndmask_b32_e32 v6, v7, v6, vcc
	v_cndmask_b32_e64 v7, 0, 1, vcc
	v_lshrrev_b64 v[0:1], v7, v[0:1]
; %bb.25092:                            ;   in Loop: Header=BB6_24817 Depth=3
	s_andn2_saveexec_b64 s[40:41], s[40:41]
; %bb.25093:                            ;   in Loop: Header=BB6_24817 Depth=3
	v_bfe_u32 v6, v0, 23, 1
; %bb.25094:                            ;   in Loop: Header=BB6_24817 Depth=3
	s_or_b64 exec, exec, s[40:41]
	v_lshrrev_b64 v[0:1], 21, v[0:1]
	v_cmp_gt_i32_e32 vcc, 32, v6
	v_cndmask_b32_e32 v1, 0, v1, vcc
	v_cndmask_b32_e32 v0, 3, v0, vcc
	v_cmp_eq_u64_e64 s[40:41], 0, v[0:1]
	v_min_i32_e32 v1, 31, v6
	v_lshlrev_b32_e32 v1, 2, v1
	v_cmp_eq_u32_e32 vcc, 0, v6
	v_and_b32_e32 v1, 0xfc, v1
	v_and_or_b32 v0, v0, 3, v1
	s_and_b64 s[40:41], vcc, s[40:41]
	v_cndmask_b32_e64 v0, v0, 0, s[40:41]
	v_or_b32_e32 v31, v0, v8
.LBB6_25095:                            ;   in Loop: Header=BB6_24817 Depth=3
	s_or_b64 exec, exec, s[48:49]
                                        ; implicit-def: $vgpr8
.LBB6_25096:                            ;   in Loop: Header=BB6_24817 Depth=3
	s_andn2_saveexec_b64 s[40:41], s[38:39]
; %bb.25097:                            ;   in Loop: Header=BB6_24817 Depth=3
	v_or_b32_e32 v31, 0x7b, v8
; %bb.25098:                            ;   in Loop: Header=BB6_24817 Depth=3
	s_or_b64 exec, exec, s[40:41]
                                        ; implicit-def: $vgpr6
                                        ; implicit-def: $vgpr0_vgpr1
.LBB6_25099:                            ;   in Loop: Header=BB6_24817 Depth=3
	s_andn2_saveexec_b64 s[40:41], s[42:43]
	s_cbranch_execz .LBB6_25105
; %bb.25100:                            ;   in Loop: Header=BB6_24817 Depth=3
	v_cmp_ne_u64_e32 vcc, 0, v[0:1]
                                        ; implicit-def: $vgpr31
	s_and_saveexec_b64 s[42:43], vcc
	s_xor_b64 s[42:43], exec, s[42:43]
; %bb.25101:                            ;   in Loop: Header=BB6_24817 Depth=3
	v_or_b32_sdwa v31, v6, s44 dst_sel:DWORD dst_unused:UNUSED_PAD src0_sel:BYTE_3 src1_sel:DWORD
                                        ; implicit-def: $vgpr6
; %bb.25102:                            ;   in Loop: Header=BB6_24817 Depth=3
	s_andn2_saveexec_b64 s[42:43], s[42:43]
; %bb.25103:                            ;   in Loop: Header=BB6_24817 Depth=3
	v_cmp_lt_i32_e32 vcc, -1, v6
	v_bfrev_b32_e32 v0, 0.5
	v_mov_b32_e32 v1, 0x7c
	v_cndmask_b32_e32 v31, v0, v1, vcc
; %bb.25104:                            ;   in Loop: Header=BB6_24817 Depth=3
	s_or_b64 exec, exec, s[42:43]
.LBB6_25105:                            ;   in Loop: Header=BB6_24817 Depth=3
	s_or_b64 exec, exec, s[40:41]
	v_lshrrev_b32_e32 v0, 16, v10
	v_cmp_ne_u16_sdwa s[42:43], v0, v33 src0_sel:BYTE_0 src1_sel:DWORD
	v_mov_b32_e32 v1, 0
	s_and_saveexec_b64 s[40:41], s[42:43]
	s_cbranch_execz .LBB6_25113
; %bb.25106:                            ;   in Loop: Header=BB6_24817 Depth=3
	v_cmp_ne_u16_sdwa s[62:63], v0, s97 src0_sel:BYTE_0 src1_sel:DWORD
	v_bfrev_b32_e32 v1, 1
	s_and_saveexec_b64 s[42:43], s[62:63]
	s_cbranch_execz .LBB6_25112
; %bb.25107:                            ;   in Loop: Header=BB6_24817 Depth=3
	v_and_b32_e32 v1, 0x7c0000, v10
	v_bfe_u32 v6, v10, 16, 2
	v_cmp_ne_u32_e32 vcc, s45, v1
                                        ; implicit-def: $vgpr1
	s_and_saveexec_b64 s[62:63], vcc
	s_xor_b64 s[38:39], exec, s[62:63]
	s_cbranch_execz .LBB6_25109
; %bb.25108:                            ;   in Loop: Header=BB6_24817 Depth=3
	v_ffbh_u32_e32 v1, v6
	v_min_u32_e32 v8, 32, v1
	v_subrev_u32_e32 v1, 29, v8
	v_lshlrev_b64 v[0:1], v1, v[0:1]
	v_bfe_u32 v7, v10, 18, 5
	v_and_b32_e32 v0, 3, v0
	v_cmp_eq_u32_e32 vcc, 0, v7
	v_sub_u32_e32 v1, 30, v8
	v_cndmask_b32_e32 v0, v6, v0, vcc
	v_lshlrev_b32_e32 v6, 8, v10
	v_cndmask_b32_e32 v1, v7, v1, vcc
	v_and_b32_e32 v6, 0x80000000, v6
	v_lshl_add_u32 v1, v1, 23, v6
	v_lshl_or_b32 v0, v0, 21, v1
	v_add_u32_e32 v1, 0x38000000, v0
                                        ; implicit-def: $vgpr6
                                        ; implicit-def: $vgpr0
.LBB6_25109:                            ;   in Loop: Header=BB6_24817 Depth=3
	s_andn2_saveexec_b64 s[38:39], s[38:39]
; %bb.25110:                            ;   in Loop: Header=BB6_24817 Depth=3
	v_mov_b32_e32 v1, -1
	v_cmp_gt_i16_sdwa vcc, sext(v0), v1 src0_sel:BYTE_0 src1_sel:DWORD
	v_mov_b32_e32 v0, 0xff800000
	v_mov_b32_e32 v1, 0x7f800000
	v_cndmask_b32_e32 v0, v0, v1, vcc
	v_cmp_eq_u32_e32 vcc, 0, v6
	v_mov_b32_e32 v1, 0x7f800001
	v_cndmask_b32_e32 v1, v1, v0, vcc
; %bb.25111:                            ;   in Loop: Header=BB6_24817 Depth=3
	s_or_b64 exec, exec, s[38:39]
.LBB6_25112:                            ;   in Loop: Header=BB6_24817 Depth=3
	s_or_b64 exec, exec, s[42:43]
.LBB6_25113:                            ;   in Loop: Header=BB6_24817 Depth=3
	s_or_b64 exec, exec, s[40:41]
	v_mul_f32_e32 v6, v26, v1
	v_and_b32_e32 v7, 0x7f800000, v6
	v_mov_b32_e32 v8, v33
	v_cmp_ne_u64_e32 vcc, s[76:77], v[7:8]
	v_and_b32_e32 v0, 0x7fffff, v6
	v_mov_b32_e32 v1, v33
                                        ; implicit-def: $vgpr35
	s_and_saveexec_b64 s[40:41], vcc
	s_xor_b64 s[42:43], exec, s[40:41]
	s_cbranch_execz .LBB6_25127
; %bb.25114:                            ;   in Loop: Header=BB6_24817 Depth=3
	v_and_b32_e32 v7, 0x7fffffff, v6
	v_mov_b32_e32 v8, v33
	v_cmp_gt_u64_e32 vcc, s[78:79], v[7:8]
	v_and_b32_sdwa v8, v6, s97 dst_sel:DWORD dst_unused:UNUSED_PAD src0_sel:BYTE_3 src1_sel:DWORD
                                        ; implicit-def: $vgpr35
	s_and_saveexec_b64 s[40:41], vcc
	s_xor_b64 s[38:39], exec, s[40:41]
	s_cbranch_execz .LBB6_25124
; %bb.25115:                            ;   in Loop: Header=BB6_24817 Depth=3
	v_mov_b32_e32 v35, 0
	v_cmp_ne_u32_e32 vcc, 0, v6
	s_and_saveexec_b64 s[48:49], vcc
	s_cbranch_execz .LBB6_25123
; %bb.25116:                            ;   in Loop: Header=BB6_24817 Depth=3
	v_bfe_u32 v9, v6, 23, 8
	v_cmp_gt_u32_e64 s[40:41], s47, v9
	v_sub_u32_e32 v6, 0x71, v9
	v_cmp_eq_u32_e32 vcc, 0, v9
	v_cndmask_b32_e64 v6, 0, v6, s[40:41]
	v_mov_b32_e32 v14, 0x70
	v_cndmask_b32_e32 v14, v6, v14, vcc
	v_or_b32_e32 v7, 0x800000, v0
	v_add_u32_e32 v6, 21, v14
	v_cndmask_b32_e32 v0, v7, v0, vcc
	v_lshlrev_b64 v[6:7], v6, -1
	v_add_u32_e32 v15, 20, v14
	v_bfi_b32 v6, v6, 0, v0
	v_lshlrev_b64 v[34:35], v15, 1
	v_lshrrev_b64 v[0:1], v14, v[0:1]
	v_bfi_b32 v7, v7, 0, 0
	v_cmp_eq_u64_e64 s[40:41], v[6:7], v[34:35]
	v_mov_b32_e32 v7, v1
	v_mov_b32_e32 v6, v0
	s_and_saveexec_b64 s[50:51], s[40:41]
; %bb.25117:                            ;   in Loop: Header=BB6_24817 Depth=3
	v_bfe_u32 v1, v0, 21, 1
	v_add_co_u32_e64 v1, s[40:41], v0, v1
	v_add_co_u32_e64 v6, s[40:41], -1, v1
; %bb.25118:                            ;   in Loop: Header=BB6_24817 Depth=3
	s_or_b64 exec, exec, s[50:51]
	v_add_u32_e32 v1, 0xffffff81, v9
	v_mov_b32_e32 v7, 0xffffff82
	v_cndmask_b32_e32 v1, v1, v7, vcc
	v_lshrrev_b32_e32 v7, 23, v0
	v_add3_u32 v9, v14, v1, v7
	v_add_u32_e32 v7, 14, v9
	v_and_b32_e32 v1, 0x1fffff, v6
	v_add_u32_e32 v0, v1, v0
	v_mov_b32_e32 v1, v33
	v_cmp_ne_u32_e32 vcc, 0, v7
                                        ; implicit-def: $vgpr6
	s_and_saveexec_b64 s[40:41], vcc
	s_xor_b64 s[40:41], exec, s[40:41]
; %bb.25119:                            ;   in Loop: Header=BB6_24817 Depth=3
	v_cmp_lt_u64_e32 vcc, s[88:89], v[0:1]
	v_add_u32_e32 v6, 15, v9
	v_cndmask_b32_e32 v6, v7, v6, vcc
	v_cndmask_b32_e64 v7, 0, 1, vcc
	v_lshrrev_b64 v[0:1], v7, v[0:1]
; %bb.25120:                            ;   in Loop: Header=BB6_24817 Depth=3
	s_andn2_saveexec_b64 s[40:41], s[40:41]
; %bb.25121:                            ;   in Loop: Header=BB6_24817 Depth=3
	v_bfe_u32 v6, v0, 23, 1
; %bb.25122:                            ;   in Loop: Header=BB6_24817 Depth=3
	s_or_b64 exec, exec, s[40:41]
	v_lshrrev_b64 v[0:1], 21, v[0:1]
	v_cmp_gt_i32_e32 vcc, 32, v6
	v_cndmask_b32_e32 v1, 0, v1, vcc
	v_cndmask_b32_e32 v0, 3, v0, vcc
	v_cmp_eq_u64_e64 s[40:41], 0, v[0:1]
	v_min_i32_e32 v1, 31, v6
	v_lshlrev_b32_e32 v1, 2, v1
	v_cmp_eq_u32_e32 vcc, 0, v6
	v_and_b32_e32 v1, 0xfc, v1
	v_and_or_b32 v0, v0, 3, v1
	s_and_b64 s[40:41], vcc, s[40:41]
	v_cndmask_b32_e64 v0, v0, 0, s[40:41]
	v_or_b32_e32 v35, v0, v8
.LBB6_25123:                            ;   in Loop: Header=BB6_24817 Depth=3
	s_or_b64 exec, exec, s[48:49]
                                        ; implicit-def: $vgpr8
.LBB6_25124:                            ;   in Loop: Header=BB6_24817 Depth=3
	s_andn2_saveexec_b64 s[40:41], s[38:39]
; %bb.25125:                            ;   in Loop: Header=BB6_24817 Depth=3
	v_or_b32_e32 v35, 0x7b, v8
; %bb.25126:                            ;   in Loop: Header=BB6_24817 Depth=3
	s_or_b64 exec, exec, s[40:41]
                                        ; implicit-def: $vgpr6
                                        ; implicit-def: $vgpr0_vgpr1
.LBB6_25127:                            ;   in Loop: Header=BB6_24817 Depth=3
	s_andn2_saveexec_b64 s[40:41], s[42:43]
	s_cbranch_execz .LBB6_25133
; %bb.25128:                            ;   in Loop: Header=BB6_24817 Depth=3
	v_cmp_ne_u64_e32 vcc, 0, v[0:1]
                                        ; implicit-def: $vgpr35
	s_and_saveexec_b64 s[42:43], vcc
	s_xor_b64 s[42:43], exec, s[42:43]
; %bb.25129:                            ;   in Loop: Header=BB6_24817 Depth=3
	v_or_b32_sdwa v35, v6, s44 dst_sel:DWORD dst_unused:UNUSED_PAD src0_sel:BYTE_3 src1_sel:DWORD
                                        ; implicit-def: $vgpr6
; %bb.25130:                            ;   in Loop: Header=BB6_24817 Depth=3
	s_andn2_saveexec_b64 s[42:43], s[42:43]
; %bb.25131:                            ;   in Loop: Header=BB6_24817 Depth=3
	v_cmp_lt_i32_e32 vcc, -1, v6
	v_bfrev_b32_e32 v0, 0.5
	v_mov_b32_e32 v1, 0x7c
	v_cndmask_b32_e32 v35, v0, v1, vcc
; %bb.25132:                            ;   in Loop: Header=BB6_24817 Depth=3
	s_or_b64 exec, exec, s[42:43]
.LBB6_25133:                            ;   in Loop: Header=BB6_24817 Depth=3
	s_or_b64 exec, exec, s[40:41]
	v_cmp_lt_u32_e32 vcc, s57, v10
	v_mov_b32_e32 v1, 0
	s_and_saveexec_b64 s[40:41], vcc
	s_cbranch_execz .LBB6_25141
; %bb.25134:                            ;   in Loop: Header=BB6_24817 Depth=3
	v_lshrrev_b32_e32 v0, 24, v10
	v_cmp_ne_u32_e32 vcc, s97, v0
	v_bfrev_b32_e32 v1, 1
	s_and_saveexec_b64 s[42:43], vcc
	s_cbranch_execz .LBB6_25140
; %bb.25135:                            ;   in Loop: Header=BB6_24817 Depth=3
	v_and_b32_e32 v1, 0x7c000000, v10
	v_bfe_u32 v6, v10, 24, 2
	v_cmp_ne_u32_e32 vcc, s68, v1
                                        ; implicit-def: $vgpr1
	s_and_saveexec_b64 s[62:63], vcc
	s_xor_b64 s[38:39], exec, s[62:63]
	s_cbranch_execz .LBB6_25137
; %bb.25136:                            ;   in Loop: Header=BB6_24817 Depth=3
	v_ffbh_u32_e32 v1, v6
	v_min_u32_e32 v8, 32, v1
	v_subrev_u32_e32 v1, 29, v8
	v_lshlrev_b64 v[0:1], v1, v[0:1]
	v_bfe_u32 v7, v10, 26, 5
	v_sub_u32_e32 v1, 30, v8
	v_and_b32_e32 v0, 3, v0
	v_cmp_eq_u32_e32 vcc, 0, v7
	v_cndmask_b32_e32 v1, v7, v1, vcc
	v_cndmask_b32_e32 v0, v6, v0, vcc
	v_and_b32_e32 v6, 0x80000000, v10
	v_lshl_add_u32 v1, v1, 23, v6
	v_lshl_or_b32 v0, v0, 21, v1
	v_add_u32_e32 v1, 0x38000000, v0
                                        ; implicit-def: $vgpr6
.LBB6_25137:                            ;   in Loop: Header=BB6_24817 Depth=3
	s_andn2_saveexec_b64 s[38:39], s[38:39]
; %bb.25138:                            ;   in Loop: Header=BB6_24817 Depth=3
	v_cmp_lt_i32_e32 vcc, -1, v10
	v_mov_b32_e32 v0, 0xff800000
	v_mov_b32_e32 v1, 0x7f800000
	v_cndmask_b32_e32 v0, v0, v1, vcc
	v_cmp_eq_u32_e32 vcc, 0, v6
	v_mov_b32_e32 v1, 0x7f800001
	v_cndmask_b32_e32 v1, v1, v0, vcc
; %bb.25139:                            ;   in Loop: Header=BB6_24817 Depth=3
	s_or_b64 exec, exec, s[38:39]
.LBB6_25140:                            ;   in Loop: Header=BB6_24817 Depth=3
	s_or_b64 exec, exec, s[42:43]
.LBB6_25141:                            ;   in Loop: Header=BB6_24817 Depth=3
	s_or_b64 exec, exec, s[40:41]
	v_mul_f32_e32 v6, v26, v1
	v_and_b32_e32 v7, 0x7f800000, v6
	v_mov_b32_e32 v8, v33
	v_cmp_ne_u64_e32 vcc, s[76:77], v[7:8]
	v_and_b32_e32 v0, 0x7fffff, v6
	v_mov_b32_e32 v1, v33
                                        ; implicit-def: $vgpr37
	s_and_saveexec_b64 s[40:41], vcc
	s_xor_b64 s[42:43], exec, s[40:41]
	s_cbranch_execz .LBB6_25155
; %bb.25142:                            ;   in Loop: Header=BB6_24817 Depth=3
	v_and_b32_e32 v7, 0x7fffffff, v6
	v_mov_b32_e32 v8, v33
	v_cmp_gt_u64_e32 vcc, s[78:79], v[7:8]
	v_and_b32_sdwa v8, v6, s97 dst_sel:DWORD dst_unused:UNUSED_PAD src0_sel:BYTE_3 src1_sel:DWORD
                                        ; implicit-def: $vgpr37
	s_and_saveexec_b64 s[40:41], vcc
	s_xor_b64 s[38:39], exec, s[40:41]
	s_cbranch_execz .LBB6_25152
; %bb.25143:                            ;   in Loop: Header=BB6_24817 Depth=3
	v_mov_b32_e32 v37, 0
	v_cmp_ne_u32_e32 vcc, 0, v6
	s_and_saveexec_b64 s[48:49], vcc
	s_cbranch_execz .LBB6_25151
; %bb.25144:                            ;   in Loop: Header=BB6_24817 Depth=3
	v_bfe_u32 v9, v6, 23, 8
	v_cmp_gt_u32_e64 s[40:41], s47, v9
	v_sub_u32_e32 v6, 0x71, v9
	v_cmp_eq_u32_e32 vcc, 0, v9
	v_cndmask_b32_e64 v6, 0, v6, s[40:41]
	v_mov_b32_e32 v14, 0x70
	v_cndmask_b32_e32 v14, v6, v14, vcc
	v_or_b32_e32 v7, 0x800000, v0
	v_add_u32_e32 v6, 21, v14
	v_cndmask_b32_e32 v0, v7, v0, vcc
	v_lshlrev_b64 v[6:7], v6, -1
	v_add_u32_e32 v15, 20, v14
	v_bfi_b32 v6, v6, 0, v0
	v_lshlrev_b64 v[49:50], v15, 1
	v_lshrrev_b64 v[0:1], v14, v[0:1]
	v_bfi_b32 v7, v7, 0, 0
	v_cmp_eq_u64_e64 s[40:41], v[6:7], v[49:50]
	v_mov_b32_e32 v7, v1
	v_mov_b32_e32 v6, v0
	s_and_saveexec_b64 s[50:51], s[40:41]
; %bb.25145:                            ;   in Loop: Header=BB6_24817 Depth=3
	v_bfe_u32 v1, v0, 21, 1
	v_add_co_u32_e64 v1, s[40:41], v0, v1
	v_add_co_u32_e64 v6, s[40:41], -1, v1
; %bb.25146:                            ;   in Loop: Header=BB6_24817 Depth=3
	s_or_b64 exec, exec, s[50:51]
	v_add_u32_e32 v1, 0xffffff81, v9
	v_mov_b32_e32 v7, 0xffffff82
	v_cndmask_b32_e32 v1, v1, v7, vcc
	v_lshrrev_b32_e32 v7, 23, v0
	v_add3_u32 v9, v14, v1, v7
	v_add_u32_e32 v7, 14, v9
	v_and_b32_e32 v1, 0x1fffff, v6
	v_add_u32_e32 v0, v1, v0
	v_mov_b32_e32 v1, v33
	v_cmp_ne_u32_e32 vcc, 0, v7
                                        ; implicit-def: $vgpr6
	s_and_saveexec_b64 s[40:41], vcc
	s_xor_b64 s[40:41], exec, s[40:41]
; %bb.25147:                            ;   in Loop: Header=BB6_24817 Depth=3
	v_cmp_lt_u64_e32 vcc, s[88:89], v[0:1]
	v_add_u32_e32 v6, 15, v9
	v_cndmask_b32_e32 v6, v7, v6, vcc
	v_cndmask_b32_e64 v7, 0, 1, vcc
	v_lshrrev_b64 v[0:1], v7, v[0:1]
; %bb.25148:                            ;   in Loop: Header=BB6_24817 Depth=3
	s_andn2_saveexec_b64 s[40:41], s[40:41]
; %bb.25149:                            ;   in Loop: Header=BB6_24817 Depth=3
	v_bfe_u32 v6, v0, 23, 1
; %bb.25150:                            ;   in Loop: Header=BB6_24817 Depth=3
	s_or_b64 exec, exec, s[40:41]
	v_lshrrev_b64 v[0:1], 21, v[0:1]
	v_cmp_gt_i32_e32 vcc, 32, v6
	v_cndmask_b32_e32 v1, 0, v1, vcc
	v_cndmask_b32_e32 v0, 3, v0, vcc
	v_cmp_eq_u64_e64 s[40:41], 0, v[0:1]
	v_min_i32_e32 v1, 31, v6
	v_lshlrev_b32_e32 v1, 2, v1
	v_cmp_eq_u32_e32 vcc, 0, v6
	v_and_b32_e32 v1, 0xfc, v1
	v_and_or_b32 v0, v0, 3, v1
	s_and_b64 s[40:41], vcc, s[40:41]
	v_cndmask_b32_e64 v0, v0, 0, s[40:41]
	v_or_b32_e32 v37, v0, v8
.LBB6_25151:                            ;   in Loop: Header=BB6_24817 Depth=3
	s_or_b64 exec, exec, s[48:49]
                                        ; implicit-def: $vgpr8
.LBB6_25152:                            ;   in Loop: Header=BB6_24817 Depth=3
	s_andn2_saveexec_b64 s[40:41], s[38:39]
; %bb.25153:                            ;   in Loop: Header=BB6_24817 Depth=3
	v_or_b32_e32 v37, 0x7b, v8
; %bb.25154:                            ;   in Loop: Header=BB6_24817 Depth=3
	s_or_b64 exec, exec, s[40:41]
                                        ; implicit-def: $vgpr6
                                        ; implicit-def: $vgpr0_vgpr1
.LBB6_25155:                            ;   in Loop: Header=BB6_24817 Depth=3
	s_andn2_saveexec_b64 s[40:41], s[42:43]
	s_cbranch_execz .LBB6_25161
; %bb.25156:                            ;   in Loop: Header=BB6_24817 Depth=3
	v_cmp_ne_u64_e32 vcc, 0, v[0:1]
                                        ; implicit-def: $vgpr37
	s_and_saveexec_b64 s[42:43], vcc
	s_xor_b64 s[42:43], exec, s[42:43]
; %bb.25157:                            ;   in Loop: Header=BB6_24817 Depth=3
	v_or_b32_sdwa v37, v6, s44 dst_sel:DWORD dst_unused:UNUSED_PAD src0_sel:BYTE_3 src1_sel:DWORD
                                        ; implicit-def: $vgpr6
; %bb.25158:                            ;   in Loop: Header=BB6_24817 Depth=3
	s_andn2_saveexec_b64 s[42:43], s[42:43]
; %bb.25159:                            ;   in Loop: Header=BB6_24817 Depth=3
	v_cmp_lt_i32_e32 vcc, -1, v6
	v_bfrev_b32_e32 v0, 0.5
	v_mov_b32_e32 v1, 0x7c
	v_cndmask_b32_e32 v37, v0, v1, vcc
; %bb.25160:                            ;   in Loop: Header=BB6_24817 Depth=3
	s_or_b64 exec, exec, s[42:43]
.LBB6_25161:                            ;   in Loop: Header=BB6_24817 Depth=3
	s_or_b64 exec, exec, s[40:41]
	v_mov_b32_e32 v0, v11
	v_mov_b32_e32 v1, v33
	v_cmp_ne_u16_sdwa s[42:43], v11, v33 src0_sel:BYTE_0 src1_sel:DWORD
	v_mov_b32_e32 v6, 0
	s_and_saveexec_b64 s[40:41], s[42:43]
	s_cbranch_execz .LBB6_25169
; %bb.25162:                            ;   in Loop: Header=BB6_24817 Depth=3
	v_cmp_ne_u16_sdwa s[62:63], v11, s97 src0_sel:BYTE_0 src1_sel:DWORD
	v_bfrev_b32_e32 v6, 1
	s_and_saveexec_b64 s[42:43], s[62:63]
	s_cbranch_execz .LBB6_25168
; %bb.25163:                            ;   in Loop: Header=BB6_24817 Depth=3
	v_and_b32_e32 v6, 0x7c, v11
	v_and_b32_e32 v7, 3, v11
	v_cmp_ne_u32_e32 vcc, s86, v6
                                        ; implicit-def: $vgpr6
	s_and_saveexec_b64 s[62:63], vcc
	s_xor_b64 s[38:39], exec, s[62:63]
	s_cbranch_execz .LBB6_25165
; %bb.25164:                            ;   in Loop: Header=BB6_24817 Depth=3
	v_ffbh_u32_e32 v8, v7
	v_min_u32_e32 v14, 32, v8
	v_subrev_u32_e32 v8, 29, v14
	v_lshlrev_b64 v[8:9], v8, v[0:1]
	v_bfe_u32 v6, v11, 2, 5
	v_sub_u32_e32 v1, 30, v14
	v_and_b32_e32 v8, 3, v8
	v_cmp_eq_u32_e32 vcc, 0, v6
	v_cndmask_b32_e32 v1, v6, v1, vcc
	v_cndmask_b32_e32 v6, v7, v8, vcc
	v_lshlrev_b32_e32 v7, 24, v11
	v_and_b32_e32 v7, 0x80000000, v7
	v_lshl_add_u32 v1, v1, 23, v7
	v_lshl_or_b32 v1, v6, 21, v1
	v_add_u32_e32 v6, 0x38000000, v1
                                        ; implicit-def: $vgpr7
.LBB6_25165:                            ;   in Loop: Header=BB6_24817 Depth=3
	s_andn2_saveexec_b64 s[38:39], s[38:39]
; %bb.25166:                            ;   in Loop: Header=BB6_24817 Depth=3
	v_mov_b32_e32 v1, -1
	v_cmp_gt_i16_sdwa vcc, sext(v11), v1 src0_sel:BYTE_0 src1_sel:DWORD
	v_mov_b32_e32 v1, 0xff800000
	v_mov_b32_e32 v6, 0x7f800000
	v_cndmask_b32_e32 v1, v1, v6, vcc
	v_cmp_eq_u32_e32 vcc, 0, v7
	v_mov_b32_e32 v6, 0x7f800001
	v_cndmask_b32_e32 v6, v6, v1, vcc
; %bb.25167:                            ;   in Loop: Header=BB6_24817 Depth=3
	s_or_b64 exec, exec, s[38:39]
.LBB6_25168:                            ;   in Loop: Header=BB6_24817 Depth=3
	s_or_b64 exec, exec, s[42:43]
.LBB6_25169:                            ;   in Loop: Header=BB6_24817 Depth=3
	s_or_b64 exec, exec, s[40:41]
	v_mul_f32_e32 v8, v26, v6
	v_and_b32_e32 v14, 0x7f800000, v8
	v_mov_b32_e32 v15, v33
	v_cmp_ne_u64_e32 vcc, s[76:77], v[14:15]
	v_and_b32_e32 v6, 0x7fffff, v8
	v_mov_b32_e32 v7, v33
                                        ; implicit-def: $vgpr25
	s_and_saveexec_b64 s[40:41], vcc
	s_xor_b64 s[42:43], exec, s[40:41]
	s_cbranch_execz .LBB6_25183
; %bb.25170:                            ;   in Loop: Header=BB6_24817 Depth=3
	v_and_b32_e32 v14, 0x7fffffff, v8
	v_mov_b32_e32 v15, v33
	v_cmp_gt_u64_e32 vcc, s[78:79], v[14:15]
	v_and_b32_sdwa v1, v8, s97 dst_sel:DWORD dst_unused:UNUSED_PAD src0_sel:BYTE_3 src1_sel:DWORD
                                        ; implicit-def: $vgpr25
	s_and_saveexec_b64 s[40:41], vcc
	s_xor_b64 s[38:39], exec, s[40:41]
	s_cbranch_execz .LBB6_25180
; %bb.25171:                            ;   in Loop: Header=BB6_24817 Depth=3
	v_mov_b32_e32 v25, 0
	v_cmp_ne_u32_e32 vcc, 0, v8
	s_and_saveexec_b64 s[48:49], vcc
	s_cbranch_execz .LBB6_25179
; %bb.25172:                            ;   in Loop: Header=BB6_24817 Depth=3
	v_bfe_u32 v9, v8, 23, 8
	v_cmp_gt_u32_e64 s[40:41], s47, v9
	v_sub_u32_e32 v8, 0x71, v9
	v_cmp_eq_u32_e32 vcc, 0, v9
	v_cndmask_b32_e64 v8, 0, v8, s[40:41]
	v_mov_b32_e32 v14, 0x70
	v_cndmask_b32_e32 v14, v8, v14, vcc
	v_add_u32_e32 v8, 21, v14
	v_or_b32_e32 v15, 0x800000, v6
	v_lshlrev_b64 v[49:50], v8, -1
	v_cndmask_b32_e32 v6, v15, v6, vcc
	v_add_u32_e32 v8, 20, v14
	v_bfi_b32 v49, v49, 0, v6
	v_lshlrev_b64 v[51:52], v8, 1
	v_lshrrev_b64 v[6:7], v14, v[6:7]
	v_bfi_b32 v50, v50, 0, 0
	v_cmp_eq_u64_e64 s[40:41], v[49:50], v[51:52]
	v_mov_b32_e32 v8, v7
	v_mov_b32_e32 v7, v6
	s_and_saveexec_b64 s[50:51], s[40:41]
; %bb.25173:                            ;   in Loop: Header=BB6_24817 Depth=3
	v_bfe_u32 v7, v6, 21, 1
	v_add_co_u32_e64 v7, s[40:41], v6, v7
	v_add_co_u32_e64 v7, s[40:41], -1, v7
; %bb.25174:                            ;   in Loop: Header=BB6_24817 Depth=3
	s_or_b64 exec, exec, s[50:51]
	v_add_u32_e32 v8, 0xffffff81, v9
	v_mov_b32_e32 v9, 0xffffff82
	v_cndmask_b32_e32 v8, v8, v9, vcc
	v_lshrrev_b32_e32 v9, 23, v6
	v_add3_u32 v14, v14, v8, v9
	v_add_u32_e32 v9, 14, v14
	v_and_b32_e32 v7, 0x1fffff, v7
	v_add_u32_e32 v6, v7, v6
	v_mov_b32_e32 v7, v33
	v_cmp_ne_u32_e32 vcc, 0, v9
                                        ; implicit-def: $vgpr8
	s_and_saveexec_b64 s[40:41], vcc
	s_xor_b64 s[40:41], exec, s[40:41]
; %bb.25175:                            ;   in Loop: Header=BB6_24817 Depth=3
	v_cmp_lt_u64_e32 vcc, s[88:89], v[6:7]
	v_add_u32_e32 v8, 15, v14
	v_cndmask_b32_e32 v8, v9, v8, vcc
	v_cndmask_b32_e64 v9, 0, 1, vcc
	v_lshrrev_b64 v[6:7], v9, v[6:7]
; %bb.25176:                            ;   in Loop: Header=BB6_24817 Depth=3
	s_andn2_saveexec_b64 s[40:41], s[40:41]
; %bb.25177:                            ;   in Loop: Header=BB6_24817 Depth=3
	v_bfe_u32 v8, v6, 23, 1
; %bb.25178:                            ;   in Loop: Header=BB6_24817 Depth=3
	s_or_b64 exec, exec, s[40:41]
	v_lshrrev_b64 v[6:7], 21, v[6:7]
	v_cmp_gt_i32_e32 vcc, 32, v8
	v_cndmask_b32_e32 v7, 0, v7, vcc
	v_cndmask_b32_e32 v6, 3, v6, vcc
	v_cmp_eq_u64_e64 s[40:41], 0, v[6:7]
	v_min_i32_e32 v7, 31, v8
	v_lshlrev_b32_e32 v7, 2, v7
	v_cmp_eq_u32_e32 vcc, 0, v8
	v_and_b32_e32 v7, 0xfc, v7
	v_and_or_b32 v6, v6, 3, v7
	s_and_b64 s[40:41], vcc, s[40:41]
	v_cndmask_b32_e64 v6, v6, 0, s[40:41]
	v_or_b32_e32 v25, v6, v1
.LBB6_25179:                            ;   in Loop: Header=BB6_24817 Depth=3
	s_or_b64 exec, exec, s[48:49]
                                        ; implicit-def: $vgpr1
.LBB6_25180:                            ;   in Loop: Header=BB6_24817 Depth=3
	s_andn2_saveexec_b64 s[40:41], s[38:39]
; %bb.25181:                            ;   in Loop: Header=BB6_24817 Depth=3
	v_or_b32_e32 v25, 0x7b, v1
; %bb.25182:                            ;   in Loop: Header=BB6_24817 Depth=3
	s_or_b64 exec, exec, s[40:41]
                                        ; implicit-def: $vgpr8
                                        ; implicit-def: $vgpr6_vgpr7
.LBB6_25183:                            ;   in Loop: Header=BB6_24817 Depth=3
	s_andn2_saveexec_b64 s[40:41], s[42:43]
	s_cbranch_execz .LBB6_25189
; %bb.25184:                            ;   in Loop: Header=BB6_24817 Depth=3
	v_cmp_ne_u64_e32 vcc, 0, v[6:7]
                                        ; implicit-def: $vgpr25
	s_and_saveexec_b64 s[42:43], vcc
	s_xor_b64 s[42:43], exec, s[42:43]
; %bb.25185:                            ;   in Loop: Header=BB6_24817 Depth=3
	v_or_b32_sdwa v25, v8, s44 dst_sel:DWORD dst_unused:UNUSED_PAD src0_sel:BYTE_3 src1_sel:DWORD
                                        ; implicit-def: $vgpr8
; %bb.25186:                            ;   in Loop: Header=BB6_24817 Depth=3
	s_andn2_saveexec_b64 s[42:43], s[42:43]
; %bb.25187:                            ;   in Loop: Header=BB6_24817 Depth=3
	v_cmp_lt_i32_e32 vcc, -1, v8
	v_bfrev_b32_e32 v1, 0.5
	v_mov_b32_e32 v6, 0x7c
	v_cndmask_b32_e32 v25, v1, v6, vcc
; %bb.25188:                            ;   in Loop: Header=BB6_24817 Depth=3
	s_or_b64 exec, exec, s[42:43]
.LBB6_25189:                            ;   in Loop: Header=BB6_24817 Depth=3
	s_or_b64 exec, exec, s[40:41]
	v_lshrrev_b16_e32 v6, 8, v0
	v_cmp_ne_u16_e32 vcc, 0, v6
	v_mov_b32_e32 v7, 0
	s_and_saveexec_b64 s[40:41], vcc
	s_cbranch_execz .LBB6_25197
; %bb.25190:                            ;   in Loop: Header=BB6_24817 Depth=3
	v_cmp_ne_u16_e32 vcc, s97, v6
	v_bfrev_b32_e32 v7, 1
	s_and_saveexec_b64 s[42:43], vcc
	s_cbranch_execz .LBB6_25196
; %bb.25191:                            ;   in Loop: Header=BB6_24817 Depth=3
	v_and_b32_e32 v1, 0x7c, v6
	v_and_b32_e32 v8, 3, v6
	v_cmp_ne_u32_e32 vcc, s86, v1
                                        ; implicit-def: $vgpr7
	s_and_saveexec_b64 s[62:63], vcc
	s_xor_b64 s[38:39], exec, s[62:63]
	s_cbranch_execz .LBB6_25193
; %bb.25192:                            ;   in Loop: Header=BB6_24817 Depth=3
	v_ffbh_u32_e32 v9, v8
	v_min_u32_e32 v9, 32, v9
	v_mov_b32_e32 v7, v33
	v_subrev_u32_e32 v14, 29, v9
	v_bfe_u32 v1, v6, 2, 5
	v_lshlrev_b64 v[6:7], v14, v[6:7]
	v_sub_u32_e32 v7, 30, v9
	v_cmp_eq_u32_e32 vcc, 0, v1
	v_lshlrev_b32_e32 v0, 16, v0
	v_and_b32_e32 v6, 3, v6
	v_cndmask_b32_e32 v1, v1, v7, vcc
	v_and_b32_e32 v0, 0x80000000, v0
	v_cndmask_b32_e32 v6, v8, v6, vcc
	v_lshl_add_u32 v0, v1, 23, v0
	v_lshl_or_b32 v0, v6, 21, v0
	v_add_u32_e32 v7, 0x38000000, v0
                                        ; implicit-def: $vgpr8
                                        ; implicit-def: $vgpr0_vgpr1
.LBB6_25193:                            ;   in Loop: Header=BB6_24817 Depth=3
	s_andn2_saveexec_b64 s[38:39], s[38:39]
; %bb.25194:                            ;   in Loop: Header=BB6_24817 Depth=3
	v_cmp_lt_i16_e32 vcc, -1, v0
	v_mov_b32_e32 v0, 0xff800000
	v_mov_b32_e32 v1, 0x7f800000
	v_cndmask_b32_e32 v0, v0, v1, vcc
	v_cmp_eq_u32_e32 vcc, 0, v8
	v_mov_b32_e32 v1, 0x7f800001
	v_cndmask_b32_e32 v7, v1, v0, vcc
; %bb.25195:                            ;   in Loop: Header=BB6_24817 Depth=3
	s_or_b64 exec, exec, s[38:39]
.LBB6_25196:                            ;   in Loop: Header=BB6_24817 Depth=3
	s_or_b64 exec, exec, s[42:43]
.LBB6_25197:                            ;   in Loop: Header=BB6_24817 Depth=3
	s_or_b64 exec, exec, s[40:41]
	v_mul_f32_e32 v6, v26, v7
	v_and_b32_e32 v7, 0x7f800000, v6
	v_mov_b32_e32 v8, v33
	v_cmp_ne_u64_e32 vcc, s[76:77], v[7:8]
	v_and_b32_e32 v0, 0x7fffff, v6
	v_mov_b32_e32 v1, v33
                                        ; implicit-def: $vgpr28
	s_and_saveexec_b64 s[40:41], vcc
	s_xor_b64 s[42:43], exec, s[40:41]
	s_cbranch_execz .LBB6_25211
; %bb.25198:                            ;   in Loop: Header=BB6_24817 Depth=3
	v_and_b32_e32 v7, 0x7fffffff, v6
	v_mov_b32_e32 v8, v33
	v_cmp_gt_u64_e32 vcc, s[78:79], v[7:8]
	v_and_b32_sdwa v8, v6, s97 dst_sel:DWORD dst_unused:UNUSED_PAD src0_sel:BYTE_3 src1_sel:DWORD
                                        ; implicit-def: $vgpr28
	s_and_saveexec_b64 s[40:41], vcc
	s_xor_b64 s[38:39], exec, s[40:41]
	s_cbranch_execz .LBB6_25208
; %bb.25199:                            ;   in Loop: Header=BB6_24817 Depth=3
	v_mov_b32_e32 v28, 0
	v_cmp_ne_u32_e32 vcc, 0, v6
	s_and_saveexec_b64 s[48:49], vcc
	s_cbranch_execz .LBB6_25207
; %bb.25200:                            ;   in Loop: Header=BB6_24817 Depth=3
	v_bfe_u32 v9, v6, 23, 8
	v_cmp_gt_u32_e64 s[40:41], s47, v9
	v_sub_u32_e32 v6, 0x71, v9
	v_cmp_eq_u32_e32 vcc, 0, v9
	v_cndmask_b32_e64 v6, 0, v6, s[40:41]
	v_mov_b32_e32 v14, 0x70
	v_cndmask_b32_e32 v14, v6, v14, vcc
	v_or_b32_e32 v7, 0x800000, v0
	v_add_u32_e32 v6, 21, v14
	v_cndmask_b32_e32 v0, v7, v0, vcc
	v_lshlrev_b64 v[6:7], v6, -1
	v_add_u32_e32 v15, 20, v14
	v_bfi_b32 v6, v6, 0, v0
	v_lshlrev_b64 v[49:50], v15, 1
	v_lshrrev_b64 v[0:1], v14, v[0:1]
	v_bfi_b32 v7, v7, 0, 0
	v_cmp_eq_u64_e64 s[40:41], v[6:7], v[49:50]
	v_mov_b32_e32 v7, v1
	v_mov_b32_e32 v6, v0
	s_and_saveexec_b64 s[50:51], s[40:41]
; %bb.25201:                            ;   in Loop: Header=BB6_24817 Depth=3
	v_bfe_u32 v1, v0, 21, 1
	v_add_co_u32_e64 v1, s[40:41], v0, v1
	v_add_co_u32_e64 v6, s[40:41], -1, v1
; %bb.25202:                            ;   in Loop: Header=BB6_24817 Depth=3
	s_or_b64 exec, exec, s[50:51]
	v_add_u32_e32 v1, 0xffffff81, v9
	v_mov_b32_e32 v7, 0xffffff82
	v_cndmask_b32_e32 v1, v1, v7, vcc
	v_lshrrev_b32_e32 v7, 23, v0
	v_add3_u32 v9, v14, v1, v7
	v_add_u32_e32 v7, 14, v9
	v_and_b32_e32 v1, 0x1fffff, v6
	v_add_u32_e32 v0, v1, v0
	v_mov_b32_e32 v1, v33
	v_cmp_ne_u32_e32 vcc, 0, v7
                                        ; implicit-def: $vgpr6
	s_and_saveexec_b64 s[40:41], vcc
	s_xor_b64 s[40:41], exec, s[40:41]
; %bb.25203:                            ;   in Loop: Header=BB6_24817 Depth=3
	v_cmp_lt_u64_e32 vcc, s[88:89], v[0:1]
	v_add_u32_e32 v6, 15, v9
	v_cndmask_b32_e32 v6, v7, v6, vcc
	v_cndmask_b32_e64 v7, 0, 1, vcc
	v_lshrrev_b64 v[0:1], v7, v[0:1]
; %bb.25204:                            ;   in Loop: Header=BB6_24817 Depth=3
	s_andn2_saveexec_b64 s[40:41], s[40:41]
; %bb.25205:                            ;   in Loop: Header=BB6_24817 Depth=3
	v_bfe_u32 v6, v0, 23, 1
; %bb.25206:                            ;   in Loop: Header=BB6_24817 Depth=3
	s_or_b64 exec, exec, s[40:41]
	v_lshrrev_b64 v[0:1], 21, v[0:1]
	v_cmp_gt_i32_e32 vcc, 32, v6
	v_cndmask_b32_e32 v1, 0, v1, vcc
	v_cndmask_b32_e32 v0, 3, v0, vcc
	v_cmp_eq_u64_e64 s[40:41], 0, v[0:1]
	v_min_i32_e32 v1, 31, v6
	v_lshlrev_b32_e32 v1, 2, v1
	v_cmp_eq_u32_e32 vcc, 0, v6
	v_and_b32_e32 v1, 0xfc, v1
	v_and_or_b32 v0, v0, 3, v1
	s_and_b64 s[40:41], vcc, s[40:41]
	v_cndmask_b32_e64 v0, v0, 0, s[40:41]
	v_or_b32_e32 v28, v0, v8
.LBB6_25207:                            ;   in Loop: Header=BB6_24817 Depth=3
	s_or_b64 exec, exec, s[48:49]
                                        ; implicit-def: $vgpr8
.LBB6_25208:                            ;   in Loop: Header=BB6_24817 Depth=3
	s_andn2_saveexec_b64 s[40:41], s[38:39]
; %bb.25209:                            ;   in Loop: Header=BB6_24817 Depth=3
	v_or_b32_e32 v28, 0x7b, v8
; %bb.25210:                            ;   in Loop: Header=BB6_24817 Depth=3
	s_or_b64 exec, exec, s[40:41]
                                        ; implicit-def: $vgpr6
                                        ; implicit-def: $vgpr0_vgpr1
.LBB6_25211:                            ;   in Loop: Header=BB6_24817 Depth=3
	s_andn2_saveexec_b64 s[40:41], s[42:43]
	s_cbranch_execz .LBB6_25217
; %bb.25212:                            ;   in Loop: Header=BB6_24817 Depth=3
	v_cmp_ne_u64_e32 vcc, 0, v[0:1]
                                        ; implicit-def: $vgpr28
	s_and_saveexec_b64 s[42:43], vcc
	s_xor_b64 s[42:43], exec, s[42:43]
; %bb.25213:                            ;   in Loop: Header=BB6_24817 Depth=3
	v_or_b32_sdwa v28, v6, s44 dst_sel:DWORD dst_unused:UNUSED_PAD src0_sel:BYTE_3 src1_sel:DWORD
                                        ; implicit-def: $vgpr6
; %bb.25214:                            ;   in Loop: Header=BB6_24817 Depth=3
	s_andn2_saveexec_b64 s[42:43], s[42:43]
; %bb.25215:                            ;   in Loop: Header=BB6_24817 Depth=3
	v_cmp_lt_i32_e32 vcc, -1, v6
	v_bfrev_b32_e32 v0, 0.5
	v_mov_b32_e32 v1, 0x7c
	v_cndmask_b32_e32 v28, v0, v1, vcc
; %bb.25216:                            ;   in Loop: Header=BB6_24817 Depth=3
	s_or_b64 exec, exec, s[42:43]
.LBB6_25217:                            ;   in Loop: Header=BB6_24817 Depth=3
	s_or_b64 exec, exec, s[40:41]
	v_lshrrev_b32_e32 v0, 16, v11
	v_cmp_ne_u16_sdwa s[42:43], v0, v33 src0_sel:BYTE_0 src1_sel:DWORD
	v_mov_b32_e32 v1, 0
	s_and_saveexec_b64 s[40:41], s[42:43]
	s_cbranch_execz .LBB6_25225
; %bb.25218:                            ;   in Loop: Header=BB6_24817 Depth=3
	v_cmp_ne_u16_sdwa s[62:63], v0, s97 src0_sel:BYTE_0 src1_sel:DWORD
	v_bfrev_b32_e32 v1, 1
	s_and_saveexec_b64 s[42:43], s[62:63]
	s_cbranch_execz .LBB6_25224
; %bb.25219:                            ;   in Loop: Header=BB6_24817 Depth=3
	v_and_b32_e32 v1, 0x7c0000, v11
	v_bfe_u32 v6, v11, 16, 2
	v_cmp_ne_u32_e32 vcc, s45, v1
                                        ; implicit-def: $vgpr1
	s_and_saveexec_b64 s[62:63], vcc
	s_xor_b64 s[38:39], exec, s[62:63]
	s_cbranch_execz .LBB6_25221
; %bb.25220:                            ;   in Loop: Header=BB6_24817 Depth=3
	v_ffbh_u32_e32 v1, v6
	v_min_u32_e32 v8, 32, v1
	v_subrev_u32_e32 v1, 29, v8
	v_lshlrev_b64 v[0:1], v1, v[0:1]
	v_bfe_u32 v7, v11, 18, 5
	v_and_b32_e32 v0, 3, v0
	v_cmp_eq_u32_e32 vcc, 0, v7
	v_sub_u32_e32 v1, 30, v8
	v_cndmask_b32_e32 v0, v6, v0, vcc
	v_lshlrev_b32_e32 v6, 8, v11
	v_cndmask_b32_e32 v1, v7, v1, vcc
	v_and_b32_e32 v6, 0x80000000, v6
	v_lshl_add_u32 v1, v1, 23, v6
	v_lshl_or_b32 v0, v0, 21, v1
	v_add_u32_e32 v1, 0x38000000, v0
                                        ; implicit-def: $vgpr6
                                        ; implicit-def: $vgpr0
.LBB6_25221:                            ;   in Loop: Header=BB6_24817 Depth=3
	s_andn2_saveexec_b64 s[38:39], s[38:39]
; %bb.25222:                            ;   in Loop: Header=BB6_24817 Depth=3
	v_mov_b32_e32 v1, -1
	v_cmp_gt_i16_sdwa vcc, sext(v0), v1 src0_sel:BYTE_0 src1_sel:DWORD
	v_mov_b32_e32 v0, 0xff800000
	v_mov_b32_e32 v1, 0x7f800000
	v_cndmask_b32_e32 v0, v0, v1, vcc
	v_cmp_eq_u32_e32 vcc, 0, v6
	v_mov_b32_e32 v1, 0x7f800001
	v_cndmask_b32_e32 v1, v1, v0, vcc
; %bb.25223:                            ;   in Loop: Header=BB6_24817 Depth=3
	s_or_b64 exec, exec, s[38:39]
.LBB6_25224:                            ;   in Loop: Header=BB6_24817 Depth=3
	s_or_b64 exec, exec, s[42:43]
.LBB6_25225:                            ;   in Loop: Header=BB6_24817 Depth=3
	s_or_b64 exec, exec, s[40:41]
	v_mul_f32_e32 v6, v26, v1
	v_and_b32_e32 v7, 0x7f800000, v6
	v_mov_b32_e32 v8, v33
	v_cmp_ne_u64_e32 vcc, s[76:77], v[7:8]
	v_and_b32_e32 v0, 0x7fffff, v6
	v_mov_b32_e32 v1, v33
                                        ; implicit-def: $vgpr30
	s_and_saveexec_b64 s[40:41], vcc
	s_xor_b64 s[42:43], exec, s[40:41]
	s_cbranch_execz .LBB6_25239
; %bb.25226:                            ;   in Loop: Header=BB6_24817 Depth=3
	v_and_b32_e32 v7, 0x7fffffff, v6
	v_mov_b32_e32 v8, v33
	v_cmp_gt_u64_e32 vcc, s[78:79], v[7:8]
	v_and_b32_sdwa v8, v6, s97 dst_sel:DWORD dst_unused:UNUSED_PAD src0_sel:BYTE_3 src1_sel:DWORD
                                        ; implicit-def: $vgpr30
	s_and_saveexec_b64 s[40:41], vcc
	s_xor_b64 s[38:39], exec, s[40:41]
	s_cbranch_execz .LBB6_25236
; %bb.25227:                            ;   in Loop: Header=BB6_24817 Depth=3
	v_mov_b32_e32 v30, 0
	v_cmp_ne_u32_e32 vcc, 0, v6
	s_and_saveexec_b64 s[48:49], vcc
	s_cbranch_execz .LBB6_25235
; %bb.25228:                            ;   in Loop: Header=BB6_24817 Depth=3
	v_bfe_u32 v9, v6, 23, 8
	v_cmp_gt_u32_e64 s[40:41], s47, v9
	v_sub_u32_e32 v6, 0x71, v9
	v_cmp_eq_u32_e32 vcc, 0, v9
	v_cndmask_b32_e64 v6, 0, v6, s[40:41]
	v_mov_b32_e32 v14, 0x70
	v_cndmask_b32_e32 v14, v6, v14, vcc
	v_or_b32_e32 v7, 0x800000, v0
	v_add_u32_e32 v6, 21, v14
	v_cndmask_b32_e32 v0, v7, v0, vcc
	v_lshlrev_b64 v[6:7], v6, -1
	v_add_u32_e32 v15, 20, v14
	v_bfi_b32 v6, v6, 0, v0
	v_lshlrev_b64 v[49:50], v15, 1
	v_lshrrev_b64 v[0:1], v14, v[0:1]
	v_bfi_b32 v7, v7, 0, 0
	v_cmp_eq_u64_e64 s[40:41], v[6:7], v[49:50]
	v_mov_b32_e32 v7, v1
	v_mov_b32_e32 v6, v0
	s_and_saveexec_b64 s[50:51], s[40:41]
; %bb.25229:                            ;   in Loop: Header=BB6_24817 Depth=3
	v_bfe_u32 v1, v0, 21, 1
	v_add_co_u32_e64 v1, s[40:41], v0, v1
	v_add_co_u32_e64 v6, s[40:41], -1, v1
; %bb.25230:                            ;   in Loop: Header=BB6_24817 Depth=3
	s_or_b64 exec, exec, s[50:51]
	v_add_u32_e32 v1, 0xffffff81, v9
	v_mov_b32_e32 v7, 0xffffff82
	v_cndmask_b32_e32 v1, v1, v7, vcc
	v_lshrrev_b32_e32 v7, 23, v0
	v_add3_u32 v9, v14, v1, v7
	v_add_u32_e32 v7, 14, v9
	v_and_b32_e32 v1, 0x1fffff, v6
	v_add_u32_e32 v0, v1, v0
	v_mov_b32_e32 v1, v33
	v_cmp_ne_u32_e32 vcc, 0, v7
                                        ; implicit-def: $vgpr6
	s_and_saveexec_b64 s[40:41], vcc
	s_xor_b64 s[40:41], exec, s[40:41]
; %bb.25231:                            ;   in Loop: Header=BB6_24817 Depth=3
	v_cmp_lt_u64_e32 vcc, s[88:89], v[0:1]
	v_add_u32_e32 v6, 15, v9
	v_cndmask_b32_e32 v6, v7, v6, vcc
	v_cndmask_b32_e64 v7, 0, 1, vcc
	v_lshrrev_b64 v[0:1], v7, v[0:1]
; %bb.25232:                            ;   in Loop: Header=BB6_24817 Depth=3
	s_andn2_saveexec_b64 s[40:41], s[40:41]
; %bb.25233:                            ;   in Loop: Header=BB6_24817 Depth=3
	v_bfe_u32 v6, v0, 23, 1
; %bb.25234:                            ;   in Loop: Header=BB6_24817 Depth=3
	s_or_b64 exec, exec, s[40:41]
	v_lshrrev_b64 v[0:1], 21, v[0:1]
	v_cmp_gt_i32_e32 vcc, 32, v6
	v_cndmask_b32_e32 v1, 0, v1, vcc
	v_cndmask_b32_e32 v0, 3, v0, vcc
	v_cmp_eq_u64_e64 s[40:41], 0, v[0:1]
	v_min_i32_e32 v1, 31, v6
	v_lshlrev_b32_e32 v1, 2, v1
	v_cmp_eq_u32_e32 vcc, 0, v6
	v_and_b32_e32 v1, 0xfc, v1
	v_and_or_b32 v0, v0, 3, v1
	s_and_b64 s[40:41], vcc, s[40:41]
	v_cndmask_b32_e64 v0, v0, 0, s[40:41]
	v_or_b32_e32 v30, v0, v8
.LBB6_25235:                            ;   in Loop: Header=BB6_24817 Depth=3
	s_or_b64 exec, exec, s[48:49]
                                        ; implicit-def: $vgpr8
.LBB6_25236:                            ;   in Loop: Header=BB6_24817 Depth=3
	s_andn2_saveexec_b64 s[40:41], s[38:39]
; %bb.25237:                            ;   in Loop: Header=BB6_24817 Depth=3
	v_or_b32_e32 v30, 0x7b, v8
; %bb.25238:                            ;   in Loop: Header=BB6_24817 Depth=3
	s_or_b64 exec, exec, s[40:41]
                                        ; implicit-def: $vgpr6
                                        ; implicit-def: $vgpr0_vgpr1
.LBB6_25239:                            ;   in Loop: Header=BB6_24817 Depth=3
	s_andn2_saveexec_b64 s[40:41], s[42:43]
	s_cbranch_execz .LBB6_25245
; %bb.25240:                            ;   in Loop: Header=BB6_24817 Depth=3
	v_cmp_ne_u64_e32 vcc, 0, v[0:1]
                                        ; implicit-def: $vgpr30
	s_and_saveexec_b64 s[42:43], vcc
	s_xor_b64 s[42:43], exec, s[42:43]
; %bb.25241:                            ;   in Loop: Header=BB6_24817 Depth=3
	v_or_b32_sdwa v30, v6, s44 dst_sel:DWORD dst_unused:UNUSED_PAD src0_sel:BYTE_3 src1_sel:DWORD
                                        ; implicit-def: $vgpr6
; %bb.25242:                            ;   in Loop: Header=BB6_24817 Depth=3
	s_andn2_saveexec_b64 s[42:43], s[42:43]
; %bb.25243:                            ;   in Loop: Header=BB6_24817 Depth=3
	v_cmp_lt_i32_e32 vcc, -1, v6
	v_bfrev_b32_e32 v0, 0.5
	v_mov_b32_e32 v1, 0x7c
	v_cndmask_b32_e32 v30, v0, v1, vcc
; %bb.25244:                            ;   in Loop: Header=BB6_24817 Depth=3
	s_or_b64 exec, exec, s[42:43]
.LBB6_25245:                            ;   in Loop: Header=BB6_24817 Depth=3
	s_or_b64 exec, exec, s[40:41]
	v_cmp_lt_u64_e32 vcc, s[56:57], v[10:11]
	v_mov_b32_e32 v1, 0
	s_and_saveexec_b64 s[40:41], vcc
	s_cbranch_execz .LBB6_25253
; %bb.25246:                            ;   in Loop: Header=BB6_24817 Depth=3
	v_lshrrev_b32_e32 v0, 24, v11
	v_cmp_ne_u32_e32 vcc, s97, v0
	v_bfrev_b32_e32 v1, 1
	s_and_saveexec_b64 s[42:43], vcc
	s_cbranch_execz .LBB6_25252
; %bb.25247:                            ;   in Loop: Header=BB6_24817 Depth=3
	v_and_b32_e32 v1, 0x7c000000, v11
	v_bfe_u32 v6, v11, 24, 2
	v_cmp_ne_u32_e32 vcc, s68, v1
                                        ; implicit-def: $vgpr1
	s_and_saveexec_b64 s[62:63], vcc
	s_xor_b64 s[38:39], exec, s[62:63]
	s_cbranch_execz .LBB6_25249
; %bb.25248:                            ;   in Loop: Header=BB6_24817 Depth=3
	v_ffbh_u32_e32 v1, v6
	v_min_u32_e32 v8, 32, v1
	v_subrev_u32_e32 v1, 29, v8
	v_lshlrev_b64 v[0:1], v1, v[0:1]
	v_bfe_u32 v7, v11, 26, 5
	v_sub_u32_e32 v1, 30, v8
	v_and_b32_e32 v0, 3, v0
	v_cmp_eq_u32_e32 vcc, 0, v7
	v_cndmask_b32_e32 v1, v7, v1, vcc
	v_cndmask_b32_e32 v0, v6, v0, vcc
	v_and_b32_e32 v6, 0x80000000, v11
	v_lshl_add_u32 v1, v1, 23, v6
	v_lshl_or_b32 v0, v0, 21, v1
	v_add_u32_e32 v1, 0x38000000, v0
                                        ; implicit-def: $vgpr6
                                        ; implicit-def: $vgpr10_vgpr11
.LBB6_25249:                            ;   in Loop: Header=BB6_24817 Depth=3
	s_andn2_saveexec_b64 s[38:39], s[38:39]
; %bb.25250:                            ;   in Loop: Header=BB6_24817 Depth=3
	v_cmp_lt_i64_e32 vcc, -1, v[10:11]
	v_mov_b32_e32 v0, 0xff800000
	v_mov_b32_e32 v1, 0x7f800000
	v_cndmask_b32_e32 v0, v0, v1, vcc
	v_cmp_eq_u32_e32 vcc, 0, v6
	v_mov_b32_e32 v1, 0x7f800001
	v_cndmask_b32_e32 v1, v1, v0, vcc
; %bb.25251:                            ;   in Loop: Header=BB6_24817 Depth=3
	s_or_b64 exec, exec, s[38:39]
.LBB6_25252:                            ;   in Loop: Header=BB6_24817 Depth=3
	s_or_b64 exec, exec, s[42:43]
.LBB6_25253:                            ;   in Loop: Header=BB6_24817 Depth=3
	s_or_b64 exec, exec, s[40:41]
	v_mul_f32_e32 v6, v26, v1
	v_and_b32_e32 v7, 0x7f800000, v6
	v_mov_b32_e32 v8, v33
	v_cmp_ne_u64_e32 vcc, s[76:77], v[7:8]
	v_and_b32_e32 v0, 0x7fffff, v6
	v_mov_b32_e32 v1, v33
                                        ; implicit-def: $vgpr34
	s_and_saveexec_b64 s[40:41], vcc
	s_xor_b64 s[42:43], exec, s[40:41]
	s_cbranch_execz .LBB6_25267
; %bb.25254:                            ;   in Loop: Header=BB6_24817 Depth=3
	v_and_b32_e32 v7, 0x7fffffff, v6
	v_mov_b32_e32 v8, v33
	v_cmp_gt_u64_e32 vcc, s[78:79], v[7:8]
	v_and_b32_sdwa v8, v6, s97 dst_sel:DWORD dst_unused:UNUSED_PAD src0_sel:BYTE_3 src1_sel:DWORD
                                        ; implicit-def: $vgpr34
	s_and_saveexec_b64 s[40:41], vcc
	s_xor_b64 s[38:39], exec, s[40:41]
	s_cbranch_execz .LBB6_25264
; %bb.25255:                            ;   in Loop: Header=BB6_24817 Depth=3
	v_mov_b32_e32 v34, 0
	v_cmp_ne_u32_e32 vcc, 0, v6
	s_and_saveexec_b64 s[48:49], vcc
	s_cbranch_execz .LBB6_25263
; %bb.25256:                            ;   in Loop: Header=BB6_24817 Depth=3
	v_bfe_u32 v9, v6, 23, 8
	v_cmp_gt_u32_e64 s[40:41], s47, v9
	v_sub_u32_e32 v6, 0x71, v9
	v_cmp_eq_u32_e32 vcc, 0, v9
	v_cndmask_b32_e64 v6, 0, v6, s[40:41]
	v_mov_b32_e32 v10, 0x70
	v_cndmask_b32_e32 v10, v6, v10, vcc
	v_or_b32_e32 v7, 0x800000, v0
	v_add_u32_e32 v6, 21, v10
	v_cndmask_b32_e32 v0, v7, v0, vcc
	v_lshlrev_b64 v[6:7], v6, -1
	v_add_u32_e32 v11, 20, v10
	v_bfi_b32 v6, v6, 0, v0
	v_lshlrev_b64 v[14:15], v11, 1
	v_lshrrev_b64 v[0:1], v10, v[0:1]
	v_bfi_b32 v7, v7, 0, 0
	v_cmp_eq_u64_e64 s[40:41], v[6:7], v[14:15]
	v_mov_b32_e32 v7, v1
	v_mov_b32_e32 v6, v0
	s_and_saveexec_b64 s[50:51], s[40:41]
; %bb.25257:                            ;   in Loop: Header=BB6_24817 Depth=3
	v_bfe_u32 v1, v0, 21, 1
	v_add_co_u32_e64 v1, s[40:41], v0, v1
	v_add_co_u32_e64 v6, s[40:41], -1, v1
; %bb.25258:                            ;   in Loop: Header=BB6_24817 Depth=3
	s_or_b64 exec, exec, s[50:51]
	v_add_u32_e32 v1, 0xffffff81, v9
	v_mov_b32_e32 v7, 0xffffff82
	v_cndmask_b32_e32 v1, v1, v7, vcc
	v_lshrrev_b32_e32 v7, 23, v0
	v_add3_u32 v9, v10, v1, v7
	v_add_u32_e32 v7, 14, v9
	v_and_b32_e32 v1, 0x1fffff, v6
	v_add_u32_e32 v0, v1, v0
	v_mov_b32_e32 v1, v33
	v_cmp_ne_u32_e32 vcc, 0, v7
                                        ; implicit-def: $vgpr6
	s_and_saveexec_b64 s[40:41], vcc
	s_xor_b64 s[40:41], exec, s[40:41]
; %bb.25259:                            ;   in Loop: Header=BB6_24817 Depth=3
	v_cmp_lt_u64_e32 vcc, s[88:89], v[0:1]
	v_add_u32_e32 v6, 15, v9
	v_cndmask_b32_e32 v6, v7, v6, vcc
	v_cndmask_b32_e64 v7, 0, 1, vcc
	v_lshrrev_b64 v[0:1], v7, v[0:1]
; %bb.25260:                            ;   in Loop: Header=BB6_24817 Depth=3
	s_andn2_saveexec_b64 s[40:41], s[40:41]
; %bb.25261:                            ;   in Loop: Header=BB6_24817 Depth=3
	v_bfe_u32 v6, v0, 23, 1
; %bb.25262:                            ;   in Loop: Header=BB6_24817 Depth=3
	s_or_b64 exec, exec, s[40:41]
	v_lshrrev_b64 v[0:1], 21, v[0:1]
	v_cmp_gt_i32_e32 vcc, 32, v6
	v_cndmask_b32_e32 v1, 0, v1, vcc
	v_cndmask_b32_e32 v0, 3, v0, vcc
	v_cmp_eq_u64_e64 s[40:41], 0, v[0:1]
	v_min_i32_e32 v1, 31, v6
	v_lshlrev_b32_e32 v1, 2, v1
	v_cmp_eq_u32_e32 vcc, 0, v6
	v_and_b32_e32 v1, 0xfc, v1
	v_and_or_b32 v0, v0, 3, v1
	s_and_b64 s[40:41], vcc, s[40:41]
	v_cndmask_b32_e64 v0, v0, 0, s[40:41]
	v_or_b32_e32 v34, v0, v8
.LBB6_25263:                            ;   in Loop: Header=BB6_24817 Depth=3
	s_or_b64 exec, exec, s[48:49]
                                        ; implicit-def: $vgpr8
.LBB6_25264:                            ;   in Loop: Header=BB6_24817 Depth=3
	s_andn2_saveexec_b64 s[40:41], s[38:39]
; %bb.25265:                            ;   in Loop: Header=BB6_24817 Depth=3
	v_or_b32_e32 v34, 0x7b, v8
; %bb.25266:                            ;   in Loop: Header=BB6_24817 Depth=3
	s_or_b64 exec, exec, s[40:41]
                                        ; implicit-def: $vgpr6
                                        ; implicit-def: $vgpr0_vgpr1
.LBB6_25267:                            ;   in Loop: Header=BB6_24817 Depth=3
	s_andn2_saveexec_b64 s[40:41], s[42:43]
	s_cbranch_execz .LBB6_25273
; %bb.25268:                            ;   in Loop: Header=BB6_24817 Depth=3
	v_cmp_ne_u64_e32 vcc, 0, v[0:1]
                                        ; implicit-def: $vgpr34
	s_and_saveexec_b64 s[42:43], vcc
	s_xor_b64 s[42:43], exec, s[42:43]
; %bb.25269:                            ;   in Loop: Header=BB6_24817 Depth=3
	v_or_b32_sdwa v34, v6, s44 dst_sel:DWORD dst_unused:UNUSED_PAD src0_sel:BYTE_3 src1_sel:DWORD
                                        ; implicit-def: $vgpr6
; %bb.25270:                            ;   in Loop: Header=BB6_24817 Depth=3
	s_andn2_saveexec_b64 s[42:43], s[42:43]
; %bb.25271:                            ;   in Loop: Header=BB6_24817 Depth=3
	v_cmp_lt_i32_e32 vcc, -1, v6
	v_bfrev_b32_e32 v0, 0.5
	v_mov_b32_e32 v1, 0x7c
	v_cndmask_b32_e32 v34, v0, v1, vcc
; %bb.25272:                            ;   in Loop: Header=BB6_24817 Depth=3
	s_or_b64 exec, exec, s[42:43]
.LBB6_25273:                            ;   in Loop: Header=BB6_24817 Depth=3
	s_or_b64 exec, exec, s[40:41]
	global_load_dwordx4 v[8:11], v[4:5], off glc slc
	v_lshl_or_b32 v26, v29, 8, v24
	v_lshlrev_b32_e32 v0, 16, v32
	v_lshlrev_b32_e32 v1, 24, v48
	v_or3_b32 v0, v0, v1, v26
	v_mov_b32_e32 v1, v33
	v_cmp_ne_u32_e32 vcc, 0, v24
	v_mov_b32_e32 v6, 0
	s_and_saveexec_b64 s[42:43], vcc
	s_cbranch_execz .LBB6_25281
; %bb.25274:                            ;   in Loop: Header=BB6_24817 Depth=3
	v_cmp_ne_u32_e32 vcc, s97, v24
	v_bfrev_b32_e32 v6, 1
	s_and_saveexec_b64 s[38:39], vcc
	s_cbranch_execz .LBB6_25280
; %bb.25275:                            ;   in Loop: Header=BB6_24817 Depth=3
	v_and_b32_e32 v6, 0x7c, v24
	v_and_b32_e32 v7, 3, v24
	v_cmp_ne_u32_e32 vcc, s86, v6
                                        ; implicit-def: $vgpr6
	s_and_saveexec_b64 s[40:41], vcc
	s_xor_b64 s[40:41], exec, s[40:41]
	s_cbranch_execz .LBB6_25277
; %bb.25276:                            ;   in Loop: Header=BB6_24817 Depth=3
	v_ffbh_u32_e32 v14, v7
	v_min_u32_e32 v29, 32, v14
	v_subrev_u32_e32 v14, 29, v29
	v_lshlrev_b64 v[14:15], v14, v[0:1]
	v_bfe_u32 v6, v24, 2, 5
	v_sub_u32_e32 v1, 30, v29
	v_and_b32_e32 v14, 3, v14
	v_cmp_eq_u32_e32 vcc, 0, v6
	v_cndmask_b32_e32 v1, v6, v1, vcc
	v_cndmask_b32_e32 v6, v7, v14, vcc
	v_lshlrev_b32_e32 v7, 24, v24
	v_and_b32_e32 v7, 0x80000000, v7
	v_lshl_add_u32 v1, v1, 23, v7
	v_lshl_or_b32 v1, v6, 21, v1
	v_add_u32_e32 v6, 0x38000000, v1
                                        ; implicit-def: $vgpr7
                                        ; implicit-def: $vgpr24
.LBB6_25277:                            ;   in Loop: Header=BB6_24817 Depth=3
	s_andn2_saveexec_b64 s[48:49], s[40:41]
; %bb.25278:                            ;   in Loop: Header=BB6_24817 Depth=3
	v_and_b32_e32 v1, 0x80, v24
	v_cmp_eq_u32_e64 s[40:41], 0, v1
	v_mov_b32_e32 v1, 0xff800000
	v_mov_b32_e32 v6, 0x7f800000
	v_cmp_eq_u32_e32 vcc, 0, v7
	v_cndmask_b32_e64 v1, v1, v6, s[40:41]
	v_mov_b32_e32 v6, 0x7f800001
	v_cndmask_b32_e32 v6, v6, v1, vcc
; %bb.25279:                            ;   in Loop: Header=BB6_24817 Depth=3
	s_or_b64 exec, exec, s[48:49]
.LBB6_25280:                            ;   in Loop: Header=BB6_24817 Depth=3
	s_or_b64 exec, exec, s[38:39]
.LBB6_25281:                            ;   in Loop: Header=BB6_24817 Depth=3
	s_or_b64 exec, exec, s[42:43]
	s_waitcnt vmcnt(0)
	v_cmp_gt_i16_sdwa s[42:43], v8, s44 src0_sel:BYTE_0 src1_sel:DWORD
	s_mov_b64 s[40:41], 0
	s_and_saveexec_b64 s[62:63], s[42:43]
	s_xor_b64 s[42:43], exec, s[62:63]
	s_cbranch_execz .LBB6_25796
; %bb.25282:                            ;   in Loop: Header=BB6_24817 Depth=3
	v_cmp_eq_u16_sdwa s[62:63], v8, s97 src0_sel:BYTE_0 src1_sel:DWORD
	s_mov_b64 s[40:41], -1
	s_and_saveexec_b64 vcc, s[62:63]
; %bb.25283:                            ;   in Loop: Header=BB6_24817 Depth=3
	s_xor_b64 s[40:41], exec, -1
; %bb.25284:                            ;   in Loop: Header=BB6_24817 Depth=3
	s_or_b64 exec, exec, vcc
	s_and_b64 s[40:41], s[40:41], exec
	s_or_saveexec_b64 s[42:43], s[42:43]
	v_bfrev_b32_e32 v1, 1
	s_xor_b64 exec, exec, s[42:43]
	s_cbranch_execnz .LBB6_25797
.LBB6_25285:                            ;   in Loop: Header=BB6_24817 Depth=3
	s_or_b64 exec, exec, s[42:43]
	s_and_saveexec_b64 s[38:39], s[40:41]
	s_cbranch_execz .LBB6_25287
.LBB6_25286:                            ;   in Loop: Header=BB6_24817 Depth=3
	v_and_b32_e32 v1, 3, v8
	v_and_b32_e32 v14, 0x7c, v8
	v_cmp_eq_u32_e32 vcc, s86, v14
	v_ffbh_u32_e32 v14, v1
	v_min_u32_e32 v24, 32, v14
	v_subrev_u32_e32 v14, 29, v24
	v_bfe_u32 v7, v8, 2, 5
	v_lshlrev_b64 v[14:15], v14, v[8:9]
	v_cmp_eq_u32_e64 s[40:41], 0, v7
	v_sub_u32_e32 v15, 30, v24
	v_cndmask_b32_e64 v7, v7, v15, s[40:41]
	v_lshlrev_b32_e32 v15, 24, v8
	v_and_b32_e32 v14, 3, v14
	v_and_b32_e32 v15, 0x80000000, v15
	v_cndmask_b32_e64 v14, v1, v14, s[40:41]
	v_lshl_add_u32 v7, v7, 23, v15
	v_cmp_eq_u32_e64 s[40:41], 0, v1
	v_mov_b32_e32 v1, -1
	v_lshl_or_b32 v7, v14, 21, v7
	v_cmp_gt_i16_sdwa s[42:43], sext(v8), v1 src0_sel:BYTE_0 src1_sel:DWORD
	v_mov_b32_e32 v1, 0xff800000
	v_mov_b32_e32 v14, 0x7f800000
	v_cndmask_b32_e64 v1, v1, v14, s[42:43]
	v_mov_b32_e32 v14, 0x7f800001
	v_add_u32_e32 v7, 0x38000000, v7
	v_cndmask_b32_e64 v1, v14, v1, s[40:41]
	v_cndmask_b32_e32 v1, v7, v1, vcc
.LBB6_25287:                            ;   in Loop: Header=BB6_24817 Depth=3
	s_or_b64 exec, exec, s[38:39]
	v_add_f32_e32 v14, v6, v1
	v_and_b32_e32 v48, 0x7f800000, v14
	v_mov_b32_e32 v49, v33
	v_cmp_ne_u64_e32 vcc, s[76:77], v[48:49]
	v_and_b32_e32 v6, 0x7fffff, v14
	v_mov_b32_e32 v7, v33
                                        ; implicit-def: $vgpr24
	s_and_saveexec_b64 s[40:41], vcc
	s_xor_b64 s[42:43], exec, s[40:41]
	s_cbranch_execz .LBB6_25301
; %bb.25288:                            ;   in Loop: Header=BB6_24817 Depth=3
	v_and_b32_e32 v48, 0x7fffffff, v14
	v_mov_b32_e32 v49, v33
	v_cmp_gt_u64_e32 vcc, s[78:79], v[48:49]
	v_and_b32_sdwa v1, v14, s97 dst_sel:DWORD dst_unused:UNUSED_PAD src0_sel:BYTE_3 src1_sel:DWORD
                                        ; implicit-def: $vgpr24
	s_and_saveexec_b64 s[40:41], vcc
	s_xor_b64 s[38:39], exec, s[40:41]
	s_cbranch_execz .LBB6_25298
; %bb.25289:                            ;   in Loop: Header=BB6_24817 Depth=3
	v_mov_b32_e32 v24, 0
	v_cmp_ne_u32_e32 vcc, 0, v14
	s_and_saveexec_b64 s[48:49], vcc
	s_cbranch_execz .LBB6_25297
; %bb.25290:                            ;   in Loop: Header=BB6_24817 Depth=3
	v_bfe_u32 v24, v14, 23, 8
	v_cmp_gt_u32_e64 s[40:41], s47, v24
	v_sub_u32_e32 v14, 0x71, v24
	v_cmp_eq_u32_e32 vcc, 0, v24
	v_cndmask_b32_e64 v14, 0, v14, s[40:41]
	v_mov_b32_e32 v29, 0x70
	v_cndmask_b32_e32 v29, v14, v29, vcc
	v_or_b32_e32 v15, 0x800000, v6
	v_add_u32_e32 v14, 21, v29
	v_cndmask_b32_e32 v6, v15, v6, vcc
	v_lshlrev_b64 v[14:15], v14, -1
	v_add_u32_e32 v32, 20, v29
	v_bfi_b32 v14, v14, 0, v6
	v_lshlrev_b64 v[48:49], v32, 1
	v_lshrrev_b64 v[6:7], v29, v[6:7]
	v_bfi_b32 v15, v15, 0, 0
	v_cmp_eq_u64_e64 s[40:41], v[14:15], v[48:49]
	v_mov_b32_e32 v15, v7
	v_mov_b32_e32 v14, v6
	s_and_saveexec_b64 s[50:51], s[40:41]
; %bb.25291:                            ;   in Loop: Header=BB6_24817 Depth=3
	v_bfe_u32 v7, v6, 21, 1
	v_add_co_u32_e64 v7, s[40:41], v6, v7
	v_add_co_u32_e64 v14, s[40:41], -1, v7
; %bb.25292:                            ;   in Loop: Header=BB6_24817 Depth=3
	s_or_b64 exec, exec, s[50:51]
	v_add_u32_e32 v7, 0xffffff81, v24
	v_mov_b32_e32 v15, 0xffffff82
	v_cndmask_b32_e32 v7, v7, v15, vcc
	v_lshrrev_b32_e32 v15, 23, v6
	v_add3_u32 v24, v29, v7, v15
	v_add_u32_e32 v15, 14, v24
	v_and_b32_e32 v7, 0x1fffff, v14
	v_add_u32_e32 v6, v7, v6
	v_mov_b32_e32 v7, v33
	v_cmp_ne_u32_e32 vcc, 0, v15
                                        ; implicit-def: $vgpr14
	s_and_saveexec_b64 s[40:41], vcc
	s_xor_b64 s[40:41], exec, s[40:41]
; %bb.25293:                            ;   in Loop: Header=BB6_24817 Depth=3
	v_cmp_lt_u64_e32 vcc, s[88:89], v[6:7]
	v_add_u32_e32 v14, 15, v24
	v_cndmask_b32_e32 v14, v15, v14, vcc
	v_cndmask_b32_e64 v15, 0, 1, vcc
	v_lshrrev_b64 v[6:7], v15, v[6:7]
; %bb.25294:                            ;   in Loop: Header=BB6_24817 Depth=3
	s_andn2_saveexec_b64 s[40:41], s[40:41]
; %bb.25295:                            ;   in Loop: Header=BB6_24817 Depth=3
	v_bfe_u32 v14, v6, 23, 1
; %bb.25296:                            ;   in Loop: Header=BB6_24817 Depth=3
	s_or_b64 exec, exec, s[40:41]
	v_lshrrev_b64 v[6:7], 21, v[6:7]
	v_cmp_gt_i32_e32 vcc, 32, v14
	v_cndmask_b32_e32 v7, 0, v7, vcc
	v_cndmask_b32_e32 v6, 3, v6, vcc
	v_cmp_eq_u64_e64 s[40:41], 0, v[6:7]
	v_min_i32_e32 v7, 31, v14
	v_lshlrev_b32_e32 v7, 2, v7
	v_cmp_eq_u32_e32 vcc, 0, v14
	v_and_b32_e32 v7, 0xfc, v7
	v_and_or_b32 v6, v6, 3, v7
	s_and_b64 s[40:41], vcc, s[40:41]
	v_cndmask_b32_e64 v6, v6, 0, s[40:41]
	v_or_b32_e32 v24, v6, v1
.LBB6_25297:                            ;   in Loop: Header=BB6_24817 Depth=3
	s_or_b64 exec, exec, s[48:49]
                                        ; implicit-def: $vgpr1
.LBB6_25298:                            ;   in Loop: Header=BB6_24817 Depth=3
	s_andn2_saveexec_b64 s[40:41], s[38:39]
; %bb.25299:                            ;   in Loop: Header=BB6_24817 Depth=3
	v_or_b32_e32 v24, 0x7b, v1
; %bb.25300:                            ;   in Loop: Header=BB6_24817 Depth=3
	s_or_b64 exec, exec, s[40:41]
                                        ; implicit-def: $vgpr14
                                        ; implicit-def: $vgpr6_vgpr7
.LBB6_25301:                            ;   in Loop: Header=BB6_24817 Depth=3
	s_andn2_saveexec_b64 s[40:41], s[42:43]
	s_cbranch_execz .LBB6_25307
; %bb.25302:                            ;   in Loop: Header=BB6_24817 Depth=3
	v_cmp_ne_u64_e32 vcc, 0, v[6:7]
                                        ; implicit-def: $vgpr24
	s_and_saveexec_b64 s[42:43], vcc
	s_xor_b64 s[42:43], exec, s[42:43]
; %bb.25303:                            ;   in Loop: Header=BB6_24817 Depth=3
	v_or_b32_sdwa v24, v14, s44 dst_sel:DWORD dst_unused:UNUSED_PAD src0_sel:BYTE_3 src1_sel:DWORD
                                        ; implicit-def: $vgpr14
; %bb.25304:                            ;   in Loop: Header=BB6_24817 Depth=3
	s_andn2_saveexec_b64 s[42:43], s[42:43]
; %bb.25305:                            ;   in Loop: Header=BB6_24817 Depth=3
	v_cmp_lt_i32_e32 vcc, -1, v14
	v_bfrev_b32_e32 v1, 0.5
	v_mov_b32_e32 v6, 0x7c
	v_cndmask_b32_e32 v24, v1, v6, vcc
; %bb.25306:                            ;   in Loop: Header=BB6_24817 Depth=3
	s_or_b64 exec, exec, s[42:43]
.LBB6_25307:                            ;   in Loop: Header=BB6_24817 Depth=3
	s_or_b64 exec, exec, s[40:41]
	v_lshrrev_b16_e32 v6, 8, v26
	v_cmp_ne_u16_e32 vcc, 0, v6
	v_mov_b32_e32 v1, 0
	s_and_saveexec_b64 s[40:41], vcc
	s_cbranch_execz .LBB6_25315
; %bb.25308:                            ;   in Loop: Header=BB6_24817 Depth=3
	v_cmp_ne_u16_e32 vcc, s97, v6
	v_bfrev_b32_e32 v1, 1
	s_and_saveexec_b64 s[42:43], vcc
	s_cbranch_execz .LBB6_25314
; %bb.25309:                            ;   in Loop: Header=BB6_24817 Depth=3
	v_and_b32_e32 v1, 0x7c, v6
	v_and_b32_e32 v14, 3, v6
	v_cmp_ne_u32_e32 vcc, s86, v1
                                        ; implicit-def: $vgpr1
	s_and_saveexec_b64 s[62:63], vcc
	s_xor_b64 s[38:39], exec, s[62:63]
	s_cbranch_execz .LBB6_25311
; %bb.25310:                            ;   in Loop: Header=BB6_24817 Depth=3
	v_ffbh_u32_e32 v15, v14
	v_min_u32_e32 v15, 32, v15
	v_mov_b32_e32 v7, v33
	v_subrev_u32_e32 v29, 29, v15
	v_bfe_u32 v1, v6, 2, 5
	v_lshlrev_b64 v[6:7], v29, v[6:7]
	v_sub_u32_e32 v7, 30, v15
	v_cmp_eq_u32_e32 vcc, 0, v1
	v_cndmask_b32_e32 v1, v1, v7, vcc
	v_lshlrev_b32_e32 v7, 16, v26
	v_and_b32_e32 v6, 3, v6
	v_and_b32_e32 v7, 0x80000000, v7
	v_cndmask_b32_e32 v6, v14, v6, vcc
	v_lshl_add_u32 v1, v1, 23, v7
	v_lshl_or_b32 v1, v6, 21, v1
	v_add_u32_e32 v1, 0x38000000, v1
                                        ; implicit-def: $vgpr14
                                        ; implicit-def: $vgpr26
.LBB6_25311:                            ;   in Loop: Header=BB6_24817 Depth=3
	s_andn2_saveexec_b64 s[38:39], s[38:39]
; %bb.25312:                            ;   in Loop: Header=BB6_24817 Depth=3
	v_cmp_lt_i16_e32 vcc, -1, v26
	v_mov_b32_e32 v1, 0xff800000
	v_mov_b32_e32 v6, 0x7f800000
	v_cndmask_b32_e32 v1, v1, v6, vcc
	v_cmp_eq_u32_e32 vcc, 0, v14
	v_mov_b32_e32 v6, 0x7f800001
	v_cndmask_b32_e32 v1, v6, v1, vcc
; %bb.25313:                            ;   in Loop: Header=BB6_24817 Depth=3
	s_or_b64 exec, exec, s[38:39]
.LBB6_25314:                            ;   in Loop: Header=BB6_24817 Depth=3
	s_or_b64 exec, exec, s[42:43]
.LBB6_25315:                            ;   in Loop: Header=BB6_24817 Depth=3
	s_or_b64 exec, exec, s[40:41]
	v_lshrrev_b16_e32 v6, 8, v8
	v_cmp_lt_i16_e32 vcc, s44, v6
	s_mov_b64 s[40:41], 0
	s_and_saveexec_b64 s[42:43], vcc
	s_xor_b64 s[42:43], exec, s[42:43]
	s_cbranch_execz .LBB6_25798
; %bb.25316:                            ;   in Loop: Header=BB6_24817 Depth=3
	v_cmp_eq_u16_e32 vcc, s97, v6
	s_mov_b64 s[40:41], -1
	s_and_saveexec_b64 s[38:39], vcc
; %bb.25317:                            ;   in Loop: Header=BB6_24817 Depth=3
	s_xor_b64 s[40:41], exec, -1
; %bb.25318:                            ;   in Loop: Header=BB6_24817 Depth=3
	s_or_b64 exec, exec, s[38:39]
	s_and_b64 s[40:41], s[40:41], exec
	s_or_saveexec_b64 s[42:43], s[42:43]
	v_bfrev_b32_e32 v7, 1
	s_xor_b64 exec, exec, s[42:43]
	s_cbranch_execnz .LBB6_25799
.LBB6_25319:                            ;   in Loop: Header=BB6_24817 Depth=3
	s_or_b64 exec, exec, s[42:43]
	s_and_saveexec_b64 s[38:39], s[40:41]
	s_cbranch_execz .LBB6_25321
.LBB6_25320:                            ;   in Loop: Header=BB6_24817 Depth=3
	v_and_b32_e32 v26, 3, v6
	v_and_b32_e32 v14, 0x7c, v6
	v_cmp_eq_u32_e32 vcc, s86, v14
	v_ffbh_u32_e32 v14, v26
	v_min_u32_e32 v32, 32, v14
	v_mov_b32_e32 v7, v33
	v_subrev_u32_e32 v14, 29, v32
	v_bfe_u32 v29, v6, 2, 5
	v_lshlrev_b64 v[14:15], v14, v[6:7]
	v_cmp_eq_u32_e64 s[40:41], 0, v29
	v_sub_u32_e32 v7, 30, v32
	v_lshlrev_b32_e32 v6, 24, v6
	v_and_b32_e32 v14, 3, v14
	v_cndmask_b32_e64 v7, v29, v7, s[40:41]
	v_and_b32_e32 v6, 0x80000000, v6
	v_cndmask_b32_e64 v14, v26, v14, s[40:41]
	v_lshl_add_u32 v6, v7, 23, v6
	v_lshl_or_b32 v6, v14, 21, v6
	v_cmp_lt_i16_e64 s[42:43], -1, v8
	v_mov_b32_e32 v7, 0xff800000
	v_mov_b32_e32 v14, 0x7f800000
	v_cmp_eq_u32_e64 s[40:41], 0, v26
	v_cndmask_b32_e64 v7, v7, v14, s[42:43]
	v_mov_b32_e32 v14, 0x7f800001
	v_add_u32_e32 v6, 0x38000000, v6
	v_cndmask_b32_e64 v7, v14, v7, s[40:41]
	v_cndmask_b32_e32 v7, v6, v7, vcc
.LBB6_25321:                            ;   in Loop: Header=BB6_24817 Depth=3
	s_or_b64 exec, exec, s[38:39]
	v_add_f32_e32 v14, v1, v7
	v_and_b32_e32 v48, 0x7f800000, v14
	v_mov_b32_e32 v49, v33
	v_cmp_ne_u64_e32 vcc, s[76:77], v[48:49]
	v_and_b32_e32 v6, 0x7fffff, v14
	v_mov_b32_e32 v7, v33
                                        ; implicit-def: $vgpr26
	s_and_saveexec_b64 s[40:41], vcc
	s_xor_b64 s[42:43], exec, s[40:41]
	s_cbranch_execz .LBB6_25335
; %bb.25322:                            ;   in Loop: Header=BB6_24817 Depth=3
	v_and_b32_e32 v48, 0x7fffffff, v14
	v_mov_b32_e32 v49, v33
	v_cmp_gt_u64_e32 vcc, s[78:79], v[48:49]
	v_and_b32_sdwa v1, v14, s97 dst_sel:DWORD dst_unused:UNUSED_PAD src0_sel:BYTE_3 src1_sel:DWORD
                                        ; implicit-def: $vgpr26
	s_and_saveexec_b64 s[40:41], vcc
	s_xor_b64 s[38:39], exec, s[40:41]
	s_cbranch_execz .LBB6_25332
; %bb.25323:                            ;   in Loop: Header=BB6_24817 Depth=3
	v_mov_b32_e32 v26, 0
	v_cmp_ne_u32_e32 vcc, 0, v14
	s_and_saveexec_b64 s[48:49], vcc
	s_cbranch_execz .LBB6_25331
; %bb.25324:                            ;   in Loop: Header=BB6_24817 Depth=3
	v_bfe_u32 v26, v14, 23, 8
	v_cmp_gt_u32_e64 s[40:41], s47, v26
	v_sub_u32_e32 v14, 0x71, v26
	v_cmp_eq_u32_e32 vcc, 0, v26
	v_cndmask_b32_e64 v14, 0, v14, s[40:41]
	v_mov_b32_e32 v29, 0x70
	v_cndmask_b32_e32 v29, v14, v29, vcc
	v_or_b32_e32 v15, 0x800000, v6
	v_add_u32_e32 v14, 21, v29
	v_cndmask_b32_e32 v6, v15, v6, vcc
	v_lshlrev_b64 v[14:15], v14, -1
	v_add_u32_e32 v32, 20, v29
	v_bfi_b32 v14, v14, 0, v6
	v_lshlrev_b64 v[48:49], v32, 1
	v_lshrrev_b64 v[6:7], v29, v[6:7]
	v_bfi_b32 v15, v15, 0, 0
	v_cmp_eq_u64_e64 s[40:41], v[14:15], v[48:49]
	v_mov_b32_e32 v15, v7
	v_mov_b32_e32 v14, v6
	s_and_saveexec_b64 s[50:51], s[40:41]
; %bb.25325:                            ;   in Loop: Header=BB6_24817 Depth=3
	v_bfe_u32 v7, v6, 21, 1
	v_add_co_u32_e64 v7, s[40:41], v6, v7
	v_add_co_u32_e64 v14, s[40:41], -1, v7
; %bb.25326:                            ;   in Loop: Header=BB6_24817 Depth=3
	s_or_b64 exec, exec, s[50:51]
	v_add_u32_e32 v7, 0xffffff81, v26
	v_mov_b32_e32 v15, 0xffffff82
	v_cndmask_b32_e32 v7, v7, v15, vcc
	v_lshrrev_b32_e32 v15, 23, v6
	v_add3_u32 v26, v29, v7, v15
	v_add_u32_e32 v15, 14, v26
	v_and_b32_e32 v7, 0x1fffff, v14
	v_add_u32_e32 v6, v7, v6
	v_mov_b32_e32 v7, v33
	v_cmp_ne_u32_e32 vcc, 0, v15
                                        ; implicit-def: $vgpr14
	s_and_saveexec_b64 s[40:41], vcc
	s_xor_b64 s[40:41], exec, s[40:41]
; %bb.25327:                            ;   in Loop: Header=BB6_24817 Depth=3
	v_cmp_lt_u64_e32 vcc, s[88:89], v[6:7]
	v_add_u32_e32 v14, 15, v26
	v_cndmask_b32_e32 v14, v15, v14, vcc
	v_cndmask_b32_e64 v15, 0, 1, vcc
	v_lshrrev_b64 v[6:7], v15, v[6:7]
; %bb.25328:                            ;   in Loop: Header=BB6_24817 Depth=3
	s_andn2_saveexec_b64 s[40:41], s[40:41]
; %bb.25329:                            ;   in Loop: Header=BB6_24817 Depth=3
	v_bfe_u32 v14, v6, 23, 1
; %bb.25330:                            ;   in Loop: Header=BB6_24817 Depth=3
	s_or_b64 exec, exec, s[40:41]
	v_lshrrev_b64 v[6:7], 21, v[6:7]
	v_cmp_gt_i32_e32 vcc, 32, v14
	v_cndmask_b32_e32 v7, 0, v7, vcc
	v_cndmask_b32_e32 v6, 3, v6, vcc
	v_cmp_eq_u64_e64 s[40:41], 0, v[6:7]
	v_min_i32_e32 v7, 31, v14
	v_lshlrev_b32_e32 v7, 2, v7
	v_cmp_eq_u32_e32 vcc, 0, v14
	v_and_b32_e32 v7, 0xfc, v7
	v_and_or_b32 v6, v6, 3, v7
	s_and_b64 s[40:41], vcc, s[40:41]
	v_cndmask_b32_e64 v6, v6, 0, s[40:41]
	v_or_b32_e32 v26, v6, v1
.LBB6_25331:                            ;   in Loop: Header=BB6_24817 Depth=3
	s_or_b64 exec, exec, s[48:49]
                                        ; implicit-def: $vgpr1
.LBB6_25332:                            ;   in Loop: Header=BB6_24817 Depth=3
	s_andn2_saveexec_b64 s[40:41], s[38:39]
; %bb.25333:                            ;   in Loop: Header=BB6_24817 Depth=3
	v_or_b32_e32 v26, 0x7b, v1
; %bb.25334:                            ;   in Loop: Header=BB6_24817 Depth=3
	s_or_b64 exec, exec, s[40:41]
                                        ; implicit-def: $vgpr14
                                        ; implicit-def: $vgpr6_vgpr7
.LBB6_25335:                            ;   in Loop: Header=BB6_24817 Depth=3
	s_andn2_saveexec_b64 s[40:41], s[42:43]
	s_cbranch_execz .LBB6_25341
; %bb.25336:                            ;   in Loop: Header=BB6_24817 Depth=3
	v_cmp_ne_u64_e32 vcc, 0, v[6:7]
                                        ; implicit-def: $vgpr26
	s_and_saveexec_b64 s[42:43], vcc
	s_xor_b64 s[42:43], exec, s[42:43]
; %bb.25337:                            ;   in Loop: Header=BB6_24817 Depth=3
	v_or_b32_sdwa v26, v14, s44 dst_sel:DWORD dst_unused:UNUSED_PAD src0_sel:BYTE_3 src1_sel:DWORD
                                        ; implicit-def: $vgpr14
; %bb.25338:                            ;   in Loop: Header=BB6_24817 Depth=3
	s_andn2_saveexec_b64 s[42:43], s[42:43]
; %bb.25339:                            ;   in Loop: Header=BB6_24817 Depth=3
	v_cmp_lt_i32_e32 vcc, -1, v14
	v_bfrev_b32_e32 v1, 0.5
	v_mov_b32_e32 v6, 0x7c
	v_cndmask_b32_e32 v26, v1, v6, vcc
; %bb.25340:                            ;   in Loop: Header=BB6_24817 Depth=3
	s_or_b64 exec, exec, s[42:43]
.LBB6_25341:                            ;   in Loop: Header=BB6_24817 Depth=3
	s_or_b64 exec, exec, s[40:41]
	v_and_b32_sdwa v7, v0, s96 dst_sel:DWORD dst_unused:UNUSED_PAD src0_sel:WORD_1 src1_sel:DWORD
	v_lshrrev_b32_e32 v1, 16, v0
	v_cmp_ne_u16_e32 vcc, 0, v7
	v_mov_b32_e32 v6, 0
	s_and_saveexec_b64 s[40:41], vcc
	s_cbranch_execz .LBB6_25349
; %bb.25342:                            ;   in Loop: Header=BB6_24817 Depth=3
	v_cmp_ne_u16_e32 vcc, s97, v7
	v_bfrev_b32_e32 v6, 1
	s_and_saveexec_b64 s[42:43], vcc
	s_cbranch_execz .LBB6_25348
; %bb.25343:                            ;   in Loop: Header=BB6_24817 Depth=3
	v_and_b32_e32 v6, 0x7c0000, v0
	v_bfe_u32 v7, v0, 16, 2
	v_cmp_ne_u32_e32 vcc, s45, v6
                                        ; implicit-def: $vgpr6
	s_and_saveexec_b64 s[62:63], vcc
	s_xor_b64 s[38:39], exec, s[62:63]
	s_cbranch_execz .LBB6_25345
; %bb.25344:                            ;   in Loop: Header=BB6_24817 Depth=3
	v_ffbh_u32_e32 v14, v7
	v_min_u32_e32 v29, 32, v14
	v_lshrrev_b32_e32 v1, 16, v0
	v_subrev_u32_e32 v14, 29, v29
	v_lshlrev_b64 v[14:15], v14, v[1:2]
	v_bfe_u32 v6, v0, 18, 5
	v_sub_u32_e32 v1, 30, v29
	v_and_b32_e32 v14, 3, v14
	v_cmp_eq_u32_e32 vcc, 0, v6
	v_cndmask_b32_e32 v1, v6, v1, vcc
	v_cndmask_b32_e32 v6, v7, v14, vcc
	v_lshlrev_b32_e32 v7, 8, v0
	v_and_b32_e32 v7, 0x80000000, v7
	v_lshl_add_u32 v1, v1, 23, v7
	v_lshl_or_b32 v1, v6, 21, v1
	v_add_u32_e32 v6, 0x38000000, v1
                                        ; implicit-def: $vgpr7
                                        ; implicit-def: $vgpr1
.LBB6_25345:                            ;   in Loop: Header=BB6_24817 Depth=3
	s_andn2_saveexec_b64 s[38:39], s[38:39]
; %bb.25346:                            ;   in Loop: Header=BB6_24817 Depth=3
	v_mov_b32_e32 v6, -1
	v_cmp_gt_i16_sdwa vcc, sext(v1), v6 src0_sel:BYTE_0 src1_sel:DWORD
	v_mov_b32_e32 v1, 0xff800000
	v_mov_b32_e32 v6, 0x7f800000
	v_cndmask_b32_e32 v1, v1, v6, vcc
	v_cmp_eq_u32_e32 vcc, 0, v7
	v_mov_b32_e32 v6, 0x7f800001
	v_cndmask_b32_e32 v6, v6, v1, vcc
; %bb.25347:                            ;   in Loop: Header=BB6_24817 Depth=3
	s_or_b64 exec, exec, s[38:39]
.LBB6_25348:                            ;   in Loop: Header=BB6_24817 Depth=3
	s_or_b64 exec, exec, s[42:43]
.LBB6_25349:                            ;   in Loop: Header=BB6_24817 Depth=3
	s_or_b64 exec, exec, s[40:41]
	v_lshrrev_b32_e32 v1, 16, v8
	v_cmp_gt_i16_sdwa s[42:43], v1, s44 src0_sel:BYTE_0 src1_sel:DWORD
	s_mov_b64 s[40:41], 0
	s_and_saveexec_b64 s[62:63], s[42:43]
	s_xor_b64 s[42:43], exec, s[62:63]
	s_cbranch_execz .LBB6_25800
; %bb.25350:                            ;   in Loop: Header=BB6_24817 Depth=3
	v_cmp_eq_u16_sdwa s[62:63], v1, s97 src0_sel:BYTE_0 src1_sel:DWORD
	s_mov_b64 s[40:41], -1
	s_and_saveexec_b64 vcc, s[62:63]
; %bb.25351:                            ;   in Loop: Header=BB6_24817 Depth=3
	s_xor_b64 s[40:41], exec, -1
; %bb.25352:                            ;   in Loop: Header=BB6_24817 Depth=3
	s_or_b64 exec, exec, vcc
	s_and_b64 s[40:41], s[40:41], exec
	s_or_saveexec_b64 s[42:43], s[42:43]
	v_bfrev_b32_e32 v7, 1
	s_xor_b64 exec, exec, s[42:43]
	s_cbranch_execnz .LBB6_25801
.LBB6_25353:                            ;   in Loop: Header=BB6_24817 Depth=3
	s_or_b64 exec, exec, s[42:43]
	s_and_saveexec_b64 s[38:39], s[40:41]
	s_cbranch_execz .LBB6_25355
.LBB6_25354:                            ;   in Loop: Header=BB6_24817 Depth=3
	v_and_b32_e32 v7, 3, v1
	v_and_b32_e32 v14, 0x7c0000, v8
	v_cmp_eq_u32_e32 vcc, s45, v14
	v_ffbh_u32_e32 v14, v7
	v_min_u32_e32 v32, 32, v14
	v_subrev_u32_e32 v14, 29, v32
	v_bfe_u32 v29, v8, 18, 5
	v_lshlrev_b64 v[14:15], v14, v[1:2]
	v_cmp_eq_u32_e64 s[40:41], 0, v29
	v_sub_u32_e32 v15, 30, v32
	v_and_b32_e32 v14, 3, v14
	v_cndmask_b32_e64 v15, v29, v15, s[40:41]
	v_lshlrev_b32_e32 v29, 24, v1
	v_cndmask_b32_e64 v14, v7, v14, s[40:41]
	v_and_b32_e32 v29, 0x80000000, v29
	v_cmp_eq_u32_e64 s[40:41], 0, v7
	v_mov_b32_e32 v7, -1
	v_lshl_add_u32 v15, v15, 23, v29
	v_cmp_gt_i16_sdwa s[42:43], sext(v1), v7 src0_sel:BYTE_0 src1_sel:DWORD
	v_mov_b32_e32 v1, 0xff800000
	v_mov_b32_e32 v7, 0x7f800000
	v_lshl_or_b32 v14, v14, 21, v15
	v_cndmask_b32_e64 v1, v1, v7, s[42:43]
	v_mov_b32_e32 v7, 0x7f800001
	v_add_u32_e32 v14, 0x38000000, v14
	v_cndmask_b32_e64 v1, v7, v1, s[40:41]
	v_cndmask_b32_e32 v7, v14, v1, vcc
.LBB6_25355:                            ;   in Loop: Header=BB6_24817 Depth=3
	s_or_b64 exec, exec, s[38:39]
	v_add_f32_e32 v14, v6, v7
	v_and_b32_e32 v48, 0x7f800000, v14
	v_mov_b32_e32 v49, v33
	v_cmp_ne_u64_e32 vcc, s[76:77], v[48:49]
	v_and_b32_e32 v6, 0x7fffff, v14
	v_mov_b32_e32 v7, v33
                                        ; implicit-def: $vgpr29
	s_and_saveexec_b64 s[40:41], vcc
	s_xor_b64 s[42:43], exec, s[40:41]
	s_cbranch_execz .LBB6_25369
; %bb.25356:                            ;   in Loop: Header=BB6_24817 Depth=3
	v_and_b32_e32 v48, 0x7fffffff, v14
	v_mov_b32_e32 v49, v33
	v_cmp_gt_u64_e32 vcc, s[78:79], v[48:49]
	v_and_b32_sdwa v1, v14, s97 dst_sel:DWORD dst_unused:UNUSED_PAD src0_sel:BYTE_3 src1_sel:DWORD
                                        ; implicit-def: $vgpr29
	s_and_saveexec_b64 s[40:41], vcc
	s_xor_b64 s[38:39], exec, s[40:41]
	s_cbranch_execz .LBB6_25366
; %bb.25357:                            ;   in Loop: Header=BB6_24817 Depth=3
	v_mov_b32_e32 v29, 0
	v_cmp_ne_u32_e32 vcc, 0, v14
	s_and_saveexec_b64 s[48:49], vcc
	s_cbranch_execz .LBB6_25365
; %bb.25358:                            ;   in Loop: Header=BB6_24817 Depth=3
	v_bfe_u32 v29, v14, 23, 8
	v_cmp_gt_u32_e64 s[40:41], s47, v29
	v_sub_u32_e32 v14, 0x71, v29
	v_cmp_eq_u32_e32 vcc, 0, v29
	v_cndmask_b32_e64 v14, 0, v14, s[40:41]
	v_mov_b32_e32 v32, 0x70
	v_cndmask_b32_e32 v32, v14, v32, vcc
	v_or_b32_e32 v15, 0x800000, v6
	v_add_u32_e32 v14, 21, v32
	v_cndmask_b32_e32 v6, v15, v6, vcc
	v_lshlrev_b64 v[14:15], v14, -1
	v_add_u32_e32 v48, 20, v32
	v_bfi_b32 v14, v14, 0, v6
	v_lshlrev_b64 v[48:49], v48, 1
	v_lshrrev_b64 v[6:7], v32, v[6:7]
	v_bfi_b32 v15, v15, 0, 0
	v_cmp_eq_u64_e64 s[40:41], v[14:15], v[48:49]
	v_mov_b32_e32 v15, v7
	v_mov_b32_e32 v14, v6
	s_and_saveexec_b64 s[50:51], s[40:41]
; %bb.25359:                            ;   in Loop: Header=BB6_24817 Depth=3
	v_bfe_u32 v7, v6, 21, 1
	v_add_co_u32_e64 v7, s[40:41], v6, v7
	v_add_co_u32_e64 v14, s[40:41], -1, v7
; %bb.25360:                            ;   in Loop: Header=BB6_24817 Depth=3
	s_or_b64 exec, exec, s[50:51]
	v_add_u32_e32 v7, 0xffffff81, v29
	v_mov_b32_e32 v15, 0xffffff82
	v_cndmask_b32_e32 v7, v7, v15, vcc
	v_lshrrev_b32_e32 v15, 23, v6
	v_add3_u32 v29, v32, v7, v15
	v_add_u32_e32 v15, 14, v29
	v_and_b32_e32 v7, 0x1fffff, v14
	v_add_u32_e32 v6, v7, v6
	v_mov_b32_e32 v7, v33
	v_cmp_ne_u32_e32 vcc, 0, v15
                                        ; implicit-def: $vgpr14
	s_and_saveexec_b64 s[40:41], vcc
	s_xor_b64 s[40:41], exec, s[40:41]
; %bb.25361:                            ;   in Loop: Header=BB6_24817 Depth=3
	v_cmp_lt_u64_e32 vcc, s[88:89], v[6:7]
	v_add_u32_e32 v14, 15, v29
	v_cndmask_b32_e32 v14, v15, v14, vcc
	v_cndmask_b32_e64 v15, 0, 1, vcc
	v_lshrrev_b64 v[6:7], v15, v[6:7]
; %bb.25362:                            ;   in Loop: Header=BB6_24817 Depth=3
	s_andn2_saveexec_b64 s[40:41], s[40:41]
; %bb.25363:                            ;   in Loop: Header=BB6_24817 Depth=3
	v_bfe_u32 v14, v6, 23, 1
; %bb.25364:                            ;   in Loop: Header=BB6_24817 Depth=3
	s_or_b64 exec, exec, s[40:41]
	v_lshrrev_b64 v[6:7], 21, v[6:7]
	v_cmp_gt_i32_e32 vcc, 32, v14
	v_cndmask_b32_e32 v7, 0, v7, vcc
	v_cndmask_b32_e32 v6, 3, v6, vcc
	v_cmp_eq_u64_e64 s[40:41], 0, v[6:7]
	v_min_i32_e32 v7, 31, v14
	v_lshlrev_b32_e32 v7, 2, v7
	v_cmp_eq_u32_e32 vcc, 0, v14
	v_and_b32_e32 v7, 0xfc, v7
	v_and_or_b32 v6, v6, 3, v7
	s_and_b64 s[40:41], vcc, s[40:41]
	v_cndmask_b32_e64 v6, v6, 0, s[40:41]
	v_or_b32_e32 v29, v6, v1
.LBB6_25365:                            ;   in Loop: Header=BB6_24817 Depth=3
	s_or_b64 exec, exec, s[48:49]
                                        ; implicit-def: $vgpr1
.LBB6_25366:                            ;   in Loop: Header=BB6_24817 Depth=3
	s_andn2_saveexec_b64 s[40:41], s[38:39]
; %bb.25367:                            ;   in Loop: Header=BB6_24817 Depth=3
	v_or_b32_e32 v29, 0x7b, v1
; %bb.25368:                            ;   in Loop: Header=BB6_24817 Depth=3
	s_or_b64 exec, exec, s[40:41]
                                        ; implicit-def: $vgpr14
                                        ; implicit-def: $vgpr6_vgpr7
.LBB6_25369:                            ;   in Loop: Header=BB6_24817 Depth=3
	s_andn2_saveexec_b64 s[40:41], s[42:43]
	s_cbranch_execz .LBB6_25375
; %bb.25370:                            ;   in Loop: Header=BB6_24817 Depth=3
	v_cmp_ne_u64_e32 vcc, 0, v[6:7]
                                        ; implicit-def: $vgpr29
	s_and_saveexec_b64 s[42:43], vcc
	s_xor_b64 s[42:43], exec, s[42:43]
; %bb.25371:                            ;   in Loop: Header=BB6_24817 Depth=3
	v_or_b32_sdwa v29, v14, s44 dst_sel:DWORD dst_unused:UNUSED_PAD src0_sel:BYTE_3 src1_sel:DWORD
                                        ; implicit-def: $vgpr14
; %bb.25372:                            ;   in Loop: Header=BB6_24817 Depth=3
	s_andn2_saveexec_b64 s[42:43], s[42:43]
; %bb.25373:                            ;   in Loop: Header=BB6_24817 Depth=3
	v_cmp_lt_i32_e32 vcc, -1, v14
	v_bfrev_b32_e32 v1, 0.5
	v_mov_b32_e32 v6, 0x7c
	v_cndmask_b32_e32 v29, v1, v6, vcc
; %bb.25374:                            ;   in Loop: Header=BB6_24817 Depth=3
	s_or_b64 exec, exec, s[42:43]
.LBB6_25375:                            ;   in Loop: Header=BB6_24817 Depth=3
	s_or_b64 exec, exec, s[40:41]
	v_cmp_lt_u32_e32 vcc, s57, v0
	v_mov_b32_e32 v6, 0
	s_and_saveexec_b64 s[40:41], vcc
	s_cbranch_execz .LBB6_25383
; %bb.25376:                            ;   in Loop: Header=BB6_24817 Depth=3
	v_lshrrev_b32_e32 v1, 24, v0
	v_cmp_ne_u32_e32 vcc, s97, v1
	v_bfrev_b32_e32 v6, 1
	s_and_saveexec_b64 s[42:43], vcc
	s_cbranch_execz .LBB6_25382
; %bb.25377:                            ;   in Loop: Header=BB6_24817 Depth=3
	v_and_b32_e32 v6, 0x7c000000, v0
	v_bfe_u32 v7, v0, 24, 2
	v_cmp_ne_u32_e32 vcc, s68, v6
                                        ; implicit-def: $vgpr6
	s_and_saveexec_b64 s[62:63], vcc
	s_xor_b64 s[38:39], exec, s[62:63]
	s_cbranch_execz .LBB6_25379
; %bb.25378:                            ;   in Loop: Header=BB6_24817 Depth=3
	v_ffbh_u32_e32 v14, v7
	v_min_u32_e32 v32, 32, v14
	v_subrev_u32_e32 v14, 29, v32
	v_bfe_u32 v6, v0, 26, 5
	v_lshlrev_b64 v[14:15], v14, v[1:2]
	v_sub_u32_e32 v1, 30, v32
	v_cmp_eq_u32_e32 vcc, 0, v6
	v_and_b32_e32 v14, 3, v14
	v_cndmask_b32_e32 v1, v6, v1, vcc
	v_and_b32_e32 v0, 0x80000000, v0
	v_cndmask_b32_e32 v6, v7, v14, vcc
	v_lshl_add_u32 v0, v1, 23, v0
	v_lshl_or_b32 v0, v6, 21, v0
	v_add_u32_e32 v6, 0x38000000, v0
                                        ; implicit-def: $vgpr7
                                        ; implicit-def: $vgpr0_vgpr1
.LBB6_25379:                            ;   in Loop: Header=BB6_24817 Depth=3
	s_andn2_saveexec_b64 s[38:39], s[38:39]
; %bb.25380:                            ;   in Loop: Header=BB6_24817 Depth=3
	v_cmp_lt_i32_e32 vcc, -1, v0
	v_mov_b32_e32 v0, 0xff800000
	v_mov_b32_e32 v1, 0x7f800000
	v_cndmask_b32_e32 v0, v0, v1, vcc
	v_cmp_eq_u32_e32 vcc, 0, v7
	v_mov_b32_e32 v1, 0x7f800001
	v_cndmask_b32_e32 v6, v1, v0, vcc
; %bb.25381:                            ;   in Loop: Header=BB6_24817 Depth=3
	s_or_b64 exec, exec, s[38:39]
.LBB6_25382:                            ;   in Loop: Header=BB6_24817 Depth=3
	s_or_b64 exec, exec, s[42:43]
.LBB6_25383:                            ;   in Loop: Header=BB6_24817 Depth=3
	s_or_b64 exec, exec, s[40:41]
	v_bfe_u32 v1, v8, 24, 2
	v_and_b32_e32 v14, 0x7c000000, v8
	v_cmp_eq_u32_e32 vcc, s68, v14
	v_ffbh_u32_e32 v14, v1
	v_min_u32_e32 v32, 32, v14
	v_lshrrev_b32_e32 v0, 24, v8
	v_subrev_u32_e32 v14, 29, v32
	v_bfe_u32 v7, v8, 26, 5
	v_lshlrev_b64 v[14:15], v14, v[0:1]
	v_cmp_eq_u32_e64 s[40:41], 0, v7
	v_sub_u32_e32 v15, 30, v32
	v_and_b32_e32 v14, 3, v14
	v_cndmask_b32_e64 v7, v7, v15, s[40:41]
	v_and_b32_e32 v15, 0x80000000, v8
	v_cndmask_b32_e64 v14, v1, v14, s[40:41]
	v_lshl_add_u32 v7, v7, 23, v15
	v_lshl_or_b32 v7, v14, 21, v7
	v_cmp_eq_u32_e64 s[40:41], 0, v1
	v_cmp_lt_i32_e64 s[42:43], -1, v8
	v_mov_b32_e32 v1, 0xff800000
	v_mov_b32_e32 v14, 0x7f800000
	v_cndmask_b32_e64 v1, v1, v14, s[42:43]
	v_mov_b32_e32 v14, 0x7f800001
	v_add_u32_e32 v7, 0x38000000, v7
	v_cndmask_b32_e64 v1, v14, v1, s[40:41]
	v_cndmask_b32_e32 v1, v7, v1, vcc
	v_cmp_ne_u32_e32 vcc, s97, v0
	v_bfrev_b32_e32 v0, 1
	v_cndmask_b32_e32 v0, v0, v1, vcc
	v_cmp_lt_u32_e32 vcc, s57, v8
	v_cndmask_b32_e32 v0, 0, v0, vcc
	v_add_f32_e32 v6, v0, v6
	v_and_b32_e32 v14, 0x7f800000, v6
	v_mov_b32_e32 v15, v33
	v_cmp_ne_u64_e32 vcc, s[76:77], v[14:15]
	v_and_b32_e32 v0, 0x7fffff, v6
	v_mov_b32_e32 v1, v33
                                        ; implicit-def: $vgpr32
	s_and_saveexec_b64 s[40:41], vcc
	s_xor_b64 s[42:43], exec, s[40:41]
	s_cbranch_execz .LBB6_25397
; %bb.25384:                            ;   in Loop: Header=BB6_24817 Depth=3
	v_and_b32_e32 v14, 0x7fffffff, v6
	v_mov_b32_e32 v15, v33
	v_cmp_gt_u64_e32 vcc, s[78:79], v[14:15]
	v_and_b32_sdwa v14, v6, s97 dst_sel:DWORD dst_unused:UNUSED_PAD src0_sel:BYTE_3 src1_sel:DWORD
                                        ; implicit-def: $vgpr32
	s_and_saveexec_b64 s[40:41], vcc
	s_xor_b64 s[38:39], exec, s[40:41]
	s_cbranch_execz .LBB6_25394
; %bb.25385:                            ;   in Loop: Header=BB6_24817 Depth=3
	v_mov_b32_e32 v32, 0
	v_cmp_ne_u32_e32 vcc, 0, v6
	s_and_saveexec_b64 s[48:49], vcc
	s_cbranch_execz .LBB6_25393
; %bb.25386:                            ;   in Loop: Header=BB6_24817 Depth=3
	v_bfe_u32 v15, v6, 23, 8
	v_cmp_gt_u32_e64 s[40:41], s47, v15
	v_sub_u32_e32 v6, 0x71, v15
	v_cmp_eq_u32_e32 vcc, 0, v15
	v_cndmask_b32_e64 v6, 0, v6, s[40:41]
	v_mov_b32_e32 v32, 0x70
	v_cndmask_b32_e32 v32, v6, v32, vcc
	v_or_b32_e32 v7, 0x800000, v0
	v_add_u32_e32 v6, 21, v32
	v_cndmask_b32_e32 v0, v7, v0, vcc
	v_lshlrev_b64 v[6:7], v6, -1
	v_add_u32_e32 v48, 20, v32
	v_bfi_b32 v6, v6, 0, v0
	v_lshlrev_b64 v[48:49], v48, 1
	v_lshrrev_b64 v[0:1], v32, v[0:1]
	v_bfi_b32 v7, v7, 0, 0
	v_cmp_eq_u64_e64 s[40:41], v[6:7], v[48:49]
	v_mov_b32_e32 v7, v1
	v_mov_b32_e32 v6, v0
	s_and_saveexec_b64 s[50:51], s[40:41]
; %bb.25387:                            ;   in Loop: Header=BB6_24817 Depth=3
	v_bfe_u32 v1, v0, 21, 1
	v_add_co_u32_e64 v1, s[40:41], v0, v1
	v_add_co_u32_e64 v6, s[40:41], -1, v1
; %bb.25388:                            ;   in Loop: Header=BB6_24817 Depth=3
	s_or_b64 exec, exec, s[50:51]
	v_add_u32_e32 v1, 0xffffff81, v15
	v_mov_b32_e32 v7, 0xffffff82
	v_cndmask_b32_e32 v1, v1, v7, vcc
	v_lshrrev_b32_e32 v7, 23, v0
	v_add3_u32 v15, v32, v1, v7
	v_add_u32_e32 v7, 14, v15
	v_and_b32_e32 v1, 0x1fffff, v6
	v_add_u32_e32 v0, v1, v0
	v_mov_b32_e32 v1, v33
	v_cmp_ne_u32_e32 vcc, 0, v7
                                        ; implicit-def: $vgpr6
	s_and_saveexec_b64 s[40:41], vcc
	s_xor_b64 s[40:41], exec, s[40:41]
; %bb.25389:                            ;   in Loop: Header=BB6_24817 Depth=3
	v_cmp_lt_u64_e32 vcc, s[88:89], v[0:1]
	v_add_u32_e32 v6, 15, v15
	v_cndmask_b32_e32 v6, v7, v6, vcc
	v_cndmask_b32_e64 v7, 0, 1, vcc
	v_lshrrev_b64 v[0:1], v7, v[0:1]
; %bb.25390:                            ;   in Loop: Header=BB6_24817 Depth=3
	s_andn2_saveexec_b64 s[40:41], s[40:41]
; %bb.25391:                            ;   in Loop: Header=BB6_24817 Depth=3
	v_bfe_u32 v6, v0, 23, 1
; %bb.25392:                            ;   in Loop: Header=BB6_24817 Depth=3
	s_or_b64 exec, exec, s[40:41]
	v_lshrrev_b64 v[0:1], 21, v[0:1]
	v_cmp_gt_i32_e32 vcc, 32, v6
	v_cndmask_b32_e32 v1, 0, v1, vcc
	v_cndmask_b32_e32 v0, 3, v0, vcc
	v_cmp_eq_u64_e64 s[40:41], 0, v[0:1]
	v_min_i32_e32 v1, 31, v6
	v_lshlrev_b32_e32 v1, 2, v1
	v_cmp_eq_u32_e32 vcc, 0, v6
	v_and_b32_e32 v1, 0xfc, v1
	v_and_or_b32 v0, v0, 3, v1
	s_and_b64 s[40:41], vcc, s[40:41]
	v_cndmask_b32_e64 v0, v0, 0, s[40:41]
	v_or_b32_e32 v32, v0, v14
.LBB6_25393:                            ;   in Loop: Header=BB6_24817 Depth=3
	s_or_b64 exec, exec, s[48:49]
                                        ; implicit-def: $vgpr14
.LBB6_25394:                            ;   in Loop: Header=BB6_24817 Depth=3
	s_andn2_saveexec_b64 s[40:41], s[38:39]
; %bb.25395:                            ;   in Loop: Header=BB6_24817 Depth=3
	v_or_b32_e32 v32, 0x7b, v14
; %bb.25396:                            ;   in Loop: Header=BB6_24817 Depth=3
	s_or_b64 exec, exec, s[40:41]
                                        ; implicit-def: $vgpr6
                                        ; implicit-def: $vgpr0_vgpr1
.LBB6_25397:                            ;   in Loop: Header=BB6_24817 Depth=3
	s_andn2_saveexec_b64 s[40:41], s[42:43]
	s_cbranch_execz .LBB6_25403
; %bb.25398:                            ;   in Loop: Header=BB6_24817 Depth=3
	v_cmp_ne_u64_e32 vcc, 0, v[0:1]
                                        ; implicit-def: $vgpr32
	s_and_saveexec_b64 s[42:43], vcc
	s_xor_b64 s[42:43], exec, s[42:43]
; %bb.25399:                            ;   in Loop: Header=BB6_24817 Depth=3
	v_or_b32_sdwa v32, v6, s44 dst_sel:DWORD dst_unused:UNUSED_PAD src0_sel:BYTE_3 src1_sel:DWORD
                                        ; implicit-def: $vgpr6
; %bb.25400:                            ;   in Loop: Header=BB6_24817 Depth=3
	s_andn2_saveexec_b64 s[42:43], s[42:43]
; %bb.25401:                            ;   in Loop: Header=BB6_24817 Depth=3
	v_cmp_lt_i32_e32 vcc, -1, v6
	v_bfrev_b32_e32 v0, 0.5
	v_mov_b32_e32 v1, 0x7c
	v_cndmask_b32_e32 v32, v0, v1, vcc
; %bb.25402:                            ;   in Loop: Header=BB6_24817 Depth=3
	s_or_b64 exec, exec, s[42:43]
.LBB6_25403:                            ;   in Loop: Header=BB6_24817 Depth=3
	s_or_b64 exec, exec, s[40:41]
	v_lshl_or_b32 v36, v36, 8, v16
	v_lshlrev_b32_e32 v0, 16, v38
	v_lshlrev_b32_e32 v1, 24, v39
	v_or3_b32 v0, v0, v1, v36
	v_mov_b32_e32 v1, v33
	v_cmp_ne_u32_e32 vcc, 0, v16
	v_mov_b32_e32 v14, 0
	s_and_saveexec_b64 s[42:43], vcc
	s_cbranch_execz .LBB6_25411
; %bb.25404:                            ;   in Loop: Header=BB6_24817 Depth=3
	v_cmp_ne_u32_e32 vcc, s97, v16
	v_bfrev_b32_e32 v14, 1
	s_and_saveexec_b64 s[38:39], vcc
	s_cbranch_execz .LBB6_25410
; %bb.25405:                            ;   in Loop: Header=BB6_24817 Depth=3
	v_and_b32_e32 v7, 0x7c, v16
	v_and_b32_e32 v6, 3, v16
	v_cmp_ne_u32_e32 vcc, s86, v7
                                        ; implicit-def: $vgpr14
	s_and_saveexec_b64 s[40:41], vcc
	s_xor_b64 s[40:41], exec, s[40:41]
	s_cbranch_execz .LBB6_25407
; %bb.25406:                            ;   in Loop: Header=BB6_24817 Depth=3
	v_ffbh_u32_e32 v14, v6
	v_min_u32_e32 v38, 32, v14
	v_bfe_u32 v7, v16, 2, 5
	v_subrev_u32_e32 v14, 29, v38
	v_lshlrev_b64 v[14:15], v14, v[0:1]
	v_sub_u32_e32 v1, 30, v38
	v_cmp_eq_u32_e32 vcc, 0, v7
	v_cndmask_b32_e32 v1, v7, v1, vcc
	v_lshlrev_b32_e32 v7, 24, v16
	v_and_b32_e32 v14, 3, v14
	v_and_b32_e32 v7, 0x80000000, v7
	v_cndmask_b32_e32 v6, v6, v14, vcc
	v_lshl_add_u32 v1, v1, 23, v7
	v_lshl_or_b32 v1, v6, 21, v1
	v_add_u32_e32 v14, 0x38000000, v1
                                        ; implicit-def: $vgpr6
                                        ; implicit-def: $vgpr16
.LBB6_25407:                            ;   in Loop: Header=BB6_24817 Depth=3
	s_andn2_saveexec_b64 s[48:49], s[40:41]
; %bb.25408:                            ;   in Loop: Header=BB6_24817 Depth=3
	v_and_b32_e32 v1, 0x80, v16
	v_cmp_eq_u32_e32 vcc, 0, v6
	v_cmp_eq_u32_e64 s[40:41], 0, v1
	v_mov_b32_e32 v1, 0xff800000
	v_mov_b32_e32 v6, 0x7f800000
	v_cndmask_b32_e64 v1, v1, v6, s[40:41]
	v_mov_b32_e32 v6, 0x7f800001
	v_cndmask_b32_e32 v14, v6, v1, vcc
; %bb.25409:                            ;   in Loop: Header=BB6_24817 Depth=3
	s_or_b64 exec, exec, s[48:49]
.LBB6_25410:                            ;   in Loop: Header=BB6_24817 Depth=3
	s_or_b64 exec, exec, s[38:39]
.LBB6_25411:                            ;   in Loop: Header=BB6_24817 Depth=3
	s_or_b64 exec, exec, s[42:43]
	v_cmp_gt_i16_sdwa s[42:43], v9, s44 src0_sel:BYTE_0 src1_sel:DWORD
	s_mov_b64 s[40:41], 0
	s_and_saveexec_b64 s[62:63], s[42:43]
	s_xor_b64 s[42:43], exec, s[62:63]
	s_cbranch_execz .LBB6_25415
; %bb.25412:                            ;   in Loop: Header=BB6_24817 Depth=3
	v_cmp_eq_u16_sdwa s[62:63], v9, s97 src0_sel:BYTE_0 src1_sel:DWORD
	s_mov_b64 s[40:41], -1
	s_and_saveexec_b64 vcc, s[62:63]
; %bb.25413:                            ;   in Loop: Header=BB6_24817 Depth=3
	s_xor_b64 s[40:41], exec, -1
; %bb.25414:                            ;   in Loop: Header=BB6_24817 Depth=3
	s_or_b64 exec, exec, vcc
	s_and_b64 s[40:41], s[40:41], exec
.LBB6_25415:                            ;   in Loop: Header=BB6_24817 Depth=3
	s_or_saveexec_b64 s[42:43], s[42:43]
	v_bfrev_b32_e32 v1, 1
	s_xor_b64 exec, exec, s[42:43]
; %bb.25416:                            ;   in Loop: Header=BB6_24817 Depth=3
	v_cmp_ne_u16_sdwa s[62:63], v9, v33 src0_sel:BYTE_0 src1_sel:DWORD
	s_andn2_b64 s[40:41], s[40:41], exec
	s_and_b64 s[62:63], s[62:63], exec
	v_mov_b32_e32 v1, 0
	s_or_b64 s[40:41], s[40:41], s[62:63]
; %bb.25417:                            ;   in Loop: Header=BB6_24817 Depth=3
	s_or_b64 exec, exec, s[42:43]
	v_mov_b32_e32 v6, v9
	v_mov_b32_e32 v7, v33
	s_and_saveexec_b64 s[38:39], s[40:41]
	s_cbranch_execz .LBB6_25419
; %bb.25418:                            ;   in Loop: Header=BB6_24817 Depth=3
	v_and_b32_e32 v1, 3, v9
	v_and_b32_e32 v15, 0x7c, v9
	v_cmp_eq_u32_e32 vcc, s86, v15
	v_ffbh_u32_e32 v15, v1
	v_min_u32_e32 v39, 32, v15
	v_subrev_u32_e32 v15, 29, v39
	v_bfe_u32 v38, v9, 2, 5
	v_lshlrev_b64 v[15:16], v15, v[6:7]
	v_cmp_eq_u32_e64 s[40:41], 0, v38
	v_sub_u32_e32 v7, 30, v39
	v_lshlrev_b32_e32 v16, 24, v9
	v_and_b32_e32 v15, 3, v15
	v_cndmask_b32_e64 v7, v38, v7, s[40:41]
	v_and_b32_e32 v16, 0x80000000, v16
	v_cndmask_b32_e64 v15, v1, v15, s[40:41]
	v_lshl_add_u32 v7, v7, 23, v16
	v_cmp_eq_u32_e64 s[40:41], 0, v1
	v_mov_b32_e32 v1, -1
	v_lshl_or_b32 v7, v15, 21, v7
	v_cmp_gt_i16_sdwa s[42:43], sext(v9), v1 src0_sel:BYTE_0 src1_sel:DWORD
	v_mov_b32_e32 v1, 0xff800000
	v_mov_b32_e32 v15, 0x7f800000
	v_cndmask_b32_e64 v1, v1, v15, s[42:43]
	v_mov_b32_e32 v15, 0x7f800001
	v_add_u32_e32 v7, 0x38000000, v7
	v_cndmask_b32_e64 v1, v15, v1, s[40:41]
	v_cndmask_b32_e32 v1, v7, v1, vcc
.LBB6_25419:                            ;   in Loop: Header=BB6_24817 Depth=3
	s_or_b64 exec, exec, s[38:39]
	v_add_f32_e32 v7, v14, v1
	v_and_b32_e32 v15, 0x7f800000, v7
	v_mov_b32_e32 v16, v33
	v_cmp_ne_u64_e32 vcc, s[76:77], v[15:16]
	v_and_b32_e32 v14, 0x7fffff, v7
	v_mov_b32_e32 v15, v33
                                        ; implicit-def: $vgpr16
	s_and_saveexec_b64 s[40:41], vcc
	s_xor_b64 s[42:43], exec, s[40:41]
	s_cbranch_execz .LBB6_25433
; %bb.25420:                            ;   in Loop: Header=BB6_24817 Depth=3
	v_and_b32_e32 v38, 0x7fffffff, v7
	v_mov_b32_e32 v39, v33
	v_cmp_gt_u64_e32 vcc, s[78:79], v[38:39]
	v_and_b32_sdwa v1, v7, s97 dst_sel:DWORD dst_unused:UNUSED_PAD src0_sel:BYTE_3 src1_sel:DWORD
                                        ; implicit-def: $vgpr16
	s_and_saveexec_b64 s[40:41], vcc
	s_xor_b64 s[38:39], exec, s[40:41]
	s_cbranch_execz .LBB6_25430
; %bb.25421:                            ;   in Loop: Header=BB6_24817 Depth=3
	v_mov_b32_e32 v16, 0
	v_cmp_ne_u32_e32 vcc, 0, v7
	s_and_saveexec_b64 s[48:49], vcc
	s_cbranch_execz .LBB6_25429
; %bb.25422:                            ;   in Loop: Header=BB6_24817 Depth=3
	v_bfe_u32 v7, v7, 23, 8
	v_cmp_gt_u32_e64 s[40:41], s47, v7
	v_sub_u32_e32 v16, 0x71, v7
	v_cmp_eq_u32_e32 vcc, 0, v7
	v_cndmask_b32_e64 v16, 0, v16, s[40:41]
	v_mov_b32_e32 v38, 0x70
	v_cndmask_b32_e32 v38, v16, v38, vcc
	v_add_u32_e32 v16, 21, v38
	v_or_b32_e32 v39, 0x800000, v14
	v_lshlrev_b64 v[48:49], v16, -1
	v_cndmask_b32_e32 v14, v39, v14, vcc
	v_add_u32_e32 v16, 20, v38
	v_bfi_b32 v48, v48, 0, v14
	v_lshlrev_b64 v[50:51], v16, 1
	v_lshrrev_b64 v[14:15], v38, v[14:15]
	v_bfi_b32 v49, v49, 0, 0
	v_cmp_eq_u64_e64 s[40:41], v[48:49], v[50:51]
	v_mov_b32_e32 v16, v15
	v_mov_b32_e32 v15, v14
	s_and_saveexec_b64 s[50:51], s[40:41]
; %bb.25423:                            ;   in Loop: Header=BB6_24817 Depth=3
	v_bfe_u32 v15, v14, 21, 1
	v_add_co_u32_e64 v15, s[40:41], v14, v15
	v_add_co_u32_e64 v15, s[40:41], -1, v15
; %bb.25424:                            ;   in Loop: Header=BB6_24817 Depth=3
	s_or_b64 exec, exec, s[50:51]
	v_add_u32_e32 v7, 0xffffff81, v7
	v_mov_b32_e32 v16, 0xffffff82
	v_cndmask_b32_e32 v7, v7, v16, vcc
	v_lshrrev_b32_e32 v16, 23, v14
	v_add3_u32 v38, v38, v7, v16
	v_add_u32_e32 v16, 14, v38
	v_and_b32_e32 v7, 0x1fffff, v15
	v_add_u32_e32 v14, v7, v14
	v_mov_b32_e32 v15, v33
	v_cmp_ne_u32_e32 vcc, 0, v16
                                        ; implicit-def: $vgpr7
	s_and_saveexec_b64 s[40:41], vcc
	s_xor_b64 s[40:41], exec, s[40:41]
; %bb.25425:                            ;   in Loop: Header=BB6_24817 Depth=3
	v_cmp_lt_u64_e32 vcc, s[88:89], v[14:15]
	v_add_u32_e32 v7, 15, v38
	v_cndmask_b32_e32 v7, v16, v7, vcc
	v_cndmask_b32_e64 v16, 0, 1, vcc
	v_lshrrev_b64 v[14:15], v16, v[14:15]
; %bb.25426:                            ;   in Loop: Header=BB6_24817 Depth=3
	s_andn2_saveexec_b64 s[40:41], s[40:41]
; %bb.25427:                            ;   in Loop: Header=BB6_24817 Depth=3
	v_bfe_u32 v7, v14, 23, 1
; %bb.25428:                            ;   in Loop: Header=BB6_24817 Depth=3
	s_or_b64 exec, exec, s[40:41]
	v_lshrrev_b64 v[14:15], 21, v[14:15]
	v_cmp_gt_i32_e32 vcc, 32, v7
	v_cndmask_b32_e32 v15, 0, v15, vcc
	v_cndmask_b32_e32 v14, 3, v14, vcc
	v_cmp_eq_u32_e32 vcc, 0, v7
	v_min_i32_e32 v7, 31, v7
	v_cmp_eq_u64_e64 s[40:41], 0, v[14:15]
	v_lshlrev_b32_e32 v7, 2, v7
	v_and_b32_e32 v7, 0xfc, v7
	v_and_or_b32 v7, v14, 3, v7
	s_and_b64 s[40:41], vcc, s[40:41]
	v_cndmask_b32_e64 v7, v7, 0, s[40:41]
	v_or_b32_e32 v16, v7, v1
.LBB6_25429:                            ;   in Loop: Header=BB6_24817 Depth=3
	s_or_b64 exec, exec, s[48:49]
                                        ; implicit-def: $vgpr1
.LBB6_25430:                            ;   in Loop: Header=BB6_24817 Depth=3
	s_andn2_saveexec_b64 s[40:41], s[38:39]
; %bb.25431:                            ;   in Loop: Header=BB6_24817 Depth=3
	v_or_b32_e32 v16, 0x7b, v1
; %bb.25432:                            ;   in Loop: Header=BB6_24817 Depth=3
	s_or_b64 exec, exec, s[40:41]
                                        ; implicit-def: $vgpr7
                                        ; implicit-def: $vgpr14_vgpr15
.LBB6_25433:                            ;   in Loop: Header=BB6_24817 Depth=3
	s_andn2_saveexec_b64 s[40:41], s[42:43]
	s_cbranch_execz .LBB6_25439
; %bb.25434:                            ;   in Loop: Header=BB6_24817 Depth=3
	v_cmp_ne_u64_e32 vcc, 0, v[14:15]
                                        ; implicit-def: $vgpr16
	s_and_saveexec_b64 s[42:43], vcc
	s_xor_b64 s[42:43], exec, s[42:43]
; %bb.25435:                            ;   in Loop: Header=BB6_24817 Depth=3
	v_or_b32_sdwa v16, v7, s44 dst_sel:DWORD dst_unused:UNUSED_PAD src0_sel:BYTE_3 src1_sel:DWORD
                                        ; implicit-def: $vgpr7
; %bb.25436:                            ;   in Loop: Header=BB6_24817 Depth=3
	s_andn2_saveexec_b64 s[42:43], s[42:43]
; %bb.25437:                            ;   in Loop: Header=BB6_24817 Depth=3
	v_cmp_lt_i32_e32 vcc, -1, v7
	v_bfrev_b32_e32 v1, 0.5
	v_mov_b32_e32 v7, 0x7c
	v_cndmask_b32_e32 v16, v1, v7, vcc
; %bb.25438:                            ;   in Loop: Header=BB6_24817 Depth=3
	s_or_b64 exec, exec, s[42:43]
.LBB6_25439:                            ;   in Loop: Header=BB6_24817 Depth=3
	s_or_b64 exec, exec, s[40:41]
	v_lshrrev_b16_e32 v14, 8, v36
	v_cmp_ne_u16_e32 vcc, 0, v14
	v_mov_b32_e32 v1, 0
	s_and_saveexec_b64 s[40:41], vcc
	s_cbranch_execz .LBB6_25447
; %bb.25440:                            ;   in Loop: Header=BB6_24817 Depth=3
	v_cmp_ne_u16_e32 vcc, s97, v14
	v_bfrev_b32_e32 v1, 1
	s_and_saveexec_b64 s[42:43], vcc
	s_cbranch_execz .LBB6_25446
; %bb.25441:                            ;   in Loop: Header=BB6_24817 Depth=3
	v_and_b32_e32 v1, 0x7c, v14
	v_and_b32_e32 v7, 3, v14
	v_cmp_ne_u32_e32 vcc, s86, v1
                                        ; implicit-def: $vgpr1
	s_and_saveexec_b64 s[62:63], vcc
	s_xor_b64 s[38:39], exec, s[62:63]
	s_cbranch_execz .LBB6_25443
; %bb.25442:                            ;   in Loop: Header=BB6_24817 Depth=3
	v_ffbh_u32_e32 v38, v7
	v_min_u32_e32 v38, 32, v38
	v_mov_b32_e32 v15, v33
	v_subrev_u32_e32 v39, 29, v38
	v_bfe_u32 v1, v14, 2, 5
	v_lshlrev_b64 v[14:15], v39, v[14:15]
	v_cmp_eq_u32_e32 vcc, 0, v1
	v_and_b32_e32 v14, 3, v14
	v_sub_u32_e32 v15, 30, v38
	v_cndmask_b32_e32 v7, v7, v14, vcc
	v_lshlrev_b32_e32 v14, 16, v36
	v_cndmask_b32_e32 v1, v1, v15, vcc
	v_and_b32_e32 v14, 0x80000000, v14
	v_lshl_add_u32 v1, v1, 23, v14
	v_lshl_or_b32 v1, v7, 21, v1
	v_add_u32_e32 v1, 0x38000000, v1
                                        ; implicit-def: $vgpr7
                                        ; implicit-def: $vgpr36
.LBB6_25443:                            ;   in Loop: Header=BB6_24817 Depth=3
	s_andn2_saveexec_b64 s[38:39], s[38:39]
; %bb.25444:                            ;   in Loop: Header=BB6_24817 Depth=3
	v_cmp_lt_i16_e32 vcc, -1, v36
	v_mov_b32_e32 v1, 0xff800000
	v_mov_b32_e32 v14, 0x7f800000
	v_cndmask_b32_e32 v1, v1, v14, vcc
	v_cmp_eq_u32_e32 vcc, 0, v7
	v_mov_b32_e32 v7, 0x7f800001
	v_cndmask_b32_e32 v1, v7, v1, vcc
; %bb.25445:                            ;   in Loop: Header=BB6_24817 Depth=3
	s_or_b64 exec, exec, s[38:39]
.LBB6_25446:                            ;   in Loop: Header=BB6_24817 Depth=3
	s_or_b64 exec, exec, s[42:43]
.LBB6_25447:                            ;   in Loop: Header=BB6_24817 Depth=3
	s_or_b64 exec, exec, s[40:41]
	v_lshrrev_b16_e32 v14, 8, v6
	v_cmp_lt_i16_e32 vcc, s44, v14
	s_mov_b64 s[40:41], 0
	s_and_saveexec_b64 s[42:43], vcc
	s_xor_b64 s[42:43], exec, s[42:43]
	s_cbranch_execz .LBB6_25802
; %bb.25448:                            ;   in Loop: Header=BB6_24817 Depth=3
	v_cmp_eq_u16_e32 vcc, s97, v14
	s_mov_b64 s[40:41], -1
	s_and_saveexec_b64 s[38:39], vcc
; %bb.25449:                            ;   in Loop: Header=BB6_24817 Depth=3
	s_xor_b64 s[40:41], exec, -1
; %bb.25450:                            ;   in Loop: Header=BB6_24817 Depth=3
	s_or_b64 exec, exec, s[38:39]
	s_and_b64 s[40:41], s[40:41], exec
	s_or_saveexec_b64 s[42:43], s[42:43]
	v_bfrev_b32_e32 v7, 1
	s_xor_b64 exec, exec, s[42:43]
	s_cbranch_execnz .LBB6_25803
.LBB6_25451:                            ;   in Loop: Header=BB6_24817 Depth=3
	s_or_b64 exec, exec, s[42:43]
	s_and_saveexec_b64 s[38:39], s[40:41]
	s_cbranch_execz .LBB6_25453
.LBB6_25452:                            ;   in Loop: Header=BB6_24817 Depth=3
	v_and_b32_e32 v7, 3, v14
	v_and_b32_e32 v38, 0x7c, v14
	v_cmp_eq_u32_e32 vcc, s86, v38
	v_ffbh_u32_e32 v38, v7
	v_min_u32_e32 v48, 32, v38
	v_mov_b32_e32 v15, v33
	v_subrev_u32_e32 v38, 29, v48
	v_bfe_u32 v36, v14, 2, 5
	v_lshlrev_b64 v[38:39], v38, v[14:15]
	v_cmp_eq_u32_e64 s[40:41], 0, v36
	v_sub_u32_e32 v15, 30, v48
	v_lshlrev_b32_e32 v14, 24, v14
	v_and_b32_e32 v38, 3, v38
	v_cndmask_b32_e64 v15, v36, v15, s[40:41]
	v_and_b32_e32 v14, 0x80000000, v14
	v_cndmask_b32_e64 v36, v7, v38, s[40:41]
	v_lshl_add_u32 v14, v15, 23, v14
	v_cmp_eq_u32_e64 s[40:41], 0, v7
	v_cmp_lt_i16_e64 s[42:43], -1, v6
	v_mov_b32_e32 v6, 0xff800000
	v_mov_b32_e32 v7, 0x7f800000
	v_lshl_or_b32 v14, v36, 21, v14
	v_cndmask_b32_e64 v6, v6, v7, s[42:43]
	v_mov_b32_e32 v7, 0x7f800001
	v_add_u32_e32 v14, 0x38000000, v14
	v_cndmask_b32_e64 v6, v7, v6, s[40:41]
	v_cndmask_b32_e32 v7, v14, v6, vcc
.LBB6_25453:                            ;   in Loop: Header=BB6_24817 Depth=3
	s_or_b64 exec, exec, s[38:39]
	v_add_f32_e32 v14, v1, v7
	v_and_b32_e32 v38, 0x7f800000, v14
	v_mov_b32_e32 v39, v33
	v_cmp_ne_u64_e32 vcc, s[76:77], v[38:39]
	v_and_b32_e32 v6, 0x7fffff, v14
	v_mov_b32_e32 v7, v33
                                        ; implicit-def: $vgpr36
	s_and_saveexec_b64 s[40:41], vcc
	s_xor_b64 s[42:43], exec, s[40:41]
	s_cbranch_execz .LBB6_25467
; %bb.25454:                            ;   in Loop: Header=BB6_24817 Depth=3
	v_and_b32_e32 v38, 0x7fffffff, v14
	v_mov_b32_e32 v39, v33
	v_cmp_gt_u64_e32 vcc, s[78:79], v[38:39]
	v_and_b32_sdwa v1, v14, s97 dst_sel:DWORD dst_unused:UNUSED_PAD src0_sel:BYTE_3 src1_sel:DWORD
                                        ; implicit-def: $vgpr36
	s_and_saveexec_b64 s[40:41], vcc
	s_xor_b64 s[38:39], exec, s[40:41]
	s_cbranch_execz .LBB6_25464
; %bb.25455:                            ;   in Loop: Header=BB6_24817 Depth=3
	v_mov_b32_e32 v36, 0
	v_cmp_ne_u32_e32 vcc, 0, v14
	s_and_saveexec_b64 s[48:49], vcc
	s_cbranch_execz .LBB6_25463
; %bb.25456:                            ;   in Loop: Header=BB6_24817 Depth=3
	v_bfe_u32 v36, v14, 23, 8
	v_cmp_gt_u32_e64 s[40:41], s47, v36
	v_sub_u32_e32 v14, 0x71, v36
	v_cmp_eq_u32_e32 vcc, 0, v36
	v_cndmask_b32_e64 v14, 0, v14, s[40:41]
	v_mov_b32_e32 v38, 0x70
	v_cndmask_b32_e32 v38, v14, v38, vcc
	v_or_b32_e32 v15, 0x800000, v6
	v_add_u32_e32 v14, 21, v38
	v_cndmask_b32_e32 v6, v15, v6, vcc
	v_lshlrev_b64 v[14:15], v14, -1
	v_add_u32_e32 v39, 20, v38
	v_bfi_b32 v14, v14, 0, v6
	v_lshlrev_b64 v[48:49], v39, 1
	v_lshrrev_b64 v[6:7], v38, v[6:7]
	v_bfi_b32 v15, v15, 0, 0
	v_cmp_eq_u64_e64 s[40:41], v[14:15], v[48:49]
	v_mov_b32_e32 v15, v7
	v_mov_b32_e32 v14, v6
	s_and_saveexec_b64 s[50:51], s[40:41]
; %bb.25457:                            ;   in Loop: Header=BB6_24817 Depth=3
	v_bfe_u32 v7, v6, 21, 1
	v_add_co_u32_e64 v7, s[40:41], v6, v7
	v_add_co_u32_e64 v14, s[40:41], -1, v7
; %bb.25458:                            ;   in Loop: Header=BB6_24817 Depth=3
	s_or_b64 exec, exec, s[50:51]
	v_add_u32_e32 v7, 0xffffff81, v36
	v_mov_b32_e32 v15, 0xffffff82
	v_cndmask_b32_e32 v7, v7, v15, vcc
	v_lshrrev_b32_e32 v15, 23, v6
	v_add3_u32 v36, v38, v7, v15
	v_add_u32_e32 v15, 14, v36
	v_and_b32_e32 v7, 0x1fffff, v14
	v_add_u32_e32 v6, v7, v6
	v_mov_b32_e32 v7, v33
	v_cmp_ne_u32_e32 vcc, 0, v15
                                        ; implicit-def: $vgpr14
	s_and_saveexec_b64 s[40:41], vcc
	s_xor_b64 s[40:41], exec, s[40:41]
; %bb.25459:                            ;   in Loop: Header=BB6_24817 Depth=3
	v_cmp_lt_u64_e32 vcc, s[88:89], v[6:7]
	v_add_u32_e32 v14, 15, v36
	v_cndmask_b32_e32 v14, v15, v14, vcc
	v_cndmask_b32_e64 v15, 0, 1, vcc
	v_lshrrev_b64 v[6:7], v15, v[6:7]
; %bb.25460:                            ;   in Loop: Header=BB6_24817 Depth=3
	s_andn2_saveexec_b64 s[40:41], s[40:41]
; %bb.25461:                            ;   in Loop: Header=BB6_24817 Depth=3
	v_bfe_u32 v14, v6, 23, 1
; %bb.25462:                            ;   in Loop: Header=BB6_24817 Depth=3
	s_or_b64 exec, exec, s[40:41]
	v_lshrrev_b64 v[6:7], 21, v[6:7]
	v_cmp_gt_i32_e32 vcc, 32, v14
	v_cndmask_b32_e32 v7, 0, v7, vcc
	v_cndmask_b32_e32 v6, 3, v6, vcc
	v_cmp_eq_u64_e64 s[40:41], 0, v[6:7]
	v_min_i32_e32 v7, 31, v14
	v_lshlrev_b32_e32 v7, 2, v7
	v_cmp_eq_u32_e32 vcc, 0, v14
	v_and_b32_e32 v7, 0xfc, v7
	v_and_or_b32 v6, v6, 3, v7
	s_and_b64 s[40:41], vcc, s[40:41]
	v_cndmask_b32_e64 v6, v6, 0, s[40:41]
	v_or_b32_e32 v36, v6, v1
.LBB6_25463:                            ;   in Loop: Header=BB6_24817 Depth=3
	s_or_b64 exec, exec, s[48:49]
                                        ; implicit-def: $vgpr1
.LBB6_25464:                            ;   in Loop: Header=BB6_24817 Depth=3
	s_andn2_saveexec_b64 s[40:41], s[38:39]
; %bb.25465:                            ;   in Loop: Header=BB6_24817 Depth=3
	v_or_b32_e32 v36, 0x7b, v1
; %bb.25466:                            ;   in Loop: Header=BB6_24817 Depth=3
	s_or_b64 exec, exec, s[40:41]
                                        ; implicit-def: $vgpr14
                                        ; implicit-def: $vgpr6_vgpr7
.LBB6_25467:                            ;   in Loop: Header=BB6_24817 Depth=3
	s_andn2_saveexec_b64 s[40:41], s[42:43]
	s_cbranch_execz .LBB6_25473
; %bb.25468:                            ;   in Loop: Header=BB6_24817 Depth=3
	v_cmp_ne_u64_e32 vcc, 0, v[6:7]
                                        ; implicit-def: $vgpr36
	s_and_saveexec_b64 s[42:43], vcc
	s_xor_b64 s[42:43], exec, s[42:43]
; %bb.25469:                            ;   in Loop: Header=BB6_24817 Depth=3
	v_or_b32_sdwa v36, v14, s44 dst_sel:DWORD dst_unused:UNUSED_PAD src0_sel:BYTE_3 src1_sel:DWORD
                                        ; implicit-def: $vgpr14
; %bb.25470:                            ;   in Loop: Header=BB6_24817 Depth=3
	s_andn2_saveexec_b64 s[42:43], s[42:43]
; %bb.25471:                            ;   in Loop: Header=BB6_24817 Depth=3
	v_cmp_lt_i32_e32 vcc, -1, v14
	v_bfrev_b32_e32 v1, 0.5
	v_mov_b32_e32 v6, 0x7c
	v_cndmask_b32_e32 v36, v1, v6, vcc
; %bb.25472:                            ;   in Loop: Header=BB6_24817 Depth=3
	s_or_b64 exec, exec, s[42:43]
.LBB6_25473:                            ;   in Loop: Header=BB6_24817 Depth=3
	s_or_b64 exec, exec, s[40:41]
	v_and_b32_sdwa v7, v0, s96 dst_sel:DWORD dst_unused:UNUSED_PAD src0_sel:WORD_1 src1_sel:DWORD
	v_lshrrev_b32_e32 v1, 16, v0
	v_cmp_ne_u16_e32 vcc, 0, v7
	v_mov_b32_e32 v6, 0
	s_and_saveexec_b64 s[40:41], vcc
	s_cbranch_execz .LBB6_25481
; %bb.25474:                            ;   in Loop: Header=BB6_24817 Depth=3
	v_cmp_ne_u16_e32 vcc, s97, v7
	v_bfrev_b32_e32 v6, 1
	s_and_saveexec_b64 s[42:43], vcc
	s_cbranch_execz .LBB6_25480
; %bb.25475:                            ;   in Loop: Header=BB6_24817 Depth=3
	v_and_b32_e32 v6, 0x7c0000, v0
	v_bfe_u32 v7, v0, 16, 2
	v_cmp_ne_u32_e32 vcc, s45, v6
                                        ; implicit-def: $vgpr6
	s_and_saveexec_b64 s[62:63], vcc
	s_xor_b64 s[38:39], exec, s[62:63]
	s_cbranch_execz .LBB6_25477
; %bb.25476:                            ;   in Loop: Header=BB6_24817 Depth=3
	v_ffbh_u32_e32 v14, v7
	v_min_u32_e32 v38, 32, v14
	v_subrev_u32_e32 v14, 29, v38
	v_lshlrev_b64 v[14:15], v14, v[1:2]
	v_bfe_u32 v6, v0, 18, 5
	v_sub_u32_e32 v1, 30, v38
	v_and_b32_e32 v14, 3, v14
	v_cmp_eq_u32_e32 vcc, 0, v6
	v_cndmask_b32_e32 v1, v6, v1, vcc
	v_cndmask_b32_e32 v6, v7, v14, vcc
	v_lshlrev_b32_e32 v7, 8, v0
	v_and_b32_e32 v7, 0x80000000, v7
	v_lshl_add_u32 v1, v1, 23, v7
	v_lshl_or_b32 v1, v6, 21, v1
	v_add_u32_e32 v6, 0x38000000, v1
                                        ; implicit-def: $vgpr7
                                        ; implicit-def: $vgpr1
.LBB6_25477:                            ;   in Loop: Header=BB6_24817 Depth=3
	s_andn2_saveexec_b64 s[38:39], s[38:39]
; %bb.25478:                            ;   in Loop: Header=BB6_24817 Depth=3
	v_mov_b32_e32 v6, -1
	v_cmp_gt_i16_sdwa vcc, sext(v1), v6 src0_sel:BYTE_0 src1_sel:DWORD
	v_mov_b32_e32 v1, 0xff800000
	v_mov_b32_e32 v6, 0x7f800000
	v_cndmask_b32_e32 v1, v1, v6, vcc
	v_cmp_eq_u32_e32 vcc, 0, v7
	v_mov_b32_e32 v6, 0x7f800001
	v_cndmask_b32_e32 v6, v6, v1, vcc
; %bb.25479:                            ;   in Loop: Header=BB6_24817 Depth=3
	s_or_b64 exec, exec, s[38:39]
.LBB6_25480:                            ;   in Loop: Header=BB6_24817 Depth=3
	s_or_b64 exec, exec, s[42:43]
.LBB6_25481:                            ;   in Loop: Header=BB6_24817 Depth=3
	s_or_b64 exec, exec, s[40:41]
	v_lshrrev_b32_e32 v1, 16, v9
	v_cmp_gt_i16_sdwa s[42:43], v1, s44 src0_sel:BYTE_0 src1_sel:DWORD
	s_mov_b64 s[40:41], 0
	s_and_saveexec_b64 s[62:63], s[42:43]
	s_xor_b64 s[42:43], exec, s[62:63]
	s_cbranch_execz .LBB6_25804
; %bb.25482:                            ;   in Loop: Header=BB6_24817 Depth=3
	v_cmp_eq_u16_sdwa s[62:63], v1, s97 src0_sel:BYTE_0 src1_sel:DWORD
	s_mov_b64 s[40:41], -1
	s_and_saveexec_b64 vcc, s[62:63]
; %bb.25483:                            ;   in Loop: Header=BB6_24817 Depth=3
	s_xor_b64 s[40:41], exec, -1
; %bb.25484:                            ;   in Loop: Header=BB6_24817 Depth=3
	s_or_b64 exec, exec, vcc
	s_and_b64 s[40:41], s[40:41], exec
	s_or_saveexec_b64 s[42:43], s[42:43]
	v_bfrev_b32_e32 v7, 1
	s_xor_b64 exec, exec, s[42:43]
	s_cbranch_execnz .LBB6_25805
.LBB6_25485:                            ;   in Loop: Header=BB6_24817 Depth=3
	s_or_b64 exec, exec, s[42:43]
	s_and_saveexec_b64 s[38:39], s[40:41]
	s_cbranch_execz .LBB6_25487
.LBB6_25486:                            ;   in Loop: Header=BB6_24817 Depth=3
	v_and_b32_e32 v7, 3, v1
	v_and_b32_e32 v14, 0x7c0000, v9
	v_cmp_eq_u32_e32 vcc, s45, v14
	v_ffbh_u32_e32 v14, v7
	v_min_u32_e32 v39, 32, v14
	v_subrev_u32_e32 v14, 29, v39
	v_bfe_u32 v38, v9, 18, 5
	v_lshlrev_b64 v[14:15], v14, v[1:2]
	v_cmp_eq_u32_e64 s[40:41], 0, v38
	v_sub_u32_e32 v15, 30, v39
	v_and_b32_e32 v14, 3, v14
	v_cndmask_b32_e64 v15, v38, v15, s[40:41]
	v_lshlrev_b32_e32 v38, 24, v1
	v_cndmask_b32_e64 v14, v7, v14, s[40:41]
	v_and_b32_e32 v38, 0x80000000, v38
	v_cmp_eq_u32_e64 s[40:41], 0, v7
	v_mov_b32_e32 v7, -1
	v_lshl_add_u32 v15, v15, 23, v38
	v_cmp_gt_i16_sdwa s[42:43], sext(v1), v7 src0_sel:BYTE_0 src1_sel:DWORD
	v_mov_b32_e32 v1, 0xff800000
	v_mov_b32_e32 v7, 0x7f800000
	v_lshl_or_b32 v14, v14, 21, v15
	v_cndmask_b32_e64 v1, v1, v7, s[42:43]
	v_mov_b32_e32 v7, 0x7f800001
	v_add_u32_e32 v14, 0x38000000, v14
	v_cndmask_b32_e64 v1, v7, v1, s[40:41]
	v_cndmask_b32_e32 v7, v14, v1, vcc
.LBB6_25487:                            ;   in Loop: Header=BB6_24817 Depth=3
	s_or_b64 exec, exec, s[38:39]
	v_add_f32_e32 v15, v6, v7
	v_and_b32_e32 v38, 0x7f800000, v15
	v_mov_b32_e32 v39, v33
	v_cmp_ne_u64_e32 vcc, s[76:77], v[38:39]
	v_and_b32_e32 v6, 0x7fffff, v15
	v_mov_b32_e32 v7, v33
                                        ; implicit-def: $vgpr14
	s_and_saveexec_b64 s[40:41], vcc
	s_xor_b64 s[42:43], exec, s[40:41]
	s_cbranch_execz .LBB6_25501
; %bb.25488:                            ;   in Loop: Header=BB6_24817 Depth=3
	v_and_b32_e32 v38, 0x7fffffff, v15
	v_mov_b32_e32 v39, v33
	v_cmp_gt_u64_e32 vcc, s[78:79], v[38:39]
	v_and_b32_sdwa v1, v15, s97 dst_sel:DWORD dst_unused:UNUSED_PAD src0_sel:BYTE_3 src1_sel:DWORD
                                        ; implicit-def: $vgpr14
	s_and_saveexec_b64 s[40:41], vcc
	s_xor_b64 s[38:39], exec, s[40:41]
	s_cbranch_execz .LBB6_25498
; %bb.25489:                            ;   in Loop: Header=BB6_24817 Depth=3
	v_mov_b32_e32 v14, 0
	v_cmp_ne_u32_e32 vcc, 0, v15
	s_and_saveexec_b64 s[48:49], vcc
	s_cbranch_execz .LBB6_25497
; %bb.25490:                            ;   in Loop: Header=BB6_24817 Depth=3
	v_bfe_u32 v38, v15, 23, 8
	v_cmp_gt_u32_e64 s[40:41], s47, v38
	v_sub_u32_e32 v14, 0x71, v38
	v_cmp_eq_u32_e32 vcc, 0, v38
	v_cndmask_b32_e64 v14, 0, v14, s[40:41]
	v_mov_b32_e32 v39, 0x70
	v_cndmask_b32_e32 v39, v14, v39, vcc
	v_or_b32_e32 v15, 0x800000, v6
	v_add_u32_e32 v14, 21, v39
	v_cndmask_b32_e32 v6, v15, v6, vcc
	v_lshlrev_b64 v[14:15], v14, -1
	v_add_u32_e32 v48, 20, v39
	v_bfi_b32 v14, v14, 0, v6
	v_lshlrev_b64 v[48:49], v48, 1
	v_lshrrev_b64 v[6:7], v39, v[6:7]
	v_bfi_b32 v15, v15, 0, 0
	v_cmp_eq_u64_e64 s[40:41], v[14:15], v[48:49]
	v_mov_b32_e32 v15, v7
	v_mov_b32_e32 v14, v6
	s_and_saveexec_b64 s[50:51], s[40:41]
; %bb.25491:                            ;   in Loop: Header=BB6_24817 Depth=3
	v_bfe_u32 v7, v6, 21, 1
	v_add_co_u32_e64 v7, s[40:41], v6, v7
	v_add_co_u32_e64 v14, s[40:41], -1, v7
; %bb.25492:                            ;   in Loop: Header=BB6_24817 Depth=3
	s_or_b64 exec, exec, s[50:51]
	v_add_u32_e32 v7, 0xffffff81, v38
	v_mov_b32_e32 v15, 0xffffff82
	v_cndmask_b32_e32 v7, v7, v15, vcc
	v_lshrrev_b32_e32 v15, 23, v6
	v_add3_u32 v38, v39, v7, v15
	v_add_u32_e32 v15, 14, v38
	v_and_b32_e32 v7, 0x1fffff, v14
	v_add_u32_e32 v6, v7, v6
	v_mov_b32_e32 v7, v33
	v_cmp_ne_u32_e32 vcc, 0, v15
                                        ; implicit-def: $vgpr14
	s_and_saveexec_b64 s[40:41], vcc
	s_xor_b64 s[40:41], exec, s[40:41]
; %bb.25493:                            ;   in Loop: Header=BB6_24817 Depth=3
	v_cmp_lt_u64_e32 vcc, s[88:89], v[6:7]
	v_add_u32_e32 v14, 15, v38
	v_cndmask_b32_e32 v14, v15, v14, vcc
	v_cndmask_b32_e64 v15, 0, 1, vcc
	v_lshrrev_b64 v[6:7], v15, v[6:7]
; %bb.25494:                            ;   in Loop: Header=BB6_24817 Depth=3
	s_andn2_saveexec_b64 s[40:41], s[40:41]
; %bb.25495:                            ;   in Loop: Header=BB6_24817 Depth=3
	v_bfe_u32 v14, v6, 23, 1
; %bb.25496:                            ;   in Loop: Header=BB6_24817 Depth=3
	s_or_b64 exec, exec, s[40:41]
	v_lshrrev_b64 v[6:7], 21, v[6:7]
	v_cmp_gt_i32_e32 vcc, 32, v14
	v_cndmask_b32_e32 v7, 0, v7, vcc
	v_cndmask_b32_e32 v6, 3, v6, vcc
	v_cmp_eq_u64_e64 s[40:41], 0, v[6:7]
	v_min_i32_e32 v7, 31, v14
	v_lshlrev_b32_e32 v7, 2, v7
	v_cmp_eq_u32_e32 vcc, 0, v14
	v_and_b32_e32 v7, 0xfc, v7
	v_and_or_b32 v6, v6, 3, v7
	s_and_b64 s[40:41], vcc, s[40:41]
	v_cndmask_b32_e64 v6, v6, 0, s[40:41]
	v_or_b32_e32 v14, v6, v1
.LBB6_25497:                            ;   in Loop: Header=BB6_24817 Depth=3
	s_or_b64 exec, exec, s[48:49]
                                        ; implicit-def: $vgpr1
.LBB6_25498:                            ;   in Loop: Header=BB6_24817 Depth=3
	s_andn2_saveexec_b64 s[40:41], s[38:39]
; %bb.25499:                            ;   in Loop: Header=BB6_24817 Depth=3
	v_or_b32_e32 v14, 0x7b, v1
; %bb.25500:                            ;   in Loop: Header=BB6_24817 Depth=3
	s_or_b64 exec, exec, s[40:41]
                                        ; implicit-def: $vgpr15
                                        ; implicit-def: $vgpr6_vgpr7
.LBB6_25501:                            ;   in Loop: Header=BB6_24817 Depth=3
	s_andn2_saveexec_b64 s[40:41], s[42:43]
	s_cbranch_execz .LBB6_25507
; %bb.25502:                            ;   in Loop: Header=BB6_24817 Depth=3
	v_cmp_ne_u64_e32 vcc, 0, v[6:7]
                                        ; implicit-def: $vgpr14
	s_and_saveexec_b64 s[42:43], vcc
	s_xor_b64 s[42:43], exec, s[42:43]
; %bb.25503:                            ;   in Loop: Header=BB6_24817 Depth=3
	v_or_b32_sdwa v14, v15, s44 dst_sel:DWORD dst_unused:UNUSED_PAD src0_sel:BYTE_3 src1_sel:DWORD
                                        ; implicit-def: $vgpr15
; %bb.25504:                            ;   in Loop: Header=BB6_24817 Depth=3
	s_andn2_saveexec_b64 s[42:43], s[42:43]
; %bb.25505:                            ;   in Loop: Header=BB6_24817 Depth=3
	v_cmp_lt_i32_e32 vcc, -1, v15
	v_bfrev_b32_e32 v1, 0.5
	v_mov_b32_e32 v6, 0x7c
	v_cndmask_b32_e32 v14, v1, v6, vcc
; %bb.25506:                            ;   in Loop: Header=BB6_24817 Depth=3
	s_or_b64 exec, exec, s[42:43]
.LBB6_25507:                            ;   in Loop: Header=BB6_24817 Depth=3
	s_or_b64 exec, exec, s[40:41]
	v_cmp_lt_u32_e32 vcc, s57, v0
	v_mov_b32_e32 v6, 0
	s_and_saveexec_b64 s[40:41], vcc
	s_cbranch_execz .LBB6_25515
; %bb.25508:                            ;   in Loop: Header=BB6_24817 Depth=3
	v_lshrrev_b32_e32 v1, 24, v0
	v_cmp_ne_u32_e32 vcc, s97, v1
	v_bfrev_b32_e32 v6, 1
	s_and_saveexec_b64 s[42:43], vcc
	s_cbranch_execz .LBB6_25514
; %bb.25509:                            ;   in Loop: Header=BB6_24817 Depth=3
	v_and_b32_e32 v6, 0x7c000000, v0
	v_bfe_u32 v7, v0, 24, 2
	v_cmp_ne_u32_e32 vcc, s68, v6
                                        ; implicit-def: $vgpr6
	s_and_saveexec_b64 s[62:63], vcc
	s_xor_b64 s[38:39], exec, s[62:63]
	s_cbranch_execz .LBB6_25511
; %bb.25510:                            ;   in Loop: Header=BB6_24817 Depth=3
	v_ffbh_u32_e32 v15, v7
	v_min_u32_e32 v15, 32, v15
	v_subrev_u32_e32 v38, 29, v15
	v_bfe_u32 v6, v0, 26, 5
	v_lshlrev_b64 v[38:39], v38, v[1:2]
	v_sub_u32_e32 v1, 30, v15
	v_cmp_eq_u32_e32 vcc, 0, v6
	v_and_b32_e32 v15, 3, v38
	v_cndmask_b32_e32 v1, v6, v1, vcc
	v_and_b32_e32 v0, 0x80000000, v0
	v_cndmask_b32_e32 v6, v7, v15, vcc
	v_lshl_add_u32 v0, v1, 23, v0
	v_lshl_or_b32 v0, v6, 21, v0
	v_add_u32_e32 v6, 0x38000000, v0
                                        ; implicit-def: $vgpr7
                                        ; implicit-def: $vgpr0_vgpr1
.LBB6_25511:                            ;   in Loop: Header=BB6_24817 Depth=3
	s_andn2_saveexec_b64 s[38:39], s[38:39]
; %bb.25512:                            ;   in Loop: Header=BB6_24817 Depth=3
	v_cmp_lt_i32_e32 vcc, -1, v0
	v_mov_b32_e32 v0, 0xff800000
	v_mov_b32_e32 v1, 0x7f800000
	v_cndmask_b32_e32 v0, v0, v1, vcc
	v_cmp_eq_u32_e32 vcc, 0, v7
	v_mov_b32_e32 v1, 0x7f800001
	v_cndmask_b32_e32 v6, v1, v0, vcc
; %bb.25513:                            ;   in Loop: Header=BB6_24817 Depth=3
	s_or_b64 exec, exec, s[38:39]
.LBB6_25514:                            ;   in Loop: Header=BB6_24817 Depth=3
	s_or_b64 exec, exec, s[42:43]
.LBB6_25515:                            ;   in Loop: Header=BB6_24817 Depth=3
	s_or_b64 exec, exec, s[40:41]
	v_bfe_u32 v1, v9, 24, 2
	v_and_b32_e32 v15, 0x7c000000, v9
	v_cmp_eq_u32_e32 vcc, s68, v15
	v_ffbh_u32_e32 v15, v1
	v_min_u32_e32 v15, 32, v15
	v_lshrrev_b32_e32 v0, 24, v9
	v_subrev_u32_e32 v38, 29, v15
	v_lshlrev_b64 v[38:39], v38, v[0:1]
	v_bfe_u32 v7, v9, 26, 5
	v_cmp_eq_u32_e64 s[40:41], 0, v7
	v_sub_u32_e32 v15, 30, v15
	v_and_b32_e32 v38, 3, v38
	v_cndmask_b32_e64 v7, v7, v15, s[40:41]
	v_cndmask_b32_e64 v15, v1, v38, s[40:41]
	v_and_b32_e32 v38, 0x80000000, v9
	v_lshl_add_u32 v7, v7, 23, v38
	v_cmp_lt_i64_e64 s[42:43], -1, v[8:9]
	v_lshl_or_b32 v7, v15, 21, v7
	v_cmp_eq_u32_e64 s[40:41], 0, v1
	v_mov_b32_e32 v1, 0xff800000
	v_mov_b32_e32 v15, 0x7f800000
	v_cndmask_b32_e64 v1, v1, v15, s[42:43]
	v_mov_b32_e32 v15, 0x7f800001
	v_add_u32_e32 v7, 0x38000000, v7
	v_cndmask_b32_e64 v1, v15, v1, s[40:41]
	v_cndmask_b32_e32 v1, v7, v1, vcc
	v_cmp_ne_u32_e32 vcc, s97, v0
	v_bfrev_b32_e32 v0, 1
	v_cndmask_b32_e32 v0, v0, v1, vcc
	v_cmp_lt_u64_e32 vcc, s[56:57], v[8:9]
	v_mov_b32_e32 v8, v33
	v_cndmask_b32_e32 v0, 0, v0, vcc
	v_add_f32_e32 v6, v0, v6
	v_and_b32_e32 v7, 0x7f800000, v6
	v_cmp_ne_u64_e32 vcc, s[76:77], v[7:8]
	v_and_b32_e32 v0, 0x7fffff, v6
	v_mov_b32_e32 v1, v33
                                        ; implicit-def: $vgpr15
	s_and_saveexec_b64 s[40:41], vcc
	s_xor_b64 s[42:43], exec, s[40:41]
	s_cbranch_execz .LBB6_25529
; %bb.25516:                            ;   in Loop: Header=BB6_24817 Depth=3
	v_and_b32_e32 v7, 0x7fffffff, v6
	v_mov_b32_e32 v8, v33
	v_cmp_gt_u64_e32 vcc, s[78:79], v[7:8]
	v_and_b32_sdwa v8, v6, s97 dst_sel:DWORD dst_unused:UNUSED_PAD src0_sel:BYTE_3 src1_sel:DWORD
                                        ; implicit-def: $vgpr15
	s_and_saveexec_b64 s[40:41], vcc
	s_xor_b64 s[38:39], exec, s[40:41]
	s_cbranch_execz .LBB6_25526
; %bb.25517:                            ;   in Loop: Header=BB6_24817 Depth=3
	v_mov_b32_e32 v15, 0
	v_cmp_ne_u32_e32 vcc, 0, v6
	s_and_saveexec_b64 s[48:49], vcc
	s_cbranch_execz .LBB6_25525
; %bb.25518:                            ;   in Loop: Header=BB6_24817 Depth=3
	v_bfe_u32 v9, v6, 23, 8
	v_cmp_gt_u32_e64 s[40:41], s47, v9
	v_sub_u32_e32 v6, 0x71, v9
	v_cmp_eq_u32_e32 vcc, 0, v9
	v_cndmask_b32_e64 v6, 0, v6, s[40:41]
	v_mov_b32_e32 v15, 0x70
	v_cndmask_b32_e32 v15, v6, v15, vcc
	v_or_b32_e32 v7, 0x800000, v0
	v_add_u32_e32 v6, 21, v15
	v_cndmask_b32_e32 v0, v7, v0, vcc
	v_lshlrev_b64 v[6:7], v6, -1
	v_add_u32_e32 v38, 20, v15
	v_bfi_b32 v6, v6, 0, v0
	v_lshlrev_b64 v[38:39], v38, 1
	v_lshrrev_b64 v[0:1], v15, v[0:1]
	v_bfi_b32 v7, v7, 0, 0
	v_cmp_eq_u64_e64 s[40:41], v[6:7], v[38:39]
	v_mov_b32_e32 v7, v1
	v_mov_b32_e32 v6, v0
	s_and_saveexec_b64 s[50:51], s[40:41]
; %bb.25519:                            ;   in Loop: Header=BB6_24817 Depth=3
	v_bfe_u32 v1, v0, 21, 1
	v_add_co_u32_e64 v1, s[40:41], v0, v1
	v_add_co_u32_e64 v6, s[40:41], -1, v1
; %bb.25520:                            ;   in Loop: Header=BB6_24817 Depth=3
	s_or_b64 exec, exec, s[50:51]
	v_add_u32_e32 v1, 0xffffff81, v9
	v_mov_b32_e32 v7, 0xffffff82
	v_cndmask_b32_e32 v1, v1, v7, vcc
	v_lshrrev_b32_e32 v7, 23, v0
	v_add3_u32 v9, v15, v1, v7
	v_add_u32_e32 v7, 14, v9
	v_and_b32_e32 v1, 0x1fffff, v6
	v_add_u32_e32 v0, v1, v0
	v_mov_b32_e32 v1, v33
	v_cmp_ne_u32_e32 vcc, 0, v7
                                        ; implicit-def: $vgpr6
	s_and_saveexec_b64 s[40:41], vcc
	s_xor_b64 s[40:41], exec, s[40:41]
; %bb.25521:                            ;   in Loop: Header=BB6_24817 Depth=3
	v_cmp_lt_u64_e32 vcc, s[88:89], v[0:1]
	v_add_u32_e32 v6, 15, v9
	v_cndmask_b32_e32 v6, v7, v6, vcc
	v_cndmask_b32_e64 v7, 0, 1, vcc
	v_lshrrev_b64 v[0:1], v7, v[0:1]
; %bb.25522:                            ;   in Loop: Header=BB6_24817 Depth=3
	s_andn2_saveexec_b64 s[40:41], s[40:41]
; %bb.25523:                            ;   in Loop: Header=BB6_24817 Depth=3
	v_bfe_u32 v6, v0, 23, 1
; %bb.25524:                            ;   in Loop: Header=BB6_24817 Depth=3
	s_or_b64 exec, exec, s[40:41]
	v_lshrrev_b64 v[0:1], 21, v[0:1]
	v_cmp_gt_i32_e32 vcc, 32, v6
	v_cndmask_b32_e32 v1, 0, v1, vcc
	v_cndmask_b32_e32 v0, 3, v0, vcc
	v_cmp_eq_u64_e64 s[40:41], 0, v[0:1]
	v_min_i32_e32 v1, 31, v6
	v_lshlrev_b32_e32 v1, 2, v1
	v_cmp_eq_u32_e32 vcc, 0, v6
	v_and_b32_e32 v1, 0xfc, v1
	v_and_or_b32 v0, v0, 3, v1
	s_and_b64 s[40:41], vcc, s[40:41]
	v_cndmask_b32_e64 v0, v0, 0, s[40:41]
	v_or_b32_e32 v15, v0, v8
.LBB6_25525:                            ;   in Loop: Header=BB6_24817 Depth=3
	s_or_b64 exec, exec, s[48:49]
                                        ; implicit-def: $vgpr8
.LBB6_25526:                            ;   in Loop: Header=BB6_24817 Depth=3
	s_andn2_saveexec_b64 s[40:41], s[38:39]
; %bb.25527:                            ;   in Loop: Header=BB6_24817 Depth=3
	v_or_b32_e32 v15, 0x7b, v8
; %bb.25528:                            ;   in Loop: Header=BB6_24817 Depth=3
	s_or_b64 exec, exec, s[40:41]
                                        ; implicit-def: $vgpr6
                                        ; implicit-def: $vgpr0_vgpr1
.LBB6_25529:                            ;   in Loop: Header=BB6_24817 Depth=3
	s_andn2_saveexec_b64 s[40:41], s[42:43]
	s_cbranch_execz .LBB6_25535
; %bb.25530:                            ;   in Loop: Header=BB6_24817 Depth=3
	v_cmp_ne_u64_e32 vcc, 0, v[0:1]
                                        ; implicit-def: $vgpr15
	s_and_saveexec_b64 s[42:43], vcc
	s_xor_b64 s[42:43], exec, s[42:43]
; %bb.25531:                            ;   in Loop: Header=BB6_24817 Depth=3
	v_or_b32_sdwa v15, v6, s44 dst_sel:DWORD dst_unused:UNUSED_PAD src0_sel:BYTE_3 src1_sel:DWORD
                                        ; implicit-def: $vgpr6
; %bb.25532:                            ;   in Loop: Header=BB6_24817 Depth=3
	s_andn2_saveexec_b64 s[42:43], s[42:43]
; %bb.25533:                            ;   in Loop: Header=BB6_24817 Depth=3
	v_cmp_lt_i32_e32 vcc, -1, v6
	v_bfrev_b32_e32 v0, 0.5
	v_mov_b32_e32 v1, 0x7c
	v_cndmask_b32_e32 v15, v0, v1, vcc
; %bb.25534:                            ;   in Loop: Header=BB6_24817 Depth=3
	s_or_b64 exec, exec, s[42:43]
.LBB6_25535:                            ;   in Loop: Header=BB6_24817 Depth=3
	s_or_b64 exec, exec, s[40:41]
	v_lshl_or_b32 v9, v31, 8, v27
	v_lshlrev_b32_e32 v0, 16, v35
	v_lshlrev_b32_e32 v1, 24, v37
	v_or3_b32 v0, v0, v1, v9
	v_mov_b32_e32 v1, v33
	v_cmp_ne_u32_e32 vcc, 0, v27
	v_mov_b32_e32 v6, 0
	s_and_saveexec_b64 s[42:43], vcc
	s_cbranch_execz .LBB6_25543
; %bb.25536:                            ;   in Loop: Header=BB6_24817 Depth=3
	v_cmp_ne_u32_e32 vcc, s97, v27
	v_bfrev_b32_e32 v6, 1
	s_and_saveexec_b64 s[38:39], vcc
	s_cbranch_execz .LBB6_25542
; %bb.25537:                            ;   in Loop: Header=BB6_24817 Depth=3
	v_and_b32_e32 v6, 0x7c, v27
	v_and_b32_e32 v7, 3, v27
	v_cmp_ne_u32_e32 vcc, s86, v6
                                        ; implicit-def: $vgpr6
	s_and_saveexec_b64 s[40:41], vcc
	s_xor_b64 s[40:41], exec, s[40:41]
	s_cbranch_execz .LBB6_25539
; %bb.25538:                            ;   in Loop: Header=BB6_24817 Depth=3
	v_ffbh_u32_e32 v8, v7
	v_min_u32_e32 v8, 32, v8
	v_subrev_u32_e32 v31, 29, v8
	v_lshlrev_b64 v[37:38], v31, v[0:1]
	v_bfe_u32 v6, v27, 2, 5
	v_sub_u32_e32 v1, 30, v8
	v_and_b32_e32 v8, 3, v37
	v_cmp_eq_u32_e32 vcc, 0, v6
	v_cndmask_b32_e32 v1, v6, v1, vcc
	v_cndmask_b32_e32 v6, v7, v8, vcc
	v_lshlrev_b32_e32 v7, 24, v27
	v_and_b32_e32 v7, 0x80000000, v7
	v_lshl_add_u32 v1, v1, 23, v7
	v_lshl_or_b32 v1, v6, 21, v1
	v_add_u32_e32 v6, 0x38000000, v1
                                        ; implicit-def: $vgpr7
                                        ; implicit-def: $vgpr27
.LBB6_25539:                            ;   in Loop: Header=BB6_24817 Depth=3
	s_andn2_saveexec_b64 s[48:49], s[40:41]
; %bb.25540:                            ;   in Loop: Header=BB6_24817 Depth=3
	v_and_b32_e32 v1, 0x80, v27
	v_cmp_eq_u32_e64 s[40:41], 0, v1
	v_mov_b32_e32 v1, 0xff800000
	v_mov_b32_e32 v6, 0x7f800000
	v_cmp_eq_u32_e32 vcc, 0, v7
	v_cndmask_b32_e64 v1, v1, v6, s[40:41]
	v_mov_b32_e32 v6, 0x7f800001
	v_cndmask_b32_e32 v6, v6, v1, vcc
; %bb.25541:                            ;   in Loop: Header=BB6_24817 Depth=3
	s_or_b64 exec, exec, s[48:49]
.LBB6_25542:                            ;   in Loop: Header=BB6_24817 Depth=3
	s_or_b64 exec, exec, s[38:39]
.LBB6_25543:                            ;   in Loop: Header=BB6_24817 Depth=3
	s_or_b64 exec, exec, s[42:43]
	v_cmp_gt_i16_sdwa s[42:43], v10, s44 src0_sel:BYTE_0 src1_sel:DWORD
	s_mov_b64 s[40:41], 0
	s_and_saveexec_b64 s[62:63], s[42:43]
	s_xor_b64 s[42:43], exec, s[62:63]
	s_cbranch_execz .LBB6_25806
; %bb.25544:                            ;   in Loop: Header=BB6_24817 Depth=3
	v_cmp_eq_u16_sdwa s[62:63], v10, s97 src0_sel:BYTE_0 src1_sel:DWORD
	s_mov_b64 s[40:41], -1
	s_and_saveexec_b64 vcc, s[62:63]
; %bb.25545:                            ;   in Loop: Header=BB6_24817 Depth=3
	s_xor_b64 s[40:41], exec, -1
; %bb.25546:                            ;   in Loop: Header=BB6_24817 Depth=3
	s_or_b64 exec, exec, vcc
	s_and_b64 s[40:41], s[40:41], exec
	s_or_saveexec_b64 s[42:43], s[42:43]
	v_bfrev_b32_e32 v1, 1
	s_xor_b64 exec, exec, s[42:43]
	s_cbranch_execnz .LBB6_25807
.LBB6_25547:                            ;   in Loop: Header=BB6_24817 Depth=3
	s_or_b64 exec, exec, s[42:43]
	s_and_saveexec_b64 s[38:39], s[40:41]
	s_cbranch_execz .LBB6_25549
.LBB6_25548:                            ;   in Loop: Header=BB6_24817 Depth=3
	v_and_b32_e32 v1, 3, v10
	v_and_b32_e32 v7, 0x7c, v10
	v_cmp_eq_u32_e32 vcc, s86, v7
	v_ffbh_u32_e32 v7, v1
	v_min_u32_e32 v31, 32, v7
	v_subrev_u32_e32 v7, 29, v31
	v_bfe_u32 v27, v10, 2, 5
	v_lshlrev_b64 v[7:8], v7, v[10:11]
	v_cmp_eq_u32_e64 s[40:41], 0, v27
	v_sub_u32_e32 v8, 30, v31
	v_cndmask_b32_e64 v8, v27, v8, s[40:41]
	v_lshlrev_b32_e32 v27, 24, v10
	v_and_b32_e32 v7, 3, v7
	v_and_b32_e32 v27, 0x80000000, v27
	v_cndmask_b32_e64 v7, v1, v7, s[40:41]
	v_lshl_add_u32 v8, v8, 23, v27
	v_cmp_eq_u32_e64 s[40:41], 0, v1
	v_mov_b32_e32 v1, -1
	v_lshl_or_b32 v7, v7, 21, v8
	v_cmp_gt_i16_sdwa s[42:43], sext(v10), v1 src0_sel:BYTE_0 src1_sel:DWORD
	v_mov_b32_e32 v1, 0xff800000
	v_mov_b32_e32 v8, 0x7f800000
	v_cndmask_b32_e64 v1, v1, v8, s[42:43]
	v_mov_b32_e32 v8, 0x7f800001
	v_add_u32_e32 v7, 0x38000000, v7
	v_cndmask_b32_e64 v1, v8, v1, s[40:41]
	v_cndmask_b32_e32 v1, v7, v1, vcc
.LBB6_25549:                            ;   in Loop: Header=BB6_24817 Depth=3
	s_or_b64 exec, exec, s[38:39]
	v_add_f32_e32 v8, v6, v1
	v_and_b32_e32 v37, 0x7f800000, v8
	v_mov_b32_e32 v38, v33
	v_cmp_ne_u64_e32 vcc, s[76:77], v[37:38]
	v_and_b32_e32 v6, 0x7fffff, v8
	v_mov_b32_e32 v7, v33
                                        ; implicit-def: $vgpr27
	s_and_saveexec_b64 s[40:41], vcc
	s_xor_b64 s[42:43], exec, s[40:41]
	s_cbranch_execz .LBB6_25563
; %bb.25550:                            ;   in Loop: Header=BB6_24817 Depth=3
	v_and_b32_e32 v37, 0x7fffffff, v8
	v_mov_b32_e32 v38, v33
	v_cmp_gt_u64_e32 vcc, s[78:79], v[37:38]
	v_and_b32_sdwa v1, v8, s97 dst_sel:DWORD dst_unused:UNUSED_PAD src0_sel:BYTE_3 src1_sel:DWORD
                                        ; implicit-def: $vgpr27
	s_and_saveexec_b64 s[40:41], vcc
	s_xor_b64 s[38:39], exec, s[40:41]
	s_cbranch_execz .LBB6_25560
; %bb.25551:                            ;   in Loop: Header=BB6_24817 Depth=3
	v_mov_b32_e32 v27, 0
	v_cmp_ne_u32_e32 vcc, 0, v8
	s_and_saveexec_b64 s[48:49], vcc
	s_cbranch_execz .LBB6_25559
; %bb.25552:                            ;   in Loop: Header=BB6_24817 Depth=3
	v_bfe_u32 v27, v8, 23, 8
	v_cmp_gt_u32_e64 s[40:41], s47, v27
	v_sub_u32_e32 v8, 0x71, v27
	v_cmp_eq_u32_e32 vcc, 0, v27
	v_cndmask_b32_e64 v8, 0, v8, s[40:41]
	v_mov_b32_e32 v31, 0x70
	v_cndmask_b32_e32 v31, v8, v31, vcc
	v_add_u32_e32 v8, 21, v31
	v_or_b32_e32 v35, 0x800000, v6
	v_lshlrev_b64 v[37:38], v8, -1
	v_cndmask_b32_e32 v6, v35, v6, vcc
	v_add_u32_e32 v8, 20, v31
	v_bfi_b32 v37, v37, 0, v6
	v_lshlrev_b64 v[48:49], v8, 1
	v_lshrrev_b64 v[6:7], v31, v[6:7]
	v_bfi_b32 v38, v38, 0, 0
	v_cmp_eq_u64_e64 s[40:41], v[37:38], v[48:49]
	v_mov_b32_e32 v8, v7
	v_mov_b32_e32 v7, v6
	s_and_saveexec_b64 s[50:51], s[40:41]
; %bb.25553:                            ;   in Loop: Header=BB6_24817 Depth=3
	v_bfe_u32 v7, v6, 21, 1
	v_add_co_u32_e64 v7, s[40:41], v6, v7
	v_add_co_u32_e64 v7, s[40:41], -1, v7
; %bb.25554:                            ;   in Loop: Header=BB6_24817 Depth=3
	s_or_b64 exec, exec, s[50:51]
	v_add_u32_e32 v8, 0xffffff81, v27
	v_mov_b32_e32 v27, 0xffffff82
	v_cndmask_b32_e32 v8, v8, v27, vcc
	v_lshrrev_b32_e32 v27, 23, v6
	v_add3_u32 v31, v31, v8, v27
	v_add_u32_e32 v27, 14, v31
	v_and_b32_e32 v7, 0x1fffff, v7
	v_add_u32_e32 v6, v7, v6
	v_mov_b32_e32 v7, v33
	v_cmp_ne_u32_e32 vcc, 0, v27
                                        ; implicit-def: $vgpr8
	s_and_saveexec_b64 s[40:41], vcc
	s_xor_b64 s[40:41], exec, s[40:41]
; %bb.25555:                            ;   in Loop: Header=BB6_24817 Depth=3
	v_cmp_lt_u64_e32 vcc, s[88:89], v[6:7]
	v_add_u32_e32 v8, 15, v31
	v_cndmask_b32_e32 v8, v27, v8, vcc
	v_cndmask_b32_e64 v27, 0, 1, vcc
	v_lshrrev_b64 v[6:7], v27, v[6:7]
; %bb.25556:                            ;   in Loop: Header=BB6_24817 Depth=3
	s_andn2_saveexec_b64 s[40:41], s[40:41]
; %bb.25557:                            ;   in Loop: Header=BB6_24817 Depth=3
	v_bfe_u32 v8, v6, 23, 1
; %bb.25558:                            ;   in Loop: Header=BB6_24817 Depth=3
	s_or_b64 exec, exec, s[40:41]
	v_lshrrev_b64 v[6:7], 21, v[6:7]
	v_cmp_gt_i32_e32 vcc, 32, v8
	v_cndmask_b32_e32 v7, 0, v7, vcc
	v_cndmask_b32_e32 v6, 3, v6, vcc
	v_cmp_eq_u64_e64 s[40:41], 0, v[6:7]
	v_min_i32_e32 v7, 31, v8
	v_lshlrev_b32_e32 v7, 2, v7
	v_cmp_eq_u32_e32 vcc, 0, v8
	v_and_b32_e32 v7, 0xfc, v7
	v_and_or_b32 v6, v6, 3, v7
	s_and_b64 s[40:41], vcc, s[40:41]
	v_cndmask_b32_e64 v6, v6, 0, s[40:41]
	v_or_b32_e32 v27, v6, v1
.LBB6_25559:                            ;   in Loop: Header=BB6_24817 Depth=3
	s_or_b64 exec, exec, s[48:49]
                                        ; implicit-def: $vgpr1
.LBB6_25560:                            ;   in Loop: Header=BB6_24817 Depth=3
	s_andn2_saveexec_b64 s[40:41], s[38:39]
; %bb.25561:                            ;   in Loop: Header=BB6_24817 Depth=3
	v_or_b32_e32 v27, 0x7b, v1
; %bb.25562:                            ;   in Loop: Header=BB6_24817 Depth=3
	s_or_b64 exec, exec, s[40:41]
                                        ; implicit-def: $vgpr8
                                        ; implicit-def: $vgpr6_vgpr7
.LBB6_25563:                            ;   in Loop: Header=BB6_24817 Depth=3
	s_andn2_saveexec_b64 s[40:41], s[42:43]
	s_cbranch_execz .LBB6_25569
; %bb.25564:                            ;   in Loop: Header=BB6_24817 Depth=3
	v_cmp_ne_u64_e32 vcc, 0, v[6:7]
                                        ; implicit-def: $vgpr27
	s_and_saveexec_b64 s[42:43], vcc
	s_xor_b64 s[42:43], exec, s[42:43]
; %bb.25565:                            ;   in Loop: Header=BB6_24817 Depth=3
	v_or_b32_sdwa v27, v8, s44 dst_sel:DWORD dst_unused:UNUSED_PAD src0_sel:BYTE_3 src1_sel:DWORD
                                        ; implicit-def: $vgpr8
; %bb.25566:                            ;   in Loop: Header=BB6_24817 Depth=3
	s_andn2_saveexec_b64 s[42:43], s[42:43]
; %bb.25567:                            ;   in Loop: Header=BB6_24817 Depth=3
	v_cmp_lt_i32_e32 vcc, -1, v8
	v_bfrev_b32_e32 v1, 0.5
	v_mov_b32_e32 v6, 0x7c
	v_cndmask_b32_e32 v27, v1, v6, vcc
; %bb.25568:                            ;   in Loop: Header=BB6_24817 Depth=3
	s_or_b64 exec, exec, s[42:43]
.LBB6_25569:                            ;   in Loop: Header=BB6_24817 Depth=3
	s_or_b64 exec, exec, s[40:41]
	v_lshrrev_b16_e32 v6, 8, v9
	v_cmp_ne_u16_e32 vcc, 0, v6
	v_mov_b32_e32 v1, 0
	s_and_saveexec_b64 s[40:41], vcc
	s_cbranch_execz .LBB6_25577
; %bb.25570:                            ;   in Loop: Header=BB6_24817 Depth=3
	v_cmp_ne_u16_e32 vcc, s97, v6
	v_bfrev_b32_e32 v1, 1
	s_and_saveexec_b64 s[42:43], vcc
	s_cbranch_execz .LBB6_25576
; %bb.25571:                            ;   in Loop: Header=BB6_24817 Depth=3
	v_and_b32_e32 v1, 0x7c, v6
	v_and_b32_e32 v8, 3, v6
	v_cmp_ne_u32_e32 vcc, s86, v1
                                        ; implicit-def: $vgpr1
	s_and_saveexec_b64 s[62:63], vcc
	s_xor_b64 s[38:39], exec, s[62:63]
	s_cbranch_execz .LBB6_25573
; %bb.25572:                            ;   in Loop: Header=BB6_24817 Depth=3
	v_ffbh_u32_e32 v31, v8
	v_min_u32_e32 v31, 32, v31
	v_mov_b32_e32 v7, v33
	v_subrev_u32_e32 v35, 29, v31
	v_bfe_u32 v1, v6, 2, 5
	v_lshlrev_b64 v[6:7], v35, v[6:7]
	v_sub_u32_e32 v7, 30, v31
	v_cmp_eq_u32_e32 vcc, 0, v1
	v_cndmask_b32_e32 v1, v1, v7, vcc
	v_lshlrev_b32_e32 v7, 16, v9
	v_and_b32_e32 v6, 3, v6
	v_and_b32_e32 v7, 0x80000000, v7
	v_cndmask_b32_e32 v6, v8, v6, vcc
	v_lshl_add_u32 v1, v1, 23, v7
	v_lshl_or_b32 v1, v6, 21, v1
	v_add_u32_e32 v1, 0x38000000, v1
                                        ; implicit-def: $vgpr8
                                        ; implicit-def: $vgpr9
.LBB6_25573:                            ;   in Loop: Header=BB6_24817 Depth=3
	s_andn2_saveexec_b64 s[38:39], s[38:39]
; %bb.25574:                            ;   in Loop: Header=BB6_24817 Depth=3
	v_cmp_lt_i16_e32 vcc, -1, v9
	v_mov_b32_e32 v1, 0xff800000
	v_mov_b32_e32 v6, 0x7f800000
	v_cndmask_b32_e32 v1, v1, v6, vcc
	v_cmp_eq_u32_e32 vcc, 0, v8
	v_mov_b32_e32 v6, 0x7f800001
	v_cndmask_b32_e32 v1, v6, v1, vcc
; %bb.25575:                            ;   in Loop: Header=BB6_24817 Depth=3
	s_or_b64 exec, exec, s[38:39]
.LBB6_25576:                            ;   in Loop: Header=BB6_24817 Depth=3
	s_or_b64 exec, exec, s[42:43]
.LBB6_25577:                            ;   in Loop: Header=BB6_24817 Depth=3
	s_or_b64 exec, exec, s[40:41]
	v_lshrrev_b16_e32 v6, 8, v10
	v_cmp_lt_i16_e32 vcc, s44, v6
	s_mov_b64 s[40:41], 0
	s_and_saveexec_b64 s[42:43], vcc
	s_xor_b64 s[42:43], exec, s[42:43]
	s_cbranch_execz .LBB6_25808
; %bb.25578:                            ;   in Loop: Header=BB6_24817 Depth=3
	v_cmp_eq_u16_e32 vcc, s97, v6
	s_mov_b64 s[40:41], -1
	s_and_saveexec_b64 s[38:39], vcc
; %bb.25579:                            ;   in Loop: Header=BB6_24817 Depth=3
	s_xor_b64 s[40:41], exec, -1
; %bb.25580:                            ;   in Loop: Header=BB6_24817 Depth=3
	s_or_b64 exec, exec, s[38:39]
	s_and_b64 s[40:41], s[40:41], exec
	s_or_saveexec_b64 s[42:43], s[42:43]
	v_bfrev_b32_e32 v7, 1
	s_xor_b64 exec, exec, s[42:43]
	s_cbranch_execnz .LBB6_25809
.LBB6_25581:                            ;   in Loop: Header=BB6_24817 Depth=3
	s_or_b64 exec, exec, s[42:43]
	s_and_saveexec_b64 s[38:39], s[40:41]
	s_cbranch_execz .LBB6_25583
.LBB6_25582:                            ;   in Loop: Header=BB6_24817 Depth=3
	v_and_b32_e32 v9, 3, v6
	v_and_b32_e32 v8, 0x7c, v6
	v_cmp_eq_u32_e32 vcc, s86, v8
	v_ffbh_u32_e32 v8, v9
	v_min_u32_e32 v35, 32, v8
	v_mov_b32_e32 v7, v33
	v_subrev_u32_e32 v8, 29, v35
	v_bfe_u32 v31, v6, 2, 5
	v_lshlrev_b64 v[7:8], v8, v[6:7]
	v_cmp_eq_u32_e64 s[40:41], 0, v31
	v_sub_u32_e32 v8, 30, v35
	v_lshlrev_b32_e32 v6, 24, v6
	v_and_b32_e32 v7, 3, v7
	v_cndmask_b32_e64 v8, v31, v8, s[40:41]
	v_and_b32_e32 v6, 0x80000000, v6
	v_cndmask_b32_e64 v7, v9, v7, s[40:41]
	v_lshl_add_u32 v6, v8, 23, v6
	v_lshl_or_b32 v6, v7, 21, v6
	v_cmp_lt_i16_e64 s[42:43], -1, v10
	v_mov_b32_e32 v7, 0xff800000
	v_mov_b32_e32 v8, 0x7f800000
	v_cmp_eq_u32_e64 s[40:41], 0, v9
	v_cndmask_b32_e64 v7, v7, v8, s[42:43]
	v_mov_b32_e32 v8, 0x7f800001
	v_add_u32_e32 v6, 0x38000000, v6
	v_cndmask_b32_e64 v7, v8, v7, s[40:41]
	v_cndmask_b32_e32 v7, v6, v7, vcc
.LBB6_25583:                            ;   in Loop: Header=BB6_24817 Depth=3
	s_or_b64 exec, exec, s[38:39]
	v_add_f32_e32 v8, v1, v7
	v_and_b32_e32 v37, 0x7f800000, v8
	v_mov_b32_e32 v38, v33
	v_cmp_ne_u64_e32 vcc, s[76:77], v[37:38]
	v_and_b32_e32 v6, 0x7fffff, v8
	v_mov_b32_e32 v7, v33
                                        ; implicit-def: $vgpr31
	s_and_saveexec_b64 s[40:41], vcc
	s_xor_b64 s[42:43], exec, s[40:41]
	s_cbranch_execz .LBB6_25597
; %bb.25584:                            ;   in Loop: Header=BB6_24817 Depth=3
	v_and_b32_e32 v37, 0x7fffffff, v8
	v_mov_b32_e32 v38, v33
	v_cmp_gt_u64_e32 vcc, s[78:79], v[37:38]
	v_and_b32_sdwa v1, v8, s97 dst_sel:DWORD dst_unused:UNUSED_PAD src0_sel:BYTE_3 src1_sel:DWORD
                                        ; implicit-def: $vgpr31
	s_and_saveexec_b64 s[40:41], vcc
	s_xor_b64 s[38:39], exec, s[40:41]
	s_cbranch_execz .LBB6_25594
; %bb.25585:                            ;   in Loop: Header=BB6_24817 Depth=3
	v_mov_b32_e32 v31, 0
	v_cmp_ne_u32_e32 vcc, 0, v8
	s_and_saveexec_b64 s[48:49], vcc
	s_cbranch_execz .LBB6_25593
; %bb.25586:                            ;   in Loop: Header=BB6_24817 Depth=3
	v_bfe_u32 v9, v8, 23, 8
	v_cmp_gt_u32_e64 s[40:41], s47, v9
	v_sub_u32_e32 v8, 0x71, v9
	v_cmp_eq_u32_e32 vcc, 0, v9
	v_cndmask_b32_e64 v8, 0, v8, s[40:41]
	v_mov_b32_e32 v31, 0x70
	v_cndmask_b32_e32 v31, v8, v31, vcc
	v_add_u32_e32 v8, 21, v31
	v_or_b32_e32 v35, 0x800000, v6
	v_lshlrev_b64 v[37:38], v8, -1
	v_cndmask_b32_e32 v6, v35, v6, vcc
	v_add_u32_e32 v8, 20, v31
	v_bfi_b32 v37, v37, 0, v6
	v_lshlrev_b64 v[48:49], v8, 1
	v_lshrrev_b64 v[6:7], v31, v[6:7]
	v_bfi_b32 v38, v38, 0, 0
	v_cmp_eq_u64_e64 s[40:41], v[37:38], v[48:49]
	v_mov_b32_e32 v8, v7
	v_mov_b32_e32 v7, v6
	s_and_saveexec_b64 s[50:51], s[40:41]
; %bb.25587:                            ;   in Loop: Header=BB6_24817 Depth=3
	v_bfe_u32 v7, v6, 21, 1
	v_add_co_u32_e64 v7, s[40:41], v6, v7
	v_add_co_u32_e64 v7, s[40:41], -1, v7
; %bb.25588:                            ;   in Loop: Header=BB6_24817 Depth=3
	s_or_b64 exec, exec, s[50:51]
	v_add_u32_e32 v8, 0xffffff81, v9
	v_mov_b32_e32 v9, 0xffffff82
	v_cndmask_b32_e32 v8, v8, v9, vcc
	v_lshrrev_b32_e32 v9, 23, v6
	v_add3_u32 v31, v31, v8, v9
	v_add_u32_e32 v9, 14, v31
	v_and_b32_e32 v7, 0x1fffff, v7
	v_add_u32_e32 v6, v7, v6
	v_mov_b32_e32 v7, v33
	v_cmp_ne_u32_e32 vcc, 0, v9
                                        ; implicit-def: $vgpr8
	s_and_saveexec_b64 s[40:41], vcc
	s_xor_b64 s[40:41], exec, s[40:41]
; %bb.25589:                            ;   in Loop: Header=BB6_24817 Depth=3
	v_cmp_lt_u64_e32 vcc, s[88:89], v[6:7]
	v_add_u32_e32 v8, 15, v31
	v_cndmask_b32_e32 v8, v9, v8, vcc
	v_cndmask_b32_e64 v9, 0, 1, vcc
	v_lshrrev_b64 v[6:7], v9, v[6:7]
; %bb.25590:                            ;   in Loop: Header=BB6_24817 Depth=3
	s_andn2_saveexec_b64 s[40:41], s[40:41]
; %bb.25591:                            ;   in Loop: Header=BB6_24817 Depth=3
	v_bfe_u32 v8, v6, 23, 1
; %bb.25592:                            ;   in Loop: Header=BB6_24817 Depth=3
	s_or_b64 exec, exec, s[40:41]
	v_lshrrev_b64 v[6:7], 21, v[6:7]
	v_cmp_gt_i32_e32 vcc, 32, v8
	v_cndmask_b32_e32 v7, 0, v7, vcc
	v_cndmask_b32_e32 v6, 3, v6, vcc
	v_cmp_eq_u64_e64 s[40:41], 0, v[6:7]
	v_min_i32_e32 v7, 31, v8
	v_lshlrev_b32_e32 v7, 2, v7
	v_cmp_eq_u32_e32 vcc, 0, v8
	v_and_b32_e32 v7, 0xfc, v7
	v_and_or_b32 v6, v6, 3, v7
	s_and_b64 s[40:41], vcc, s[40:41]
	v_cndmask_b32_e64 v6, v6, 0, s[40:41]
	v_or_b32_e32 v31, v6, v1
.LBB6_25593:                            ;   in Loop: Header=BB6_24817 Depth=3
	s_or_b64 exec, exec, s[48:49]
                                        ; implicit-def: $vgpr1
.LBB6_25594:                            ;   in Loop: Header=BB6_24817 Depth=3
	s_andn2_saveexec_b64 s[40:41], s[38:39]
; %bb.25595:                            ;   in Loop: Header=BB6_24817 Depth=3
	v_or_b32_e32 v31, 0x7b, v1
; %bb.25596:                            ;   in Loop: Header=BB6_24817 Depth=3
	s_or_b64 exec, exec, s[40:41]
                                        ; implicit-def: $vgpr8
                                        ; implicit-def: $vgpr6_vgpr7
.LBB6_25597:                            ;   in Loop: Header=BB6_24817 Depth=3
	s_andn2_saveexec_b64 s[40:41], s[42:43]
	s_cbranch_execz .LBB6_25603
; %bb.25598:                            ;   in Loop: Header=BB6_24817 Depth=3
	v_cmp_ne_u64_e32 vcc, 0, v[6:7]
                                        ; implicit-def: $vgpr31
	s_and_saveexec_b64 s[42:43], vcc
	s_xor_b64 s[42:43], exec, s[42:43]
; %bb.25599:                            ;   in Loop: Header=BB6_24817 Depth=3
	v_or_b32_sdwa v31, v8, s44 dst_sel:DWORD dst_unused:UNUSED_PAD src0_sel:BYTE_3 src1_sel:DWORD
                                        ; implicit-def: $vgpr8
; %bb.25600:                            ;   in Loop: Header=BB6_24817 Depth=3
	s_andn2_saveexec_b64 s[42:43], s[42:43]
; %bb.25601:                            ;   in Loop: Header=BB6_24817 Depth=3
	v_cmp_lt_i32_e32 vcc, -1, v8
	v_bfrev_b32_e32 v1, 0.5
	v_mov_b32_e32 v6, 0x7c
	v_cndmask_b32_e32 v31, v1, v6, vcc
; %bb.25602:                            ;   in Loop: Header=BB6_24817 Depth=3
	s_or_b64 exec, exec, s[42:43]
.LBB6_25603:                            ;   in Loop: Header=BB6_24817 Depth=3
	s_or_b64 exec, exec, s[40:41]
	v_and_b32_sdwa v7, v0, s96 dst_sel:DWORD dst_unused:UNUSED_PAD src0_sel:WORD_1 src1_sel:DWORD
	v_lshrrev_b32_e32 v1, 16, v0
	v_cmp_ne_u16_e32 vcc, 0, v7
	v_mov_b32_e32 v6, 0
	s_and_saveexec_b64 s[40:41], vcc
	s_cbranch_execz .LBB6_25611
; %bb.25604:                            ;   in Loop: Header=BB6_24817 Depth=3
	v_cmp_ne_u16_e32 vcc, s97, v7
	v_bfrev_b32_e32 v6, 1
	s_and_saveexec_b64 s[42:43], vcc
	s_cbranch_execz .LBB6_25610
; %bb.25605:                            ;   in Loop: Header=BB6_24817 Depth=3
	v_and_b32_e32 v6, 0x7c0000, v0
	v_bfe_u32 v7, v0, 16, 2
	v_cmp_ne_u32_e32 vcc, s45, v6
                                        ; implicit-def: $vgpr6
	s_and_saveexec_b64 s[62:63], vcc
	s_xor_b64 s[38:39], exec, s[62:63]
	s_cbranch_execz .LBB6_25607
; %bb.25606:                            ;   in Loop: Header=BB6_24817 Depth=3
	v_ffbh_u32_e32 v8, v7
	v_min_u32_e32 v35, 32, v8
	v_subrev_u32_e32 v8, 29, v35
	v_lshlrev_b64 v[8:9], v8, v[1:2]
	v_bfe_u32 v6, v0, 18, 5
	v_sub_u32_e32 v1, 30, v35
	v_and_b32_e32 v8, 3, v8
	v_cmp_eq_u32_e32 vcc, 0, v6
	v_cndmask_b32_e32 v1, v6, v1, vcc
	v_cndmask_b32_e32 v6, v7, v8, vcc
	v_lshlrev_b32_e32 v7, 8, v0
	v_and_b32_e32 v7, 0x80000000, v7
	v_lshl_add_u32 v1, v1, 23, v7
	v_lshl_or_b32 v1, v6, 21, v1
	v_add_u32_e32 v6, 0x38000000, v1
                                        ; implicit-def: $vgpr7
                                        ; implicit-def: $vgpr1
.LBB6_25607:                            ;   in Loop: Header=BB6_24817 Depth=3
	s_andn2_saveexec_b64 s[38:39], s[38:39]
; %bb.25608:                            ;   in Loop: Header=BB6_24817 Depth=3
	v_mov_b32_e32 v6, -1
	v_cmp_gt_i16_sdwa vcc, sext(v1), v6 src0_sel:BYTE_0 src1_sel:DWORD
	v_mov_b32_e32 v1, 0xff800000
	v_mov_b32_e32 v6, 0x7f800000
	v_cndmask_b32_e32 v1, v1, v6, vcc
	v_cmp_eq_u32_e32 vcc, 0, v7
	v_mov_b32_e32 v6, 0x7f800001
	v_cndmask_b32_e32 v6, v6, v1, vcc
; %bb.25609:                            ;   in Loop: Header=BB6_24817 Depth=3
	s_or_b64 exec, exec, s[38:39]
.LBB6_25610:                            ;   in Loop: Header=BB6_24817 Depth=3
	s_or_b64 exec, exec, s[42:43]
.LBB6_25611:                            ;   in Loop: Header=BB6_24817 Depth=3
	s_or_b64 exec, exec, s[40:41]
	v_lshrrev_b32_e32 v1, 16, v10
	v_cmp_gt_i16_sdwa s[42:43], v1, s44 src0_sel:BYTE_0 src1_sel:DWORD
	s_mov_b64 s[40:41], 0
	s_and_saveexec_b64 s[62:63], s[42:43]
	s_xor_b64 s[42:43], exec, s[62:63]
	s_cbranch_execz .LBB6_25810
; %bb.25612:                            ;   in Loop: Header=BB6_24817 Depth=3
	v_cmp_eq_u16_sdwa s[62:63], v1, s97 src0_sel:BYTE_0 src1_sel:DWORD
	s_mov_b64 s[40:41], -1
	s_and_saveexec_b64 vcc, s[62:63]
; %bb.25613:                            ;   in Loop: Header=BB6_24817 Depth=3
	s_xor_b64 s[40:41], exec, -1
; %bb.25614:                            ;   in Loop: Header=BB6_24817 Depth=3
	s_or_b64 exec, exec, vcc
	s_and_b64 s[40:41], s[40:41], exec
	s_or_saveexec_b64 s[42:43], s[42:43]
	v_bfrev_b32_e32 v7, 1
	s_xor_b64 exec, exec, s[42:43]
	s_cbranch_execnz .LBB6_25811
.LBB6_25615:                            ;   in Loop: Header=BB6_24817 Depth=3
	s_or_b64 exec, exec, s[42:43]
	s_and_saveexec_b64 s[38:39], s[40:41]
	s_cbranch_execz .LBB6_25617
.LBB6_25616:                            ;   in Loop: Header=BB6_24817 Depth=3
	v_and_b32_e32 v9, 3, v1
	v_and_b32_e32 v7, 0x7c0000, v10
	v_cmp_eq_u32_e32 vcc, s45, v7
	v_ffbh_u32_e32 v7, v9
	v_min_u32_e32 v37, 32, v7
	v_subrev_u32_e32 v7, 29, v37
	v_bfe_u32 v35, v10, 18, 5
	v_lshlrev_b64 v[7:8], v7, v[1:2]
	v_cmp_eq_u32_e64 s[40:41], 0, v35
	v_sub_u32_e32 v8, 30, v37
	v_cndmask_b32_e64 v8, v35, v8, s[40:41]
	v_lshlrev_b32_e32 v35, 24, v1
	v_and_b32_e32 v7, 3, v7
	v_and_b32_e32 v35, 0x80000000, v35
	v_cndmask_b32_e64 v7, v9, v7, s[40:41]
	v_lshl_add_u32 v8, v8, 23, v35
	v_lshl_or_b32 v7, v7, 21, v8
	v_mov_b32_e32 v8, -1
	v_cmp_gt_i16_sdwa s[42:43], sext(v1), v8 src0_sel:BYTE_0 src1_sel:DWORD
	v_mov_b32_e32 v1, 0xff800000
	v_mov_b32_e32 v8, 0x7f800000
	v_cmp_eq_u32_e64 s[40:41], 0, v9
	v_cndmask_b32_e64 v1, v1, v8, s[42:43]
	v_mov_b32_e32 v8, 0x7f800001
	v_add_u32_e32 v7, 0x38000000, v7
	v_cndmask_b32_e64 v1, v8, v1, s[40:41]
	v_cndmask_b32_e32 v7, v7, v1, vcc
.LBB6_25617:                            ;   in Loop: Header=BB6_24817 Depth=3
	s_or_b64 exec, exec, s[38:39]
	v_add_f32_e32 v8, v6, v7
	v_and_b32_e32 v37, 0x7f800000, v8
	v_mov_b32_e32 v38, v33
	v_cmp_ne_u64_e32 vcc, s[76:77], v[37:38]
	v_and_b32_e32 v6, 0x7fffff, v8
	v_mov_b32_e32 v7, v33
                                        ; implicit-def: $vgpr35
	s_and_saveexec_b64 s[40:41], vcc
	s_xor_b64 s[42:43], exec, s[40:41]
	s_cbranch_execz .LBB6_25631
; %bb.25618:                            ;   in Loop: Header=BB6_24817 Depth=3
	v_and_b32_e32 v37, 0x7fffffff, v8
	v_mov_b32_e32 v38, v33
	v_cmp_gt_u64_e32 vcc, s[78:79], v[37:38]
	v_and_b32_sdwa v1, v8, s97 dst_sel:DWORD dst_unused:UNUSED_PAD src0_sel:BYTE_3 src1_sel:DWORD
                                        ; implicit-def: $vgpr35
	s_and_saveexec_b64 s[40:41], vcc
	s_xor_b64 s[38:39], exec, s[40:41]
	s_cbranch_execz .LBB6_25628
; %bb.25619:                            ;   in Loop: Header=BB6_24817 Depth=3
	v_mov_b32_e32 v35, 0
	v_cmp_ne_u32_e32 vcc, 0, v8
	s_and_saveexec_b64 s[48:49], vcc
	s_cbranch_execz .LBB6_25627
; %bb.25620:                            ;   in Loop: Header=BB6_24817 Depth=3
	v_bfe_u32 v9, v8, 23, 8
	v_cmp_gt_u32_e64 s[40:41], s47, v9
	v_sub_u32_e32 v8, 0x71, v9
	v_cmp_eq_u32_e32 vcc, 0, v9
	v_cndmask_b32_e64 v8, 0, v8, s[40:41]
	v_mov_b32_e32 v35, 0x70
	v_cndmask_b32_e32 v35, v8, v35, vcc
	v_or_b32_e32 v37, 0x800000, v6
	v_add_u32_e32 v8, 21, v35
	v_cndmask_b32_e32 v6, v37, v6, vcc
	v_lshlrev_b64 v[37:38], v8, -1
	v_add_u32_e32 v8, 20, v35
	v_bfi_b32 v37, v37, 0, v6
	v_lshlrev_b64 v[48:49], v8, 1
	v_lshrrev_b64 v[6:7], v35, v[6:7]
	v_bfi_b32 v38, v38, 0, 0
	v_cmp_eq_u64_e64 s[40:41], v[37:38], v[48:49]
	v_mov_b32_e32 v8, v7
	v_mov_b32_e32 v7, v6
	s_and_saveexec_b64 s[50:51], s[40:41]
; %bb.25621:                            ;   in Loop: Header=BB6_24817 Depth=3
	v_bfe_u32 v7, v6, 21, 1
	v_add_co_u32_e64 v7, s[40:41], v6, v7
	v_add_co_u32_e64 v7, s[40:41], -1, v7
; %bb.25622:                            ;   in Loop: Header=BB6_24817 Depth=3
	s_or_b64 exec, exec, s[50:51]
	v_add_u32_e32 v8, 0xffffff81, v9
	v_mov_b32_e32 v9, 0xffffff82
	v_cndmask_b32_e32 v8, v8, v9, vcc
	v_lshrrev_b32_e32 v9, 23, v6
	v_add3_u32 v35, v35, v8, v9
	v_add_u32_e32 v9, 14, v35
	v_and_b32_e32 v7, 0x1fffff, v7
	v_add_u32_e32 v6, v7, v6
	v_mov_b32_e32 v7, v33
	v_cmp_ne_u32_e32 vcc, 0, v9
                                        ; implicit-def: $vgpr8
	s_and_saveexec_b64 s[40:41], vcc
	s_xor_b64 s[40:41], exec, s[40:41]
; %bb.25623:                            ;   in Loop: Header=BB6_24817 Depth=3
	v_cmp_lt_u64_e32 vcc, s[88:89], v[6:7]
	v_add_u32_e32 v8, 15, v35
	v_cndmask_b32_e32 v8, v9, v8, vcc
	v_cndmask_b32_e64 v9, 0, 1, vcc
	v_lshrrev_b64 v[6:7], v9, v[6:7]
; %bb.25624:                            ;   in Loop: Header=BB6_24817 Depth=3
	s_andn2_saveexec_b64 s[40:41], s[40:41]
; %bb.25625:                            ;   in Loop: Header=BB6_24817 Depth=3
	v_bfe_u32 v8, v6, 23, 1
; %bb.25626:                            ;   in Loop: Header=BB6_24817 Depth=3
	s_or_b64 exec, exec, s[40:41]
	v_lshrrev_b64 v[6:7], 21, v[6:7]
	v_cmp_gt_i32_e32 vcc, 32, v8
	v_cndmask_b32_e32 v7, 0, v7, vcc
	v_cndmask_b32_e32 v6, 3, v6, vcc
	v_cmp_eq_u64_e64 s[40:41], 0, v[6:7]
	v_min_i32_e32 v7, 31, v8
	v_lshlrev_b32_e32 v7, 2, v7
	v_cmp_eq_u32_e32 vcc, 0, v8
	v_and_b32_e32 v7, 0xfc, v7
	v_and_or_b32 v6, v6, 3, v7
	s_and_b64 s[40:41], vcc, s[40:41]
	v_cndmask_b32_e64 v6, v6, 0, s[40:41]
	v_or_b32_e32 v35, v6, v1
.LBB6_25627:                            ;   in Loop: Header=BB6_24817 Depth=3
	s_or_b64 exec, exec, s[48:49]
                                        ; implicit-def: $vgpr1
.LBB6_25628:                            ;   in Loop: Header=BB6_24817 Depth=3
	s_andn2_saveexec_b64 s[40:41], s[38:39]
; %bb.25629:                            ;   in Loop: Header=BB6_24817 Depth=3
	v_or_b32_e32 v35, 0x7b, v1
; %bb.25630:                            ;   in Loop: Header=BB6_24817 Depth=3
	s_or_b64 exec, exec, s[40:41]
                                        ; implicit-def: $vgpr8
                                        ; implicit-def: $vgpr6_vgpr7
.LBB6_25631:                            ;   in Loop: Header=BB6_24817 Depth=3
	s_andn2_saveexec_b64 s[40:41], s[42:43]
	s_cbranch_execz .LBB6_25637
; %bb.25632:                            ;   in Loop: Header=BB6_24817 Depth=3
	v_cmp_ne_u64_e32 vcc, 0, v[6:7]
                                        ; implicit-def: $vgpr35
	s_and_saveexec_b64 s[42:43], vcc
	s_xor_b64 s[42:43], exec, s[42:43]
; %bb.25633:                            ;   in Loop: Header=BB6_24817 Depth=3
	v_or_b32_sdwa v35, v8, s44 dst_sel:DWORD dst_unused:UNUSED_PAD src0_sel:BYTE_3 src1_sel:DWORD
                                        ; implicit-def: $vgpr8
; %bb.25634:                            ;   in Loop: Header=BB6_24817 Depth=3
	s_andn2_saveexec_b64 s[42:43], s[42:43]
; %bb.25635:                            ;   in Loop: Header=BB6_24817 Depth=3
	v_cmp_lt_i32_e32 vcc, -1, v8
	v_bfrev_b32_e32 v1, 0.5
	v_mov_b32_e32 v6, 0x7c
	v_cndmask_b32_e32 v35, v1, v6, vcc
; %bb.25636:                            ;   in Loop: Header=BB6_24817 Depth=3
	s_or_b64 exec, exec, s[42:43]
.LBB6_25637:                            ;   in Loop: Header=BB6_24817 Depth=3
	s_or_b64 exec, exec, s[40:41]
	v_cmp_lt_u32_e32 vcc, s57, v0
	v_mov_b32_e32 v6, 0
	s_and_saveexec_b64 s[40:41], vcc
	s_cbranch_execz .LBB6_25645
; %bb.25638:                            ;   in Loop: Header=BB6_24817 Depth=3
	v_lshrrev_b32_e32 v1, 24, v0
	v_cmp_ne_u32_e32 vcc, s97, v1
	v_bfrev_b32_e32 v6, 1
	s_and_saveexec_b64 s[42:43], vcc
	s_cbranch_execz .LBB6_25644
; %bb.25639:                            ;   in Loop: Header=BB6_24817 Depth=3
	v_and_b32_e32 v6, 0x7c000000, v0
	v_bfe_u32 v7, v0, 24, 2
	v_cmp_ne_u32_e32 vcc, s68, v6
                                        ; implicit-def: $vgpr6
	s_and_saveexec_b64 s[62:63], vcc
	s_xor_b64 s[38:39], exec, s[62:63]
	s_cbranch_execz .LBB6_25641
; %bb.25640:                            ;   in Loop: Header=BB6_24817 Depth=3
	v_ffbh_u32_e32 v8, v7
	v_min_u32_e32 v37, 32, v8
	v_subrev_u32_e32 v8, 29, v37
	v_bfe_u32 v6, v0, 26, 5
	v_lshlrev_b64 v[8:9], v8, v[1:2]
	v_sub_u32_e32 v1, 30, v37
	v_cmp_eq_u32_e32 vcc, 0, v6
	v_and_b32_e32 v8, 3, v8
	v_cndmask_b32_e32 v1, v6, v1, vcc
	v_and_b32_e32 v0, 0x80000000, v0
	v_cndmask_b32_e32 v6, v7, v8, vcc
	v_lshl_add_u32 v0, v1, 23, v0
	v_lshl_or_b32 v0, v6, 21, v0
	v_add_u32_e32 v6, 0x38000000, v0
                                        ; implicit-def: $vgpr7
                                        ; implicit-def: $vgpr0_vgpr1
.LBB6_25641:                            ;   in Loop: Header=BB6_24817 Depth=3
	s_andn2_saveexec_b64 s[38:39], s[38:39]
; %bb.25642:                            ;   in Loop: Header=BB6_24817 Depth=3
	v_cmp_lt_i32_e32 vcc, -1, v0
	v_mov_b32_e32 v0, 0xff800000
	v_mov_b32_e32 v1, 0x7f800000
	v_cndmask_b32_e32 v0, v0, v1, vcc
	v_cmp_eq_u32_e32 vcc, 0, v7
	v_mov_b32_e32 v1, 0x7f800001
	v_cndmask_b32_e32 v6, v1, v0, vcc
; %bb.25643:                            ;   in Loop: Header=BB6_24817 Depth=3
	s_or_b64 exec, exec, s[38:39]
.LBB6_25644:                            ;   in Loop: Header=BB6_24817 Depth=3
	s_or_b64 exec, exec, s[42:43]
.LBB6_25645:                            ;   in Loop: Header=BB6_24817 Depth=3
	s_or_b64 exec, exec, s[40:41]
	v_bfe_u32 v1, v10, 24, 2
	v_and_b32_e32 v7, 0x7c000000, v10
	v_cmp_eq_u32_e32 vcc, s68, v7
	v_ffbh_u32_e32 v7, v1
	v_min_u32_e32 v37, 32, v7
	v_lshrrev_b32_e32 v0, 24, v10
	v_subrev_u32_e32 v7, 29, v37
	v_bfe_u32 v9, v10, 26, 5
	v_lshlrev_b64 v[7:8], v7, v[0:1]
	v_cmp_eq_u32_e64 s[40:41], 0, v9
	v_sub_u32_e32 v8, 30, v37
	v_and_b32_e32 v7, 3, v7
	v_cndmask_b32_e64 v8, v9, v8, s[40:41]
	v_and_b32_e32 v9, 0x80000000, v10
	v_cndmask_b32_e64 v7, v1, v7, s[40:41]
	v_lshl_add_u32 v8, v8, 23, v9
	v_lshl_or_b32 v7, v7, 21, v8
	v_cmp_eq_u32_e64 s[40:41], 0, v1
	v_cmp_lt_i32_e64 s[42:43], -1, v10
	v_mov_b32_e32 v1, 0xff800000
	v_mov_b32_e32 v8, 0x7f800000
	v_cndmask_b32_e64 v1, v1, v8, s[42:43]
	v_mov_b32_e32 v8, 0x7f800001
	v_add_u32_e32 v7, 0x38000000, v7
	v_cndmask_b32_e64 v1, v8, v1, s[40:41]
	v_cndmask_b32_e32 v1, v7, v1, vcc
	v_cmp_ne_u32_e32 vcc, s97, v0
	v_bfrev_b32_e32 v0, 1
	v_cndmask_b32_e32 v0, v0, v1, vcc
	v_cmp_lt_u32_e32 vcc, s57, v10
	v_cndmask_b32_e32 v0, 0, v0, vcc
	v_add_f32_e32 v6, v0, v6
	v_and_b32_e32 v7, 0x7f800000, v6
	v_mov_b32_e32 v8, v33
	v_cmp_ne_u64_e32 vcc, s[76:77], v[7:8]
	v_and_b32_e32 v0, 0x7fffff, v6
	v_mov_b32_e32 v1, v33
                                        ; implicit-def: $vgpr37
	s_and_saveexec_b64 s[40:41], vcc
	s_xor_b64 s[42:43], exec, s[40:41]
	s_cbranch_execz .LBB6_25659
; %bb.25646:                            ;   in Loop: Header=BB6_24817 Depth=3
	v_and_b32_e32 v7, 0x7fffffff, v6
	v_mov_b32_e32 v8, v33
	v_cmp_gt_u64_e32 vcc, s[78:79], v[7:8]
	v_and_b32_sdwa v8, v6, s97 dst_sel:DWORD dst_unused:UNUSED_PAD src0_sel:BYTE_3 src1_sel:DWORD
                                        ; implicit-def: $vgpr37
	s_and_saveexec_b64 s[40:41], vcc
	s_xor_b64 s[38:39], exec, s[40:41]
	s_cbranch_execz .LBB6_25656
; %bb.25647:                            ;   in Loop: Header=BB6_24817 Depth=3
	v_mov_b32_e32 v37, 0
	v_cmp_ne_u32_e32 vcc, 0, v6
	s_and_saveexec_b64 s[48:49], vcc
	s_cbranch_execz .LBB6_25655
; %bb.25648:                            ;   in Loop: Header=BB6_24817 Depth=3
	v_bfe_u32 v9, v6, 23, 8
	v_cmp_gt_u32_e64 s[40:41], s47, v9
	v_sub_u32_e32 v6, 0x71, v9
	v_cmp_eq_u32_e32 vcc, 0, v9
	v_cndmask_b32_e64 v6, 0, v6, s[40:41]
	v_mov_b32_e32 v37, 0x70
	v_cndmask_b32_e32 v37, v6, v37, vcc
	v_or_b32_e32 v7, 0x800000, v0
	v_add_u32_e32 v6, 21, v37
	v_cndmask_b32_e32 v0, v7, v0, vcc
	v_lshlrev_b64 v[6:7], v6, -1
	v_add_u32_e32 v38, 20, v37
	v_bfi_b32 v6, v6, 0, v0
	v_lshlrev_b64 v[38:39], v38, 1
	v_lshrrev_b64 v[0:1], v37, v[0:1]
	v_bfi_b32 v7, v7, 0, 0
	v_cmp_eq_u64_e64 s[40:41], v[6:7], v[38:39]
	v_mov_b32_e32 v7, v1
	v_mov_b32_e32 v6, v0
	s_and_saveexec_b64 s[50:51], s[40:41]
; %bb.25649:                            ;   in Loop: Header=BB6_24817 Depth=3
	v_bfe_u32 v1, v0, 21, 1
	v_add_co_u32_e64 v1, s[40:41], v0, v1
	v_add_co_u32_e64 v6, s[40:41], -1, v1
; %bb.25650:                            ;   in Loop: Header=BB6_24817 Depth=3
	s_or_b64 exec, exec, s[50:51]
	v_add_u32_e32 v1, 0xffffff81, v9
	v_mov_b32_e32 v7, 0xffffff82
	v_cndmask_b32_e32 v1, v1, v7, vcc
	v_lshrrev_b32_e32 v7, 23, v0
	v_add3_u32 v9, v37, v1, v7
	v_add_u32_e32 v7, 14, v9
	v_and_b32_e32 v1, 0x1fffff, v6
	v_add_u32_e32 v0, v1, v0
	v_mov_b32_e32 v1, v33
	v_cmp_ne_u32_e32 vcc, 0, v7
                                        ; implicit-def: $vgpr6
	s_and_saveexec_b64 s[40:41], vcc
	s_xor_b64 s[40:41], exec, s[40:41]
; %bb.25651:                            ;   in Loop: Header=BB6_24817 Depth=3
	v_cmp_lt_u64_e32 vcc, s[88:89], v[0:1]
	v_add_u32_e32 v6, 15, v9
	v_cndmask_b32_e32 v6, v7, v6, vcc
	v_cndmask_b32_e64 v7, 0, 1, vcc
	v_lshrrev_b64 v[0:1], v7, v[0:1]
; %bb.25652:                            ;   in Loop: Header=BB6_24817 Depth=3
	s_andn2_saveexec_b64 s[40:41], s[40:41]
; %bb.25653:                            ;   in Loop: Header=BB6_24817 Depth=3
	v_bfe_u32 v6, v0, 23, 1
; %bb.25654:                            ;   in Loop: Header=BB6_24817 Depth=3
	s_or_b64 exec, exec, s[40:41]
	v_lshrrev_b64 v[0:1], 21, v[0:1]
	v_cmp_gt_i32_e32 vcc, 32, v6
	v_cndmask_b32_e32 v1, 0, v1, vcc
	v_cndmask_b32_e32 v0, 3, v0, vcc
	v_cmp_eq_u64_e64 s[40:41], 0, v[0:1]
	v_min_i32_e32 v1, 31, v6
	v_lshlrev_b32_e32 v1, 2, v1
	v_cmp_eq_u32_e32 vcc, 0, v6
	v_and_b32_e32 v1, 0xfc, v1
	v_and_or_b32 v0, v0, 3, v1
	s_and_b64 s[40:41], vcc, s[40:41]
	v_cndmask_b32_e64 v0, v0, 0, s[40:41]
	v_or_b32_e32 v37, v0, v8
.LBB6_25655:                            ;   in Loop: Header=BB6_24817 Depth=3
	s_or_b64 exec, exec, s[48:49]
                                        ; implicit-def: $vgpr8
.LBB6_25656:                            ;   in Loop: Header=BB6_24817 Depth=3
	s_andn2_saveexec_b64 s[40:41], s[38:39]
; %bb.25657:                            ;   in Loop: Header=BB6_24817 Depth=3
	v_or_b32_e32 v37, 0x7b, v8
; %bb.25658:                            ;   in Loop: Header=BB6_24817 Depth=3
	s_or_b64 exec, exec, s[40:41]
                                        ; implicit-def: $vgpr6
                                        ; implicit-def: $vgpr0_vgpr1
.LBB6_25659:                            ;   in Loop: Header=BB6_24817 Depth=3
	s_andn2_saveexec_b64 s[40:41], s[42:43]
	s_cbranch_execz .LBB6_25665
; %bb.25660:                            ;   in Loop: Header=BB6_24817 Depth=3
	v_cmp_ne_u64_e32 vcc, 0, v[0:1]
                                        ; implicit-def: $vgpr37
	s_and_saveexec_b64 s[42:43], vcc
	s_xor_b64 s[42:43], exec, s[42:43]
; %bb.25661:                            ;   in Loop: Header=BB6_24817 Depth=3
	v_or_b32_sdwa v37, v6, s44 dst_sel:DWORD dst_unused:UNUSED_PAD src0_sel:BYTE_3 src1_sel:DWORD
                                        ; implicit-def: $vgpr6
; %bb.25662:                            ;   in Loop: Header=BB6_24817 Depth=3
	s_andn2_saveexec_b64 s[42:43], s[42:43]
; %bb.25663:                            ;   in Loop: Header=BB6_24817 Depth=3
	v_cmp_lt_i32_e32 vcc, -1, v6
	v_bfrev_b32_e32 v0, 0.5
	v_mov_b32_e32 v1, 0x7c
	v_cndmask_b32_e32 v37, v0, v1, vcc
; %bb.25664:                            ;   in Loop: Header=BB6_24817 Depth=3
	s_or_b64 exec, exec, s[42:43]
.LBB6_25665:                            ;   in Loop: Header=BB6_24817 Depth=3
	s_or_b64 exec, exec, s[40:41]
	v_lshlrev_b32_e32 v0, 24, v34
	v_lshlrev_b32_e32 v1, 16, v30
	v_lshl_or_b32 v28, v28, 8, v25
	v_or3_b32 v0, v1, v0, v28
	v_mov_b32_e32 v1, v33
	v_cmp_ne_u32_e32 vcc, 0, v25
	v_mov_b32_e32 v8, 0
	s_and_saveexec_b64 s[42:43], vcc
	s_cbranch_execz .LBB6_25673
; %bb.25666:                            ;   in Loop: Header=BB6_24817 Depth=3
	v_cmp_ne_u32_e32 vcc, s97, v25
	v_bfrev_b32_e32 v8, 1
	s_and_saveexec_b64 s[38:39], vcc
	s_cbranch_execz .LBB6_25672
; %bb.25667:                            ;   in Loop: Header=BB6_24817 Depth=3
	v_and_b32_e32 v7, 0x7c, v25
	v_and_b32_e32 v6, 3, v25
	v_cmp_ne_u32_e32 vcc, s86, v7
                                        ; implicit-def: $vgpr8
	s_and_saveexec_b64 s[40:41], vcc
	s_xor_b64 s[40:41], exec, s[40:41]
	s_cbranch_execz .LBB6_25669
; %bb.25668:                            ;   in Loop: Header=BB6_24817 Depth=3
	v_ffbh_u32_e32 v7, v6
	v_min_u32_e32 v30, 32, v7
	v_subrev_u32_e32 v7, 29, v30
	v_lshlrev_b64 v[7:8], v7, v[0:1]
	v_bfe_u32 v9, v25, 2, 5
	v_and_b32_e32 v7, 3, v7
	v_cmp_eq_u32_e32 vcc, 0, v9
	v_sub_u32_e32 v1, 30, v30
	v_cndmask_b32_e32 v6, v6, v7, vcc
	v_lshlrev_b32_e32 v7, 24, v25
	v_cndmask_b32_e32 v1, v9, v1, vcc
	v_and_b32_e32 v7, 0x80000000, v7
	v_lshl_add_u32 v1, v1, 23, v7
	v_lshl_or_b32 v1, v6, 21, v1
	v_add_u32_e32 v8, 0x38000000, v1
                                        ; implicit-def: $vgpr6
                                        ; implicit-def: $vgpr25
.LBB6_25669:                            ;   in Loop: Header=BB6_24817 Depth=3
	s_andn2_saveexec_b64 s[48:49], s[40:41]
; %bb.25670:                            ;   in Loop: Header=BB6_24817 Depth=3
	v_and_b32_e32 v1, 0x80, v25
	v_cmp_eq_u32_e32 vcc, 0, v6
	v_cmp_eq_u32_e64 s[40:41], 0, v1
	v_mov_b32_e32 v1, 0xff800000
	v_mov_b32_e32 v6, 0x7f800000
	v_cndmask_b32_e64 v1, v1, v6, s[40:41]
	v_mov_b32_e32 v6, 0x7f800001
	v_cndmask_b32_e32 v8, v6, v1, vcc
; %bb.25671:                            ;   in Loop: Header=BB6_24817 Depth=3
	s_or_b64 exec, exec, s[48:49]
.LBB6_25672:                            ;   in Loop: Header=BB6_24817 Depth=3
	s_or_b64 exec, exec, s[38:39]
.LBB6_25673:                            ;   in Loop: Header=BB6_24817 Depth=3
	s_or_b64 exec, exec, s[42:43]
	v_cmp_gt_i16_sdwa s[42:43], v11, s44 src0_sel:BYTE_0 src1_sel:DWORD
	s_mov_b64 s[40:41], 0
	s_and_saveexec_b64 s[62:63], s[42:43]
	s_xor_b64 s[42:43], exec, s[62:63]
	s_cbranch_execz .LBB6_25677
; %bb.25674:                            ;   in Loop: Header=BB6_24817 Depth=3
	v_cmp_eq_u16_sdwa s[62:63], v11, s97 src0_sel:BYTE_0 src1_sel:DWORD
	s_mov_b64 s[40:41], -1
	s_and_saveexec_b64 vcc, s[62:63]
; %bb.25675:                            ;   in Loop: Header=BB6_24817 Depth=3
	s_xor_b64 s[40:41], exec, -1
; %bb.25676:                            ;   in Loop: Header=BB6_24817 Depth=3
	s_or_b64 exec, exec, vcc
	s_and_b64 s[40:41], s[40:41], exec
.LBB6_25677:                            ;   in Loop: Header=BB6_24817 Depth=3
	s_or_saveexec_b64 s[42:43], s[42:43]
	v_bfrev_b32_e32 v1, 1
	s_xor_b64 exec, exec, s[42:43]
; %bb.25678:                            ;   in Loop: Header=BB6_24817 Depth=3
	v_cmp_ne_u16_sdwa s[62:63], v11, v33 src0_sel:BYTE_0 src1_sel:DWORD
	s_andn2_b64 s[40:41], s[40:41], exec
	s_and_b64 s[62:63], s[62:63], exec
	v_mov_b32_e32 v1, 0
	s_or_b64 s[40:41], s[40:41], s[62:63]
; %bb.25679:                            ;   in Loop: Header=BB6_24817 Depth=3
	s_or_b64 exec, exec, s[42:43]
	v_mov_b32_e32 v6, v11
	v_mov_b32_e32 v7, v33
	s_and_saveexec_b64 s[38:39], s[40:41]
	s_cbranch_execz .LBB6_25681
; %bb.25680:                            ;   in Loop: Header=BB6_24817 Depth=3
	v_and_b32_e32 v1, 3, v11
	v_and_b32_e32 v25, 0x7c, v11
	v_cmp_eq_u32_e32 vcc, s86, v25
	v_ffbh_u32_e32 v25, v1
	v_min_u32_e32 v25, 32, v25
	v_subrev_u32_e32 v30, 29, v25
	v_lshlrev_b64 v[38:39], v30, v[6:7]
	v_bfe_u32 v9, v11, 2, 5
	v_cmp_eq_u32_e64 s[40:41], 0, v9
	v_sub_u32_e32 v7, 30, v25
	v_and_b32_e32 v25, 3, v38
	v_cndmask_b32_e64 v7, v9, v7, s[40:41]
	v_cndmask_b32_e64 v9, v1, v25, s[40:41]
	v_lshlrev_b32_e32 v25, 24, v11
	v_and_b32_e32 v25, 0x80000000, v25
	v_lshl_add_u32 v7, v7, 23, v25
	v_cmp_eq_u32_e64 s[40:41], 0, v1
	v_mov_b32_e32 v1, -1
	v_lshl_or_b32 v7, v9, 21, v7
	v_cmp_gt_i16_sdwa s[42:43], sext(v11), v1 src0_sel:BYTE_0 src1_sel:DWORD
	v_mov_b32_e32 v1, 0xff800000
	v_mov_b32_e32 v9, 0x7f800000
	v_cndmask_b32_e64 v1, v1, v9, s[42:43]
	v_mov_b32_e32 v9, 0x7f800001
	v_add_u32_e32 v7, 0x38000000, v7
	v_cndmask_b32_e64 v1, v9, v1, s[40:41]
	v_cndmask_b32_e32 v1, v7, v1, vcc
.LBB6_25681:                            ;   in Loop: Header=BB6_24817 Depth=3
	s_or_b64 exec, exec, s[38:39]
	v_add_f32_e32 v25, v8, v1
	v_and_b32_e32 v8, 0x7f800000, v25
	v_mov_b32_e32 v9, v33
	v_cmp_ne_u64_e32 vcc, s[76:77], v[8:9]
	v_and_b32_e32 v7, 0x7fffff, v25
	v_mov_b32_e32 v8, v33
                                        ; implicit-def: $vgpr9
	s_and_saveexec_b64 s[40:41], vcc
	s_xor_b64 s[42:43], exec, s[40:41]
	s_cbranch_execz .LBB6_25695
; %bb.25682:                            ;   in Loop: Header=BB6_24817 Depth=3
	v_and_b32_e32 v38, 0x7fffffff, v25
	v_mov_b32_e32 v39, v33
	v_cmp_gt_u64_e32 vcc, s[78:79], v[38:39]
	v_and_b32_sdwa v1, v25, s97 dst_sel:DWORD dst_unused:UNUSED_PAD src0_sel:BYTE_3 src1_sel:DWORD
                                        ; implicit-def: $vgpr9
	s_and_saveexec_b64 s[40:41], vcc
	s_xor_b64 s[38:39], exec, s[40:41]
	s_cbranch_execz .LBB6_25692
; %bb.25683:                            ;   in Loop: Header=BB6_24817 Depth=3
	v_mov_b32_e32 v9, 0
	v_cmp_ne_u32_e32 vcc, 0, v25
	s_and_saveexec_b64 s[48:49], vcc
	s_cbranch_execz .LBB6_25691
; %bb.25684:                            ;   in Loop: Header=BB6_24817 Depth=3
	v_bfe_u32 v25, v25, 23, 8
	v_cmp_gt_u32_e64 s[40:41], s47, v25
	v_sub_u32_e32 v9, 0x71, v25
	v_cmp_eq_u32_e32 vcc, 0, v25
	v_cndmask_b32_e64 v9, 0, v9, s[40:41]
	v_mov_b32_e32 v30, 0x70
	v_cndmask_b32_e32 v30, v9, v30, vcc
	v_add_u32_e32 v9, 21, v30
	v_or_b32_e32 v34, 0x800000, v7
	v_lshlrev_b64 v[38:39], v9, -1
	v_cndmask_b32_e32 v7, v34, v7, vcc
	v_add_u32_e32 v9, 20, v30
	v_bfi_b32 v38, v38, 0, v7
	v_lshlrev_b64 v[48:49], v9, 1
	v_lshrrev_b64 v[7:8], v30, v[7:8]
	v_bfi_b32 v39, v39, 0, 0
	v_cmp_eq_u64_e64 s[40:41], v[38:39], v[48:49]
	v_mov_b32_e32 v9, v8
	v_mov_b32_e32 v8, v7
	s_and_saveexec_b64 s[50:51], s[40:41]
; %bb.25685:                            ;   in Loop: Header=BB6_24817 Depth=3
	v_bfe_u32 v8, v7, 21, 1
	v_add_co_u32_e64 v8, s[40:41], v7, v8
	v_add_co_u32_e64 v8, s[40:41], -1, v8
; %bb.25686:                            ;   in Loop: Header=BB6_24817 Depth=3
	s_or_b64 exec, exec, s[50:51]
	v_add_u32_e32 v9, 0xffffff81, v25
	v_mov_b32_e32 v25, 0xffffff82
	v_cndmask_b32_e32 v9, v9, v25, vcc
	v_lshrrev_b32_e32 v25, 23, v7
	v_add3_u32 v30, v30, v9, v25
	v_add_u32_e32 v25, 14, v30
	v_and_b32_e32 v8, 0x1fffff, v8
	v_add_u32_e32 v7, v8, v7
	v_mov_b32_e32 v8, v33
	v_cmp_ne_u32_e32 vcc, 0, v25
                                        ; implicit-def: $vgpr9
	s_and_saveexec_b64 s[40:41], vcc
	s_xor_b64 s[40:41], exec, s[40:41]
; %bb.25687:                            ;   in Loop: Header=BB6_24817 Depth=3
	v_cmp_lt_u64_e32 vcc, s[88:89], v[7:8]
	v_add_u32_e32 v9, 15, v30
	v_cndmask_b32_e32 v9, v25, v9, vcc
	v_cndmask_b32_e64 v25, 0, 1, vcc
	v_lshrrev_b64 v[7:8], v25, v[7:8]
; %bb.25688:                            ;   in Loop: Header=BB6_24817 Depth=3
	s_andn2_saveexec_b64 s[40:41], s[40:41]
; %bb.25689:                            ;   in Loop: Header=BB6_24817 Depth=3
	v_bfe_u32 v9, v7, 23, 1
; %bb.25690:                            ;   in Loop: Header=BB6_24817 Depth=3
	s_or_b64 exec, exec, s[40:41]
	v_lshrrev_b64 v[7:8], 21, v[7:8]
	v_cmp_gt_i32_e32 vcc, 32, v9
	v_cndmask_b32_e32 v8, 0, v8, vcc
	v_cndmask_b32_e32 v7, 3, v7, vcc
	v_cmp_eq_u64_e64 s[40:41], 0, v[7:8]
	v_min_i32_e32 v8, 31, v9
	v_lshlrev_b32_e32 v8, 2, v8
	v_cmp_eq_u32_e32 vcc, 0, v9
	v_and_b32_e32 v8, 0xfc, v8
	v_and_or_b32 v7, v7, 3, v8
	s_and_b64 s[40:41], vcc, s[40:41]
	v_cndmask_b32_e64 v7, v7, 0, s[40:41]
	v_or_b32_e32 v9, v7, v1
.LBB6_25691:                            ;   in Loop: Header=BB6_24817 Depth=3
	s_or_b64 exec, exec, s[48:49]
                                        ; implicit-def: $vgpr1
.LBB6_25692:                            ;   in Loop: Header=BB6_24817 Depth=3
	s_andn2_saveexec_b64 s[40:41], s[38:39]
; %bb.25693:                            ;   in Loop: Header=BB6_24817 Depth=3
	v_or_b32_e32 v9, 0x7b, v1
; %bb.25694:                            ;   in Loop: Header=BB6_24817 Depth=3
	s_or_b64 exec, exec, s[40:41]
                                        ; implicit-def: $vgpr25
                                        ; implicit-def: $vgpr7_vgpr8
.LBB6_25695:                            ;   in Loop: Header=BB6_24817 Depth=3
	s_andn2_saveexec_b64 s[40:41], s[42:43]
	s_cbranch_execz .LBB6_25701
; %bb.25696:                            ;   in Loop: Header=BB6_24817 Depth=3
	v_cmp_ne_u64_e32 vcc, 0, v[7:8]
                                        ; implicit-def: $vgpr9
	s_and_saveexec_b64 s[42:43], vcc
	s_xor_b64 s[42:43], exec, s[42:43]
; %bb.25697:                            ;   in Loop: Header=BB6_24817 Depth=3
	v_or_b32_sdwa v9, v25, s44 dst_sel:DWORD dst_unused:UNUSED_PAD src0_sel:BYTE_3 src1_sel:DWORD
                                        ; implicit-def: $vgpr25
; %bb.25698:                            ;   in Loop: Header=BB6_24817 Depth=3
	s_andn2_saveexec_b64 s[42:43], s[42:43]
; %bb.25699:                            ;   in Loop: Header=BB6_24817 Depth=3
	v_cmp_lt_i32_e32 vcc, -1, v25
	v_bfrev_b32_e32 v1, 0.5
	v_mov_b32_e32 v7, 0x7c
	v_cndmask_b32_e32 v9, v1, v7, vcc
; %bb.25700:                            ;   in Loop: Header=BB6_24817 Depth=3
	s_or_b64 exec, exec, s[42:43]
.LBB6_25701:                            ;   in Loop: Header=BB6_24817 Depth=3
	s_or_b64 exec, exec, s[40:41]
	v_lshrrev_b16_e32 v7, 8, v28
	v_cmp_ne_u16_e32 vcc, 0, v7
	v_mov_b32_e32 v1, 0
	s_and_saveexec_b64 s[40:41], vcc
	s_cbranch_execz .LBB6_25709
; %bb.25702:                            ;   in Loop: Header=BB6_24817 Depth=3
	v_cmp_ne_u16_e32 vcc, s97, v7
	v_bfrev_b32_e32 v1, 1
	s_and_saveexec_b64 s[42:43], vcc
	s_cbranch_execz .LBB6_25708
; %bb.25703:                            ;   in Loop: Header=BB6_24817 Depth=3
	v_and_b32_e32 v1, 0x7c, v7
	v_and_b32_e32 v25, 3, v7
	v_cmp_ne_u32_e32 vcc, s86, v1
                                        ; implicit-def: $vgpr1
	s_and_saveexec_b64 s[62:63], vcc
	s_xor_b64 s[38:39], exec, s[62:63]
	s_cbranch_execz .LBB6_25705
; %bb.25704:                            ;   in Loop: Header=BB6_24817 Depth=3
	v_ffbh_u32_e32 v30, v25
	v_min_u32_e32 v30, 32, v30
	v_mov_b32_e32 v8, v33
	v_subrev_u32_e32 v34, 29, v30
	v_bfe_u32 v1, v7, 2, 5
	v_lshlrev_b64 v[7:8], v34, v[7:8]
	v_sub_u32_e32 v8, 30, v30
	v_cmp_eq_u32_e32 vcc, 0, v1
	v_cndmask_b32_e32 v1, v1, v8, vcc
	v_lshlrev_b32_e32 v8, 16, v28
	v_and_b32_e32 v7, 3, v7
	v_and_b32_e32 v8, 0x80000000, v8
	v_cndmask_b32_e32 v7, v25, v7, vcc
	v_lshl_add_u32 v1, v1, 23, v8
	v_lshl_or_b32 v1, v7, 21, v1
	v_add_u32_e32 v1, 0x38000000, v1
                                        ; implicit-def: $vgpr25
                                        ; implicit-def: $vgpr28
.LBB6_25705:                            ;   in Loop: Header=BB6_24817 Depth=3
	s_andn2_saveexec_b64 s[38:39], s[38:39]
; %bb.25706:                            ;   in Loop: Header=BB6_24817 Depth=3
	v_cmp_lt_i16_e32 vcc, -1, v28
	v_mov_b32_e32 v1, 0xff800000
	v_mov_b32_e32 v7, 0x7f800000
	v_cndmask_b32_e32 v1, v1, v7, vcc
	v_cmp_eq_u32_e32 vcc, 0, v25
	v_mov_b32_e32 v7, 0x7f800001
	v_cndmask_b32_e32 v1, v7, v1, vcc
; %bb.25707:                            ;   in Loop: Header=BB6_24817 Depth=3
	s_or_b64 exec, exec, s[38:39]
.LBB6_25708:                            ;   in Loop: Header=BB6_24817 Depth=3
	s_or_b64 exec, exec, s[42:43]
.LBB6_25709:                            ;   in Loop: Header=BB6_24817 Depth=3
	s_or_b64 exec, exec, s[40:41]
	v_lshrrev_b16_e32 v7, 8, v6
	v_cmp_lt_i16_e32 vcc, s44, v7
	s_mov_b64 s[40:41], 0
	s_and_saveexec_b64 s[42:43], vcc
	s_xor_b64 s[42:43], exec, s[42:43]
	s_cbranch_execz .LBB6_25812
; %bb.25710:                            ;   in Loop: Header=BB6_24817 Depth=3
	v_cmp_eq_u16_e32 vcc, s97, v7
	s_mov_b64 s[40:41], -1
	s_and_saveexec_b64 s[38:39], vcc
; %bb.25711:                            ;   in Loop: Header=BB6_24817 Depth=3
	s_xor_b64 s[40:41], exec, -1
; %bb.25712:                            ;   in Loop: Header=BB6_24817 Depth=3
	s_or_b64 exec, exec, s[38:39]
	s_and_b64 s[40:41], s[40:41], exec
	s_or_saveexec_b64 s[42:43], s[42:43]
	v_bfrev_b32_e32 v8, 1
	s_xor_b64 exec, exec, s[42:43]
	s_cbranch_execnz .LBB6_25813
.LBB6_25713:                            ;   in Loop: Header=BB6_24817 Depth=3
	s_or_b64 exec, exec, s[42:43]
	s_and_saveexec_b64 s[38:39], s[40:41]
	s_cbranch_execz .LBB6_25715
.LBB6_25714:                            ;   in Loop: Header=BB6_24817 Depth=3
	v_and_b32_e32 v25, 3, v7
	v_and_b32_e32 v30, 0x7c, v7
	v_cmp_eq_u32_e32 vcc, s86, v30
	v_ffbh_u32_e32 v30, v25
	v_min_u32_e32 v30, 32, v30
	v_mov_b32_e32 v8, v33
	v_subrev_u32_e32 v34, 29, v30
	v_bfe_u32 v28, v7, 2, 5
	v_lshlrev_b64 v[38:39], v34, v[7:8]
	v_cmp_eq_u32_e64 s[40:41], 0, v28
	v_sub_u32_e32 v8, 30, v30
	v_lshlrev_b32_e32 v7, 24, v7
	v_and_b32_e32 v30, 3, v38
	v_cndmask_b32_e64 v8, v28, v8, s[40:41]
	v_and_b32_e32 v7, 0x80000000, v7
	v_cndmask_b32_e64 v28, v25, v30, s[40:41]
	v_lshl_add_u32 v7, v8, 23, v7
	v_cmp_lt_i16_e64 s[42:43], -1, v6
	v_mov_b32_e32 v6, 0xff800000
	v_mov_b32_e32 v8, 0x7f800000
	v_lshl_or_b32 v7, v28, 21, v7
	v_cmp_eq_u32_e64 s[40:41], 0, v25
	v_cndmask_b32_e64 v6, v6, v8, s[42:43]
	v_mov_b32_e32 v8, 0x7f800001
	v_add_u32_e32 v7, 0x38000000, v7
	v_cndmask_b32_e64 v6, v8, v6, s[40:41]
	v_cndmask_b32_e32 v8, v7, v6, vcc
.LBB6_25715:                            ;   in Loop: Header=BB6_24817 Depth=3
	s_or_b64 exec, exec, s[38:39]
	v_add_f32_e32 v8, v1, v8
	v_and_b32_e32 v38, 0x7f800000, v8
	v_mov_b32_e32 v39, v33
	v_cmp_ne_u64_e32 vcc, s[76:77], v[38:39]
	v_and_b32_e32 v6, 0x7fffff, v8
	v_mov_b32_e32 v7, v33
                                        ; implicit-def: $vgpr25
	s_and_saveexec_b64 s[40:41], vcc
	s_xor_b64 s[42:43], exec, s[40:41]
	s_cbranch_execz .LBB6_25729
; %bb.25716:                            ;   in Loop: Header=BB6_24817 Depth=3
	v_and_b32_e32 v38, 0x7fffffff, v8
	v_mov_b32_e32 v39, v33
	v_cmp_gt_u64_e32 vcc, s[78:79], v[38:39]
	v_and_b32_sdwa v1, v8, s97 dst_sel:DWORD dst_unused:UNUSED_PAD src0_sel:BYTE_3 src1_sel:DWORD
                                        ; implicit-def: $vgpr25
	s_and_saveexec_b64 s[40:41], vcc
	s_xor_b64 s[38:39], exec, s[40:41]
	s_cbranch_execz .LBB6_25726
; %bb.25717:                            ;   in Loop: Header=BB6_24817 Depth=3
	v_mov_b32_e32 v25, 0
	v_cmp_ne_u32_e32 vcc, 0, v8
	s_and_saveexec_b64 s[48:49], vcc
	s_cbranch_execz .LBB6_25725
; %bb.25718:                            ;   in Loop: Header=BB6_24817 Depth=3
	v_bfe_u32 v25, v8, 23, 8
	v_cmp_gt_u32_e64 s[40:41], s47, v25
	v_sub_u32_e32 v8, 0x71, v25
	v_cmp_eq_u32_e32 vcc, 0, v25
	v_cndmask_b32_e64 v8, 0, v8, s[40:41]
	v_mov_b32_e32 v28, 0x70
	v_cndmask_b32_e32 v28, v8, v28, vcc
	v_add_u32_e32 v8, 21, v28
	v_or_b32_e32 v30, 0x800000, v6
	v_lshlrev_b64 v[38:39], v8, -1
	v_cndmask_b32_e32 v6, v30, v6, vcc
	v_add_u32_e32 v8, 20, v28
	v_bfi_b32 v38, v38, 0, v6
	v_lshlrev_b64 v[48:49], v8, 1
	v_lshrrev_b64 v[6:7], v28, v[6:7]
	v_bfi_b32 v39, v39, 0, 0
	v_cmp_eq_u64_e64 s[40:41], v[38:39], v[48:49]
	v_mov_b32_e32 v8, v7
	v_mov_b32_e32 v7, v6
	s_and_saveexec_b64 s[50:51], s[40:41]
; %bb.25719:                            ;   in Loop: Header=BB6_24817 Depth=3
	v_bfe_u32 v7, v6, 21, 1
	v_add_co_u32_e64 v7, s[40:41], v6, v7
	v_add_co_u32_e64 v7, s[40:41], -1, v7
; %bb.25720:                            ;   in Loop: Header=BB6_24817 Depth=3
	s_or_b64 exec, exec, s[50:51]
	v_add_u32_e32 v8, 0xffffff81, v25
	v_mov_b32_e32 v25, 0xffffff82
	v_cndmask_b32_e32 v8, v8, v25, vcc
	v_lshrrev_b32_e32 v25, 23, v6
	v_add3_u32 v28, v28, v8, v25
	v_add_u32_e32 v25, 14, v28
	v_and_b32_e32 v7, 0x1fffff, v7
	v_add_u32_e32 v6, v7, v6
	v_mov_b32_e32 v7, v33
	v_cmp_ne_u32_e32 vcc, 0, v25
                                        ; implicit-def: $vgpr8
	s_and_saveexec_b64 s[40:41], vcc
	s_xor_b64 s[40:41], exec, s[40:41]
; %bb.25721:                            ;   in Loop: Header=BB6_24817 Depth=3
	v_cmp_lt_u64_e32 vcc, s[88:89], v[6:7]
	v_add_u32_e32 v8, 15, v28
	v_cndmask_b32_e32 v8, v25, v8, vcc
	v_cndmask_b32_e64 v25, 0, 1, vcc
	v_lshrrev_b64 v[6:7], v25, v[6:7]
; %bb.25722:                            ;   in Loop: Header=BB6_24817 Depth=3
	s_andn2_saveexec_b64 s[40:41], s[40:41]
; %bb.25723:                            ;   in Loop: Header=BB6_24817 Depth=3
	v_bfe_u32 v8, v6, 23, 1
; %bb.25724:                            ;   in Loop: Header=BB6_24817 Depth=3
	s_or_b64 exec, exec, s[40:41]
	v_lshrrev_b64 v[6:7], 21, v[6:7]
	v_cmp_gt_i32_e32 vcc, 32, v8
	v_cndmask_b32_e32 v7, 0, v7, vcc
	v_cndmask_b32_e32 v6, 3, v6, vcc
	v_cmp_eq_u64_e64 s[40:41], 0, v[6:7]
	v_min_i32_e32 v7, 31, v8
	v_lshlrev_b32_e32 v7, 2, v7
	v_cmp_eq_u32_e32 vcc, 0, v8
	v_and_b32_e32 v7, 0xfc, v7
	v_and_or_b32 v6, v6, 3, v7
	s_and_b64 s[40:41], vcc, s[40:41]
	v_cndmask_b32_e64 v6, v6, 0, s[40:41]
	v_or_b32_e32 v25, v6, v1
.LBB6_25725:                            ;   in Loop: Header=BB6_24817 Depth=3
	s_or_b64 exec, exec, s[48:49]
                                        ; implicit-def: $vgpr1
.LBB6_25726:                            ;   in Loop: Header=BB6_24817 Depth=3
	s_andn2_saveexec_b64 s[40:41], s[38:39]
; %bb.25727:                            ;   in Loop: Header=BB6_24817 Depth=3
	v_or_b32_e32 v25, 0x7b, v1
; %bb.25728:                            ;   in Loop: Header=BB6_24817 Depth=3
	s_or_b64 exec, exec, s[40:41]
                                        ; implicit-def: $vgpr8
                                        ; implicit-def: $vgpr6_vgpr7
.LBB6_25729:                            ;   in Loop: Header=BB6_24817 Depth=3
	s_andn2_saveexec_b64 s[40:41], s[42:43]
	s_cbranch_execz .LBB6_25735
; %bb.25730:                            ;   in Loop: Header=BB6_24817 Depth=3
	v_cmp_ne_u64_e32 vcc, 0, v[6:7]
                                        ; implicit-def: $vgpr25
	s_and_saveexec_b64 s[42:43], vcc
	s_xor_b64 s[42:43], exec, s[42:43]
; %bb.25731:                            ;   in Loop: Header=BB6_24817 Depth=3
	v_or_b32_sdwa v25, v8, s44 dst_sel:DWORD dst_unused:UNUSED_PAD src0_sel:BYTE_3 src1_sel:DWORD
                                        ; implicit-def: $vgpr8
; %bb.25732:                            ;   in Loop: Header=BB6_24817 Depth=3
	s_andn2_saveexec_b64 s[42:43], s[42:43]
; %bb.25733:                            ;   in Loop: Header=BB6_24817 Depth=3
	v_cmp_lt_i32_e32 vcc, -1, v8
	v_bfrev_b32_e32 v1, 0.5
	v_mov_b32_e32 v6, 0x7c
	v_cndmask_b32_e32 v25, v1, v6, vcc
; %bb.25734:                            ;   in Loop: Header=BB6_24817 Depth=3
	s_or_b64 exec, exec, s[42:43]
.LBB6_25735:                            ;   in Loop: Header=BB6_24817 Depth=3
	s_or_b64 exec, exec, s[40:41]
	v_and_b32_sdwa v7, v0, s96 dst_sel:DWORD dst_unused:UNUSED_PAD src0_sel:WORD_1 src1_sel:DWORD
	v_lshrrev_b32_e32 v1, 16, v0
	v_cmp_ne_u16_e32 vcc, 0, v7
	v_mov_b32_e32 v6, 0
	s_and_saveexec_b64 s[40:41], vcc
	s_cbranch_execz .LBB6_25743
; %bb.25736:                            ;   in Loop: Header=BB6_24817 Depth=3
	v_cmp_ne_u16_e32 vcc, s97, v7
	v_bfrev_b32_e32 v6, 1
	s_and_saveexec_b64 s[42:43], vcc
	s_cbranch_execz .LBB6_25742
; %bb.25737:                            ;   in Loop: Header=BB6_24817 Depth=3
	v_and_b32_e32 v6, 0x7c0000, v0
	v_bfe_u32 v7, v0, 16, 2
	v_cmp_ne_u32_e32 vcc, s45, v6
                                        ; implicit-def: $vgpr6
	s_and_saveexec_b64 s[62:63], vcc
	s_xor_b64 s[38:39], exec, s[62:63]
	s_cbranch_execz .LBB6_25739
; %bb.25738:                            ;   in Loop: Header=BB6_24817 Depth=3
	v_ffbh_u32_e32 v8, v7
	v_min_u32_e32 v8, 32, v8
	v_subrev_u32_e32 v28, 29, v8
	v_lshlrev_b64 v[38:39], v28, v[1:2]
	v_bfe_u32 v6, v0, 18, 5
	v_sub_u32_e32 v1, 30, v8
	v_and_b32_e32 v8, 3, v38
	v_cmp_eq_u32_e32 vcc, 0, v6
	v_cndmask_b32_e32 v1, v6, v1, vcc
	v_cndmask_b32_e32 v6, v7, v8, vcc
	v_lshlrev_b32_e32 v7, 8, v0
	v_and_b32_e32 v7, 0x80000000, v7
	v_lshl_add_u32 v1, v1, 23, v7
	v_lshl_or_b32 v1, v6, 21, v1
	v_add_u32_e32 v6, 0x38000000, v1
                                        ; implicit-def: $vgpr7
                                        ; implicit-def: $vgpr1
.LBB6_25739:                            ;   in Loop: Header=BB6_24817 Depth=3
	s_andn2_saveexec_b64 s[38:39], s[38:39]
; %bb.25740:                            ;   in Loop: Header=BB6_24817 Depth=3
	v_mov_b32_e32 v6, -1
	v_cmp_gt_i16_sdwa vcc, sext(v1), v6 src0_sel:BYTE_0 src1_sel:DWORD
	v_mov_b32_e32 v1, 0xff800000
	v_mov_b32_e32 v6, 0x7f800000
	v_cndmask_b32_e32 v1, v1, v6, vcc
	v_cmp_eq_u32_e32 vcc, 0, v7
	v_mov_b32_e32 v6, 0x7f800001
	v_cndmask_b32_e32 v6, v6, v1, vcc
; %bb.25741:                            ;   in Loop: Header=BB6_24817 Depth=3
	s_or_b64 exec, exec, s[38:39]
.LBB6_25742:                            ;   in Loop: Header=BB6_24817 Depth=3
	s_or_b64 exec, exec, s[42:43]
.LBB6_25743:                            ;   in Loop: Header=BB6_24817 Depth=3
	s_or_b64 exec, exec, s[40:41]
	v_lshrrev_b32_e32 v1, 16, v11
	v_cmp_gt_i16_sdwa s[42:43], v1, s44 src0_sel:BYTE_0 src1_sel:DWORD
	s_mov_b64 s[40:41], 0
	s_and_saveexec_b64 s[62:63], s[42:43]
	s_xor_b64 s[42:43], exec, s[62:63]
	s_cbranch_execz .LBB6_25814
; %bb.25744:                            ;   in Loop: Header=BB6_24817 Depth=3
	v_cmp_eq_u16_sdwa s[62:63], v1, s97 src0_sel:BYTE_0 src1_sel:DWORD
	s_mov_b64 s[40:41], -1
	s_and_saveexec_b64 vcc, s[62:63]
; %bb.25745:                            ;   in Loop: Header=BB6_24817 Depth=3
	s_xor_b64 s[40:41], exec, -1
; %bb.25746:                            ;   in Loop: Header=BB6_24817 Depth=3
	s_or_b64 exec, exec, vcc
	s_and_b64 s[40:41], s[40:41], exec
	s_or_saveexec_b64 s[42:43], s[42:43]
	v_bfrev_b32_e32 v7, 1
	s_xor_b64 exec, exec, s[42:43]
	s_cbranch_execnz .LBB6_25815
.LBB6_25747:                            ;   in Loop: Header=BB6_24817 Depth=3
	s_or_b64 exec, exec, s[42:43]
	s_and_saveexec_b64 s[38:39], s[40:41]
	s_cbranch_execz .LBB6_25749
.LBB6_25748:                            ;   in Loop: Header=BB6_24817 Depth=3
	v_and_b32_e32 v28, 3, v1
	v_and_b32_e32 v7, 0x7c0000, v11
	v_cmp_eq_u32_e32 vcc, s45, v7
	v_ffbh_u32_e32 v7, v28
	v_min_u32_e32 v34, 32, v7
	v_subrev_u32_e32 v7, 29, v34
	v_bfe_u32 v30, v11, 18, 5
	v_lshlrev_b64 v[7:8], v7, v[1:2]
	v_cmp_eq_u32_e64 s[40:41], 0, v30
	v_sub_u32_e32 v8, 30, v34
	v_cndmask_b32_e64 v8, v30, v8, s[40:41]
	v_lshlrev_b32_e32 v30, 24, v1
	v_and_b32_e32 v7, 3, v7
	v_and_b32_e32 v30, 0x80000000, v30
	v_cndmask_b32_e64 v7, v28, v7, s[40:41]
	v_lshl_add_u32 v8, v8, 23, v30
	v_lshl_or_b32 v7, v7, 21, v8
	v_mov_b32_e32 v8, -1
	v_cmp_gt_i16_sdwa s[42:43], sext(v1), v8 src0_sel:BYTE_0 src1_sel:DWORD
	v_mov_b32_e32 v1, 0xff800000
	v_mov_b32_e32 v8, 0x7f800000
	v_cmp_eq_u32_e64 s[40:41], 0, v28
	v_cndmask_b32_e64 v1, v1, v8, s[42:43]
	v_mov_b32_e32 v8, 0x7f800001
	v_add_u32_e32 v7, 0x38000000, v7
	v_cndmask_b32_e64 v1, v8, v1, s[40:41]
	v_cndmask_b32_e32 v7, v7, v1, vcc
.LBB6_25749:                            ;   in Loop: Header=BB6_24817 Depth=3
	s_or_b64 exec, exec, s[38:39]
	v_add_f32_e32 v28, v6, v7
	v_and_b32_e32 v7, 0x7f800000, v28
	v_mov_b32_e32 v8, v33
	v_cmp_ne_u64_e32 vcc, s[76:77], v[7:8]
	v_and_b32_e32 v6, 0x7fffff, v28
	v_mov_b32_e32 v7, v33
                                        ; implicit-def: $vgpr8
	s_and_saveexec_b64 s[40:41], vcc
	s_xor_b64 s[42:43], exec, s[40:41]
	s_cbranch_execz .LBB6_25763
; %bb.25750:                            ;   in Loop: Header=BB6_24817 Depth=3
	v_and_b32_e32 v38, 0x7fffffff, v28
	v_mov_b32_e32 v39, v33
	v_cmp_gt_u64_e32 vcc, s[78:79], v[38:39]
	v_and_b32_sdwa v1, v28, s97 dst_sel:DWORD dst_unused:UNUSED_PAD src0_sel:BYTE_3 src1_sel:DWORD
                                        ; implicit-def: $vgpr8
	s_and_saveexec_b64 s[40:41], vcc
	s_xor_b64 s[38:39], exec, s[40:41]
	s_cbranch_execz .LBB6_25760
; %bb.25751:                            ;   in Loop: Header=BB6_24817 Depth=3
	v_mov_b32_e32 v8, 0
	v_cmp_ne_u32_e32 vcc, 0, v28
	s_and_saveexec_b64 s[48:49], vcc
	s_cbranch_execz .LBB6_25759
; %bb.25752:                            ;   in Loop: Header=BB6_24817 Depth=3
	v_bfe_u32 v28, v28, 23, 8
	v_cmp_gt_u32_e64 s[40:41], s47, v28
	v_sub_u32_e32 v8, 0x71, v28
	v_cmp_eq_u32_e32 vcc, 0, v28
	v_cndmask_b32_e64 v8, 0, v8, s[40:41]
	v_mov_b32_e32 v30, 0x70
	v_cndmask_b32_e32 v30, v8, v30, vcc
	v_add_u32_e32 v8, 21, v30
	v_or_b32_e32 v34, 0x800000, v6
	v_lshlrev_b64 v[38:39], v8, -1
	v_cndmask_b32_e32 v6, v34, v6, vcc
	v_add_u32_e32 v8, 20, v30
	v_bfi_b32 v38, v38, 0, v6
	v_lshlrev_b64 v[48:49], v8, 1
	v_lshrrev_b64 v[6:7], v30, v[6:7]
	v_bfi_b32 v39, v39, 0, 0
	v_cmp_eq_u64_e64 s[40:41], v[38:39], v[48:49]
	v_mov_b32_e32 v8, v7
	v_mov_b32_e32 v7, v6
	s_and_saveexec_b64 s[50:51], s[40:41]
; %bb.25753:                            ;   in Loop: Header=BB6_24817 Depth=3
	v_bfe_u32 v7, v6, 21, 1
	v_add_co_u32_e64 v7, s[40:41], v6, v7
	v_add_co_u32_e64 v7, s[40:41], -1, v7
; %bb.25754:                            ;   in Loop: Header=BB6_24817 Depth=3
	s_or_b64 exec, exec, s[50:51]
	v_add_u32_e32 v8, 0xffffff81, v28
	v_mov_b32_e32 v28, 0xffffff82
	v_cndmask_b32_e32 v8, v8, v28, vcc
	v_lshrrev_b32_e32 v28, 23, v6
	v_add3_u32 v30, v30, v8, v28
	v_add_u32_e32 v28, 14, v30
	v_and_b32_e32 v7, 0x1fffff, v7
	v_add_u32_e32 v6, v7, v6
	v_mov_b32_e32 v7, v33
	v_cmp_ne_u32_e32 vcc, 0, v28
                                        ; implicit-def: $vgpr8
	s_and_saveexec_b64 s[40:41], vcc
	s_xor_b64 s[40:41], exec, s[40:41]
; %bb.25755:                            ;   in Loop: Header=BB6_24817 Depth=3
	v_cmp_lt_u64_e32 vcc, s[88:89], v[6:7]
	v_add_u32_e32 v8, 15, v30
	v_cndmask_b32_e32 v8, v28, v8, vcc
	v_cndmask_b32_e64 v28, 0, 1, vcc
	v_lshrrev_b64 v[6:7], v28, v[6:7]
; %bb.25756:                            ;   in Loop: Header=BB6_24817 Depth=3
	s_andn2_saveexec_b64 s[40:41], s[40:41]
; %bb.25757:                            ;   in Loop: Header=BB6_24817 Depth=3
	v_bfe_u32 v8, v6, 23, 1
; %bb.25758:                            ;   in Loop: Header=BB6_24817 Depth=3
	s_or_b64 exec, exec, s[40:41]
	v_lshrrev_b64 v[6:7], 21, v[6:7]
	v_cmp_gt_i32_e32 vcc, 32, v8
	v_cndmask_b32_e32 v7, 0, v7, vcc
	v_cndmask_b32_e32 v6, 3, v6, vcc
	v_cmp_eq_u64_e64 s[40:41], 0, v[6:7]
	v_min_i32_e32 v7, 31, v8
	v_lshlrev_b32_e32 v7, 2, v7
	v_cmp_eq_u32_e32 vcc, 0, v8
	v_and_b32_e32 v7, 0xfc, v7
	v_and_or_b32 v6, v6, 3, v7
	s_and_b64 s[40:41], vcc, s[40:41]
	v_cndmask_b32_e64 v6, v6, 0, s[40:41]
	v_or_b32_e32 v8, v6, v1
.LBB6_25759:                            ;   in Loop: Header=BB6_24817 Depth=3
	s_or_b64 exec, exec, s[48:49]
                                        ; implicit-def: $vgpr1
.LBB6_25760:                            ;   in Loop: Header=BB6_24817 Depth=3
	s_andn2_saveexec_b64 s[40:41], s[38:39]
; %bb.25761:                            ;   in Loop: Header=BB6_24817 Depth=3
	v_or_b32_e32 v8, 0x7b, v1
; %bb.25762:                            ;   in Loop: Header=BB6_24817 Depth=3
	s_or_b64 exec, exec, s[40:41]
                                        ; implicit-def: $vgpr28
                                        ; implicit-def: $vgpr6_vgpr7
.LBB6_25763:                            ;   in Loop: Header=BB6_24817 Depth=3
	s_andn2_saveexec_b64 s[40:41], s[42:43]
	s_cbranch_execz .LBB6_25769
; %bb.25764:                            ;   in Loop: Header=BB6_24817 Depth=3
	v_cmp_ne_u64_e32 vcc, 0, v[6:7]
                                        ; implicit-def: $vgpr8
	s_and_saveexec_b64 s[42:43], vcc
	s_xor_b64 s[42:43], exec, s[42:43]
; %bb.25765:                            ;   in Loop: Header=BB6_24817 Depth=3
	v_or_b32_sdwa v8, v28, s44 dst_sel:DWORD dst_unused:UNUSED_PAD src0_sel:BYTE_3 src1_sel:DWORD
                                        ; implicit-def: $vgpr28
; %bb.25766:                            ;   in Loop: Header=BB6_24817 Depth=3
	s_andn2_saveexec_b64 s[42:43], s[42:43]
; %bb.25767:                            ;   in Loop: Header=BB6_24817 Depth=3
	v_cmp_lt_i32_e32 vcc, -1, v28
	v_bfrev_b32_e32 v1, 0.5
	v_mov_b32_e32 v6, 0x7c
	v_cndmask_b32_e32 v8, v1, v6, vcc
; %bb.25768:                            ;   in Loop: Header=BB6_24817 Depth=3
	s_or_b64 exec, exec, s[42:43]
.LBB6_25769:                            ;   in Loop: Header=BB6_24817 Depth=3
	s_or_b64 exec, exec, s[40:41]
	v_cmp_lt_u32_e32 vcc, s57, v0
	v_mov_b32_e32 v6, 0
	s_and_saveexec_b64 s[40:41], vcc
	s_cbranch_execz .LBB6_25777
; %bb.25770:                            ;   in Loop: Header=BB6_24817 Depth=3
	v_lshrrev_b32_e32 v1, 24, v0
	v_cmp_ne_u32_e32 vcc, s97, v1
	v_bfrev_b32_e32 v6, 1
	s_and_saveexec_b64 s[42:43], vcc
	s_cbranch_execz .LBB6_25776
; %bb.25771:                            ;   in Loop: Header=BB6_24817 Depth=3
	v_and_b32_e32 v6, 0x7c000000, v0
	v_bfe_u32 v7, v0, 24, 2
	v_cmp_ne_u32_e32 vcc, s68, v6
                                        ; implicit-def: $vgpr6
	s_and_saveexec_b64 s[62:63], vcc
	s_xor_b64 s[38:39], exec, s[62:63]
	s_cbranch_execz .LBB6_25773
; %bb.25772:                            ;   in Loop: Header=BB6_24817 Depth=3
	v_ffbh_u32_e32 v28, v7
	v_min_u32_e32 v28, 32, v28
	v_subrev_u32_e32 v30, 29, v28
	v_bfe_u32 v6, v0, 26, 5
	v_lshlrev_b64 v[38:39], v30, v[1:2]
	v_sub_u32_e32 v1, 30, v28
	v_cmp_eq_u32_e32 vcc, 0, v6
	v_and_b32_e32 v28, 3, v38
	v_cndmask_b32_e32 v1, v6, v1, vcc
	v_and_b32_e32 v0, 0x80000000, v0
	v_cndmask_b32_e32 v6, v7, v28, vcc
	v_lshl_add_u32 v0, v1, 23, v0
	v_lshl_or_b32 v0, v6, 21, v0
	v_add_u32_e32 v6, 0x38000000, v0
                                        ; implicit-def: $vgpr7
                                        ; implicit-def: $vgpr0_vgpr1
.LBB6_25773:                            ;   in Loop: Header=BB6_24817 Depth=3
	s_andn2_saveexec_b64 s[38:39], s[38:39]
; %bb.25774:                            ;   in Loop: Header=BB6_24817 Depth=3
	v_cmp_lt_i32_e32 vcc, -1, v0
	v_mov_b32_e32 v0, 0xff800000
	v_mov_b32_e32 v1, 0x7f800000
	v_cndmask_b32_e32 v0, v0, v1, vcc
	v_cmp_eq_u32_e32 vcc, 0, v7
	v_mov_b32_e32 v1, 0x7f800001
	v_cndmask_b32_e32 v6, v1, v0, vcc
; %bb.25775:                            ;   in Loop: Header=BB6_24817 Depth=3
	s_or_b64 exec, exec, s[38:39]
.LBB6_25776:                            ;   in Loop: Header=BB6_24817 Depth=3
	s_or_b64 exec, exec, s[42:43]
.LBB6_25777:                            ;   in Loop: Header=BB6_24817 Depth=3
	s_or_b64 exec, exec, s[40:41]
	v_bfe_u32 v1, v11, 24, 2
	v_and_b32_e32 v28, 0x7c000000, v11
	v_cmp_eq_u32_e32 vcc, s68, v28
	v_ffbh_u32_e32 v28, v1
	v_min_u32_e32 v28, 32, v28
	v_lshrrev_b32_e32 v0, 24, v11
	v_subrev_u32_e32 v30, 29, v28
	v_lshlrev_b64 v[38:39], v30, v[0:1]
	v_bfe_u32 v7, v11, 26, 5
	v_cmp_eq_u32_e64 s[40:41], 0, v7
	v_sub_u32_e32 v28, 30, v28
	v_and_b32_e32 v30, 3, v38
	v_cndmask_b32_e64 v7, v7, v28, s[40:41]
	v_cndmask_b32_e64 v28, v1, v30, s[40:41]
	v_and_b32_e32 v30, 0x80000000, v11
	v_lshl_add_u32 v7, v7, 23, v30
	v_cmp_lt_i64_e64 s[42:43], -1, v[10:11]
	v_lshl_or_b32 v7, v28, 21, v7
	v_cmp_eq_u32_e64 s[40:41], 0, v1
	v_mov_b32_e32 v1, 0xff800000
	v_mov_b32_e32 v28, 0x7f800000
	v_cndmask_b32_e64 v1, v1, v28, s[42:43]
	v_mov_b32_e32 v28, 0x7f800001
	v_add_u32_e32 v7, 0x38000000, v7
	v_cndmask_b32_e64 v1, v28, v1, s[40:41]
	v_cndmask_b32_e32 v1, v7, v1, vcc
	v_cmp_ne_u32_e32 vcc, s97, v0
	v_bfrev_b32_e32 v0, 1
	v_cndmask_b32_e32 v0, v0, v1, vcc
	v_cmp_lt_u64_e32 vcc, s[56:57], v[10:11]
	v_mov_b32_e32 v11, v33
	v_cndmask_b32_e32 v0, 0, v0, vcc
	v_add_f32_e32 v7, v0, v6
	v_and_b32_e32 v10, 0x7f800000, v7
	v_cmp_ne_u64_e32 vcc, s[76:77], v[10:11]
	v_and_b32_e32 v0, 0x7fffff, v7
	v_mov_b32_e32 v1, v33
                                        ; implicit-def: $vgpr6
	s_and_saveexec_b64 s[40:41], vcc
	s_xor_b64 s[42:43], exec, s[40:41]
	s_cbranch_execz .LBB6_25791
; %bb.25778:                            ;   in Loop: Header=BB6_24817 Depth=3
	v_and_b32_e32 v10, 0x7fffffff, v7
	v_mov_b32_e32 v11, v33
	v_cmp_gt_u64_e32 vcc, s[78:79], v[10:11]
	v_and_b32_sdwa v10, v7, s97 dst_sel:DWORD dst_unused:UNUSED_PAD src0_sel:BYTE_3 src1_sel:DWORD
                                        ; implicit-def: $vgpr6
	s_and_saveexec_b64 s[40:41], vcc
	s_xor_b64 s[38:39], exec, s[40:41]
	s_cbranch_execz .LBB6_25788
; %bb.25779:                            ;   in Loop: Header=BB6_24817 Depth=3
	v_mov_b32_e32 v6, 0
	v_cmp_ne_u32_e32 vcc, 0, v7
	s_and_saveexec_b64 s[48:49], vcc
	s_cbranch_execz .LBB6_25787
; %bb.25780:                            ;   in Loop: Header=BB6_24817 Depth=3
	v_bfe_u32 v11, v7, 23, 8
	v_cmp_gt_u32_e64 s[40:41], s47, v11
	v_sub_u32_e32 v6, 0x71, v11
	v_cmp_eq_u32_e32 vcc, 0, v11
	v_cndmask_b32_e64 v6, 0, v6, s[40:41]
	v_mov_b32_e32 v28, 0x70
	v_cndmask_b32_e32 v28, v6, v28, vcc
	v_or_b32_e32 v7, 0x800000, v0
	v_add_u32_e32 v6, 21, v28
	v_cndmask_b32_e32 v0, v7, v0, vcc
	v_lshlrev_b64 v[6:7], v6, -1
	v_add_u32_e32 v30, 20, v28
	v_bfi_b32 v6, v6, 0, v0
	v_lshlrev_b64 v[38:39], v30, 1
	v_lshrrev_b64 v[0:1], v28, v[0:1]
	v_bfi_b32 v7, v7, 0, 0
	v_cmp_eq_u64_e64 s[40:41], v[6:7], v[38:39]
	v_mov_b32_e32 v7, v1
	v_mov_b32_e32 v6, v0
	s_and_saveexec_b64 s[50:51], s[40:41]
; %bb.25781:                            ;   in Loop: Header=BB6_24817 Depth=3
	v_bfe_u32 v1, v0, 21, 1
	v_add_co_u32_e64 v1, s[40:41], v0, v1
	v_add_co_u32_e64 v6, s[40:41], -1, v1
; %bb.25782:                            ;   in Loop: Header=BB6_24817 Depth=3
	s_or_b64 exec, exec, s[50:51]
	v_add_u32_e32 v1, 0xffffff81, v11
	v_mov_b32_e32 v7, 0xffffff82
	v_cndmask_b32_e32 v1, v1, v7, vcc
	v_lshrrev_b32_e32 v7, 23, v0
	v_add3_u32 v11, v28, v1, v7
	v_add_u32_e32 v7, 14, v11
	v_and_b32_e32 v1, 0x1fffff, v6
	v_add_u32_e32 v0, v1, v0
	v_mov_b32_e32 v1, v33
	v_cmp_ne_u32_e32 vcc, 0, v7
                                        ; implicit-def: $vgpr6
	s_and_saveexec_b64 s[40:41], vcc
	s_xor_b64 s[40:41], exec, s[40:41]
; %bb.25783:                            ;   in Loop: Header=BB6_24817 Depth=3
	v_cmp_lt_u64_e32 vcc, s[88:89], v[0:1]
	v_add_u32_e32 v6, 15, v11
	v_cndmask_b32_e32 v6, v7, v6, vcc
	v_cndmask_b32_e64 v7, 0, 1, vcc
	v_lshrrev_b64 v[0:1], v7, v[0:1]
; %bb.25784:                            ;   in Loop: Header=BB6_24817 Depth=3
	s_andn2_saveexec_b64 s[40:41], s[40:41]
; %bb.25785:                            ;   in Loop: Header=BB6_24817 Depth=3
	v_bfe_u32 v6, v0, 23, 1
; %bb.25786:                            ;   in Loop: Header=BB6_24817 Depth=3
	s_or_b64 exec, exec, s[40:41]
	v_lshrrev_b64 v[0:1], 21, v[0:1]
	v_cmp_gt_i32_e32 vcc, 32, v6
	v_cndmask_b32_e32 v1, 0, v1, vcc
	v_cndmask_b32_e32 v0, 3, v0, vcc
	v_cmp_eq_u64_e64 s[40:41], 0, v[0:1]
	v_min_i32_e32 v1, 31, v6
	v_lshlrev_b32_e32 v1, 2, v1
	v_cmp_eq_u32_e32 vcc, 0, v6
	v_and_b32_e32 v1, 0xfc, v1
	v_and_or_b32 v0, v0, 3, v1
	s_and_b64 s[40:41], vcc, s[40:41]
	v_cndmask_b32_e64 v0, v0, 0, s[40:41]
	v_or_b32_e32 v6, v0, v10
.LBB6_25787:                            ;   in Loop: Header=BB6_24817 Depth=3
	s_or_b64 exec, exec, s[48:49]
                                        ; implicit-def: $vgpr10
.LBB6_25788:                            ;   in Loop: Header=BB6_24817 Depth=3
	s_andn2_saveexec_b64 s[40:41], s[38:39]
; %bb.25789:                            ;   in Loop: Header=BB6_24817 Depth=3
	v_or_b32_e32 v6, 0x7b, v10
; %bb.25790:                            ;   in Loop: Header=BB6_24817 Depth=3
	s_or_b64 exec, exec, s[40:41]
                                        ; implicit-def: $vgpr7
                                        ; implicit-def: $vgpr0_vgpr1
.LBB6_25791:                            ;   in Loop: Header=BB6_24817 Depth=3
	s_andn2_saveexec_b64 s[40:41], s[42:43]
	s_cbranch_execz .LBB6_24816
; %bb.25792:                            ;   in Loop: Header=BB6_24817 Depth=3
	v_cmp_ne_u64_e32 vcc, 0, v[0:1]
                                        ; implicit-def: $vgpr6
	s_and_saveexec_b64 s[42:43], vcc
	s_xor_b64 s[42:43], exec, s[42:43]
; %bb.25793:                            ;   in Loop: Header=BB6_24817 Depth=3
	v_or_b32_sdwa v6, v7, s44 dst_sel:DWORD dst_unused:UNUSED_PAD src0_sel:BYTE_3 src1_sel:DWORD
                                        ; implicit-def: $vgpr7
; %bb.25794:                            ;   in Loop: Header=BB6_24817 Depth=3
	s_andn2_saveexec_b64 s[42:43], s[42:43]
	s_cbranch_execz .LBB6_24815
; %bb.25795:                            ;   in Loop: Header=BB6_24817 Depth=3
	v_cmp_lt_i32_e32 vcc, -1, v7
	v_bfrev_b32_e32 v0, 0.5
	v_mov_b32_e32 v1, 0x7c
	v_cndmask_b32_e32 v6, v0, v1, vcc
	s_branch .LBB6_24815
.LBB6_25796:                            ;   in Loop: Header=BB6_24817 Depth=3
	s_or_saveexec_b64 s[42:43], s[42:43]
	v_bfrev_b32_e32 v1, 1
	s_xor_b64 exec, exec, s[42:43]
	s_cbranch_execz .LBB6_25285
.LBB6_25797:                            ;   in Loop: Header=BB6_24817 Depth=3
	v_cmp_ne_u16_sdwa s[62:63], v8, v33 src0_sel:BYTE_0 src1_sel:DWORD
	s_andn2_b64 s[40:41], s[40:41], exec
	s_and_b64 s[62:63], s[62:63], exec
	v_mov_b32_e32 v1, 0
	s_or_b64 s[40:41], s[40:41], s[62:63]
	s_or_b64 exec, exec, s[42:43]
	s_and_saveexec_b64 s[38:39], s[40:41]
	s_cbranch_execnz .LBB6_25286
	s_branch .LBB6_25287
.LBB6_25798:                            ;   in Loop: Header=BB6_24817 Depth=3
	s_or_saveexec_b64 s[42:43], s[42:43]
	v_bfrev_b32_e32 v7, 1
	s_xor_b64 exec, exec, s[42:43]
	s_cbranch_execz .LBB6_25319
.LBB6_25799:                            ;   in Loop: Header=BB6_24817 Depth=3
	v_cmp_ne_u16_e32 vcc, 0, v6
	s_andn2_b64 s[40:41], s[40:41], exec
	s_and_b64 s[62:63], vcc, exec
	v_mov_b32_e32 v7, 0
	s_or_b64 s[40:41], s[40:41], s[62:63]
	s_or_b64 exec, exec, s[42:43]
	s_and_saveexec_b64 s[38:39], s[40:41]
	s_cbranch_execnz .LBB6_25320
	s_branch .LBB6_25321
.LBB6_25800:                            ;   in Loop: Header=BB6_24817 Depth=3
	s_or_saveexec_b64 s[42:43], s[42:43]
	v_bfrev_b32_e32 v7, 1
	s_xor_b64 exec, exec, s[42:43]
	s_cbranch_execz .LBB6_25353
.LBB6_25801:                            ;   in Loop: Header=BB6_24817 Depth=3
	v_cmp_ne_u16_sdwa s[62:63], v1, v33 src0_sel:BYTE_0 src1_sel:DWORD
	s_andn2_b64 s[40:41], s[40:41], exec
	s_and_b64 s[62:63], s[62:63], exec
	v_mov_b32_e32 v7, 0
	s_or_b64 s[40:41], s[40:41], s[62:63]
	s_or_b64 exec, exec, s[42:43]
	s_and_saveexec_b64 s[38:39], s[40:41]
	s_cbranch_execnz .LBB6_25354
	s_branch .LBB6_25355
.LBB6_25802:                            ;   in Loop: Header=BB6_24817 Depth=3
	s_or_saveexec_b64 s[42:43], s[42:43]
	v_bfrev_b32_e32 v7, 1
	s_xor_b64 exec, exec, s[42:43]
	s_cbranch_execz .LBB6_25451
.LBB6_25803:                            ;   in Loop: Header=BB6_24817 Depth=3
	v_cmp_ne_u16_e32 vcc, 0, v14
	s_andn2_b64 s[40:41], s[40:41], exec
	s_and_b64 s[62:63], vcc, exec
	v_mov_b32_e32 v7, 0
	s_or_b64 s[40:41], s[40:41], s[62:63]
	s_or_b64 exec, exec, s[42:43]
	s_and_saveexec_b64 s[38:39], s[40:41]
	s_cbranch_execnz .LBB6_25452
	s_branch .LBB6_25453
.LBB6_25804:                            ;   in Loop: Header=BB6_24817 Depth=3
	s_or_saveexec_b64 s[42:43], s[42:43]
	v_bfrev_b32_e32 v7, 1
	s_xor_b64 exec, exec, s[42:43]
	s_cbranch_execz .LBB6_25485
.LBB6_25805:                            ;   in Loop: Header=BB6_24817 Depth=3
	v_cmp_ne_u16_sdwa s[62:63], v1, v33 src0_sel:BYTE_0 src1_sel:DWORD
	s_andn2_b64 s[40:41], s[40:41], exec
	s_and_b64 s[62:63], s[62:63], exec
	v_mov_b32_e32 v7, 0
	s_or_b64 s[40:41], s[40:41], s[62:63]
	s_or_b64 exec, exec, s[42:43]
	s_and_saveexec_b64 s[38:39], s[40:41]
	s_cbranch_execnz .LBB6_25486
	s_branch .LBB6_25487
.LBB6_25806:                            ;   in Loop: Header=BB6_24817 Depth=3
	s_or_saveexec_b64 s[42:43], s[42:43]
	v_bfrev_b32_e32 v1, 1
	s_xor_b64 exec, exec, s[42:43]
	s_cbranch_execz .LBB6_25547
.LBB6_25807:                            ;   in Loop: Header=BB6_24817 Depth=3
	v_cmp_ne_u16_sdwa s[62:63], v10, v33 src0_sel:BYTE_0 src1_sel:DWORD
	s_andn2_b64 s[40:41], s[40:41], exec
	s_and_b64 s[62:63], s[62:63], exec
	v_mov_b32_e32 v1, 0
	s_or_b64 s[40:41], s[40:41], s[62:63]
	s_or_b64 exec, exec, s[42:43]
	s_and_saveexec_b64 s[38:39], s[40:41]
	s_cbranch_execnz .LBB6_25548
	s_branch .LBB6_25549
.LBB6_25808:                            ;   in Loop: Header=BB6_24817 Depth=3
	s_or_saveexec_b64 s[42:43], s[42:43]
	v_bfrev_b32_e32 v7, 1
	s_xor_b64 exec, exec, s[42:43]
	s_cbranch_execz .LBB6_25581
.LBB6_25809:                            ;   in Loop: Header=BB6_24817 Depth=3
	v_cmp_ne_u16_e32 vcc, 0, v6
	s_andn2_b64 s[40:41], s[40:41], exec
	s_and_b64 s[62:63], vcc, exec
	v_mov_b32_e32 v7, 0
	s_or_b64 s[40:41], s[40:41], s[62:63]
	s_or_b64 exec, exec, s[42:43]
	s_and_saveexec_b64 s[38:39], s[40:41]
	s_cbranch_execnz .LBB6_25582
	s_branch .LBB6_25583
.LBB6_25810:                            ;   in Loop: Header=BB6_24817 Depth=3
	s_or_saveexec_b64 s[42:43], s[42:43]
	v_bfrev_b32_e32 v7, 1
	s_xor_b64 exec, exec, s[42:43]
	s_cbranch_execz .LBB6_25615
.LBB6_25811:                            ;   in Loop: Header=BB6_24817 Depth=3
	v_cmp_ne_u16_sdwa s[62:63], v1, v33 src0_sel:BYTE_0 src1_sel:DWORD
	s_andn2_b64 s[40:41], s[40:41], exec
	s_and_b64 s[62:63], s[62:63], exec
	v_mov_b32_e32 v7, 0
	s_or_b64 s[40:41], s[40:41], s[62:63]
	s_or_b64 exec, exec, s[42:43]
	s_and_saveexec_b64 s[38:39], s[40:41]
	s_cbranch_execnz .LBB6_25616
	s_branch .LBB6_25617
.LBB6_25812:                            ;   in Loop: Header=BB6_24817 Depth=3
	s_or_saveexec_b64 s[42:43], s[42:43]
	v_bfrev_b32_e32 v8, 1
	s_xor_b64 exec, exec, s[42:43]
	s_cbranch_execz .LBB6_25713
.LBB6_25813:                            ;   in Loop: Header=BB6_24817 Depth=3
	v_cmp_ne_u16_e32 vcc, 0, v7
	s_andn2_b64 s[40:41], s[40:41], exec
	s_and_b64 s[62:63], vcc, exec
	v_mov_b32_e32 v8, 0
	s_or_b64 s[40:41], s[40:41], s[62:63]
	s_or_b64 exec, exec, s[42:43]
	s_and_saveexec_b64 s[38:39], s[40:41]
	s_cbranch_execnz .LBB6_25714
	s_branch .LBB6_25715
.LBB6_25814:                            ;   in Loop: Header=BB6_24817 Depth=3
	s_or_saveexec_b64 s[42:43], s[42:43]
	v_bfrev_b32_e32 v7, 1
	s_xor_b64 exec, exec, s[42:43]
	s_cbranch_execz .LBB6_25747
.LBB6_25815:                            ;   in Loop: Header=BB6_24817 Depth=3
	v_cmp_ne_u16_sdwa s[62:63], v1, v33 src0_sel:BYTE_0 src1_sel:DWORD
	s_andn2_b64 s[40:41], s[40:41], exec
	s_and_b64 s[62:63], s[62:63], exec
	v_mov_b32_e32 v7, 0
	s_or_b64 s[40:41], s[40:41], s[62:63]
	s_or_b64 exec, exec, s[42:43]
	s_and_saveexec_b64 s[38:39], s[40:41]
	s_cbranch_execnz .LBB6_25748
	s_branch .LBB6_25749
.LBB6_25816:                            ;   in Loop: Header=BB6_13101 Depth=2
	s_or_b64 exec, exec, s[36:37]
.LBB6_25817:                            ;   in Loop: Header=BB6_13101 Depth=2
	s_or_b64 exec, exec, s[34:35]
	buffer_load_dword v0, off, s[0:3], s33 offset:452 ; 4-byte Folded Reload
	v_cmp_lt_i32_e32 vcc, 0, v21
	s_waitcnt vmcnt(0)
	v_and_b32_e32 v0, 15, v0
	v_sub_u32_e32 v1, v20, v0
	v_cndmask_b32_e64 v5, v20, v0, s[28:29]
	buffer_load_dword v0, off, s[0:3], s33 offset:284 ; 4-byte Folded Reload
	v_cndmask_b32_e64 v1, 0, v1, s[28:29]
	v_add3_u32 v3, v19, v17, v1
	s_waitcnt vmcnt(0)
	v_cndmask_b32_e32 v0, 0, v0, vcc
	v_sub_u32_e32 v0, v0, v21
	v_cmp_ne_u32_e32 vcc, 0, v5
	v_lshl_add_u32 v2, v0, 6, v18
	s_and_b64 s[28:29], vcc, exec
.LBB6_25818:                            ;   in Loop: Header=BB6_13101 Depth=2
	s_or_b64 exec, exec, s[30:31]
	s_and_saveexec_b64 s[40:41], s[28:29]
	s_cbranch_execz .LBB6_28215
.LBB6_25819:                            ;   in Loop: Header=BB6_13101 Depth=2
	v_ashrrev_i32_e32 v0, 31, v2
	v_ashrrev_i32_e32 v1, 31, v5
	v_lshrrev_b32_e32 v0, 26, v0
	v_lshrrev_b32_e32 v1, 21, v1
	v_add_u32_e32 v0, v2, v0
	v_add_u32_e32 v1, v5, v1
	v_ashrrev_i32_e32 v4, 6, v0
	v_ashrrev_i32_e32 v1, 11, v1
	v_sub_u32_e32 v34, v1, v4
	v_cmp_lt_i32_e32 vcc, 0, v34
	s_and_saveexec_b64 s[42:43], vcc
	s_cbranch_execz .LBB6_28133
; %bb.25820:                            ;   in Loop: Header=BB6_13101 Depth=2
	v_and_b32_e32 v0, 0xffffffc0, v0
	buffer_store_dword v1, off, s[0:3], s33 offset:308 ; 4-byte Folded Spill
	buffer_store_dword v5, off, s[0:3], s33 offset:296 ; 4-byte Folded Spill
	v_sub_u32_e32 v0, v2, v0
	v_lshlrev_b32_e32 v1, 11, v4
	buffer_store_dword v2, off, s[0:3], s33 offset:300 ; 4-byte Folded Spill
	buffer_store_dword v4, off, s[0:3], s33 offset:304 ; 4-byte Folded Spill
	;; [unrolled: 1-line block ×3, first 2 shown]
	v_add3_u32 v2, v3, v0, v1
	s_trap 2
	ds_read_b64 v[0:1], v0
	buffer_load_dword v4, off, s[0:3], s33 offset:516 ; 4-byte Folded Reload
	buffer_load_dword v5, off, s[0:3], s33 offset:520 ; 4-byte Folded Reload
	v_ashrrev_i32_e32 v3, 31, v2
	s_mov_b64 s[30:31], 0
	s_waitcnt vmcnt(0)
	v_add_co_u32_e32 v8, vcc, v2, v4
	v_addc_co_u32_e32 v9, vcc, v3, v5, vcc
	s_waitcnt lgkmcnt(0)
	v_add_co_u32_e32 v10, vcc, v0, v2
	v_addc_co_u32_e32 v11, vcc, v1, v3, vcc
	buffer_load_dword v0, off, s[0:3], s33 offset:508 ; 4-byte Folded Reload
	buffer_load_dword v1, off, s[0:3], s33 offset:512 ; 4-byte Folded Reload
	s_waitcnt vmcnt(1)
	v_add_co_u32_e32 v0, vcc, 0x7c0, v0
	s_waitcnt vmcnt(0)
	v_addc_co_u32_e32 v1, vcc, 0, v1, vcc
	v_add_co_u32_e32 v12, vcc, v0, v2
	v_addc_co_u32_e32 v13, vcc, v1, v3, vcc
	s_branch .LBB6_25823
.LBB6_25821:                            ;   in Loop: Header=BB6_25823 Depth=3
	s_or_b64 exec, exec, s[34:35]
.LBB6_25822:                            ;   in Loop: Header=BB6_25823 Depth=3
	s_or_b64 exec, exec, s[28:29]
	v_add_co_u32_e32 v0, vcc, 0xfffff840, v12
	v_addc_co_u32_e32 v1, vcc, -1, v13, vcc
	flat_store_byte v[0:1], v55 glc slc
	v_add_co_u32_e32 v0, vcc, 0xfffff880, v12
	v_addc_co_u32_e32 v1, vcc, -1, v13, vcc
	flat_store_byte v[0:1], v54 glc slc
	;; [unrolled: 3-line block ×31, first 2 shown]
	flat_store_byte v[12:13], v2 glc slc
	buffer_load_dword v1, off, s[0:3], s33 offset:396 ; 4-byte Folded Reload
	s_nop 0
	buffer_load_dword v0, off, s[0:3], s33 offset:284 ; 4-byte Folded Reload
	s_waitcnt vmcnt(0)
	v_add_co_u32_e32 v8, vcc, v8, v1
	v_addc_co_u32_e32 v9, vcc, 0, v9, vcc
	v_add_co_u32_e32 v10, vcc, v10, v1
	v_addc_co_u32_e32 v11, vcc, 0, v11, vcc
	v_sub_u32_e32 v34, v34, v0
	v_cmp_gt_i32_e32 vcc, 1, v34
	s_or_b64 s[30:31], vcc, s[30:31]
	v_add_co_u32_e32 v12, vcc, v12, v1
	v_addc_co_u32_e32 v13, vcc, 0, v13, vcc
	s_andn2_b64 exec, exec, s[30:31]
	s_cbranch_execz .LBB6_28132
.LBB6_25823:                            ;   Parent Loop BB6_47 Depth=1
                                        ;     Parent Loop BB6_13101 Depth=2
                                        ; =>    This Inner Loop Header: Depth=3
	s_trap 2
	ds_read_b64 v[0:1], v0
	v_mov_b32_e32 v4, 0
	s_waitcnt lgkmcnt(0)
	v_cmp_eq_u32_sdwa s[62:63], v0, v33 src0_sel:BYTE_0 src1_sel:DWORD
	v_readfirstlane_b32 s28, v0
	v_readfirstlane_b32 s29, v1
	v_mov_b32_e32 v1, 0
	s_and_b64 vcc, exec, s[62:63]
	s_cbranch_vccnz .LBB6_25829
; %bb.25824:                            ;   in Loop: Header=BB6_25823 Depth=3
	s_bfe_i32 s63, s28, 0x80000
	s_and_b32 s62, 0xffff, s63
	s_cmpk_eq_u32 s62, 0xff80
	v_bfrev_b32_e32 v4, 1
	s_cbranch_scc1 .LBB6_25829
; %bb.25825:                            ;   in Loop: Header=BB6_25823 Depth=3
	s_and_b32 s62, s28, 3
	s_and_b32 s34, s28, 0x7c
	s_mov_b64 vcc, -1
	s_cmpk_lg_i32 s34, 0x7c
	s_sext_i32_i16 s63, s63
                                        ; implicit-def: $sgpr34
	s_cbranch_scc0 .LBB6_25827
; %bb.25826:                            ;   in Loop: Header=BB6_25823 Depth=3
	s_flbit_i32_b32 vcc_hi, s62
	s_min_u32 vcc_hi, vcc_hi, 32
	s_sub_i32 s34, vcc_hi, 29
	s_bfe_u32 vcc_lo, s28, 0x50002
	s_lshl_b64 s[28:29], s[28:29], s34
	s_sub_i32 s29, 30, vcc_hi
	s_and_b32 s28, s28, 3
	s_cmp_eq_u32 vcc_lo, 0
	s_cselect_b32 s29, s29, vcc_lo
	s_cselect_b32 s28, s28, s62
	s_and_b32 vcc_lo, s63, 0x80000000
	s_lshl_b32 s29, s29, 23
	s_add_i32 s29, s29, vcc_lo
	s_lshl_b32 s28, s28, 21
	s_or_b32 s28, s29, s28
	s_add_i32 s34, s28, 0x38000000
	s_mov_b64 vcc, 0
.LBB6_25827:                            ;   in Loop: Header=BB6_25823 Depth=3
	s_andn2_b64 vcc, exec, vcc
	v_mov_b32_e32 v4, s34
	s_cbranch_vccnz .LBB6_25829
; %bb.25828:                            ;   in Loop: Header=BB6_25823 Depth=3
	s_cmp_eq_u32 s62, 0
	s_cselect_b64 vcc, -1, 0
	s_cmp_gt_i32 s63, -1
	s_cselect_b64 s[28:29], -1, 0
	v_mov_b32_e32 v0, 0xff800000
	v_mov_b32_e32 v2, 0x7f800000
	v_cndmask_b32_e64 v0, v0, v2, s[28:29]
	v_mov_b32_e32 v2, 0x7f800001
	v_cndmask_b32_e32 v4, v2, v0, vcc
.LBB6_25829:                            ;   in Loop: Header=BB6_25823 Depth=3
	flat_load_sbyte v0, v[8:9] glc slc
	s_waitcnt vmcnt(0) lgkmcnt(0)
	v_cmp_ne_u16_e32 vcc, 0, v0
	s_and_saveexec_b64 s[28:29], vcc
	s_cbranch_execz .LBB6_25837
; %bb.25830:                            ;   in Loop: Header=BB6_25823 Depth=3
	v_cmp_ne_u16_e32 vcc, s46, v0
	v_bfrev_b32_e32 v1, 1
	s_and_saveexec_b64 s[34:35], vcc
	s_cbranch_execz .LBB6_25836
; %bb.25831:                            ;   in Loop: Header=BB6_25823 Depth=3
	v_and_b32_e32 v1, 0x7c, v0
	v_and_b32_e32 v2, 3, v0
	v_cmp_ne_u32_e32 vcc, s86, v1
                                        ; implicit-def: $vgpr1
	s_and_saveexec_b64 s[62:63], vcc
	s_xor_b64 s[36:37], exec, s[62:63]
	s_cbranch_execz .LBB6_25833
; %bb.25832:                            ;   in Loop: Header=BB6_25823 Depth=3
	v_ffbh_u32_e32 v5, v2
	v_min_u32_e32 v7, 32, v5
	v_and_b32_e32 v3, 0xff, v0
	v_mov_b32_e32 v1, v33
	v_subrev_u32_e32 v5, 29, v7
	v_bfe_u32 v3, v3, 2, 5
	v_lshlrev_b64 v[5:6], v5, v[0:1]
	v_sub_u32_e32 v1, 30, v7
	v_cmp_eq_u32_e32 vcc, 0, v3
	v_and_b32_e32 v5, 3, v5
	v_cndmask_b32_e32 v1, v3, v1, vcc
	v_and_b32_sdwa v0, sext(v0), s87 dst_sel:DWORD dst_unused:UNUSED_PAD src0_sel:WORD_0 src1_sel:DWORD
	v_cndmask_b32_e32 v2, v2, v5, vcc
	v_lshl_add_u32 v0, v1, 23, v0
	v_lshl_or_b32 v0, v2, 21, v0
	v_add_u32_e32 v1, 0x38000000, v0
                                        ; implicit-def: $vgpr2
                                        ; implicit-def: $vgpr0
.LBB6_25833:                            ;   in Loop: Header=BB6_25823 Depth=3
	s_andn2_saveexec_b64 s[36:37], s[36:37]
; %bb.25834:                            ;   in Loop: Header=BB6_25823 Depth=3
	v_cmp_lt_i16_e32 vcc, -1, v0
	v_mov_b32_e32 v0, 0xff800000
	v_mov_b32_e32 v1, 0x7f800000
	v_cndmask_b32_e32 v0, v0, v1, vcc
	v_cmp_eq_u32_e32 vcc, 0, v2
	v_mov_b32_e32 v1, 0x7f800001
	v_cndmask_b32_e32 v1, v1, v0, vcc
; %bb.25835:                            ;   in Loop: Header=BB6_25823 Depth=3
	s_or_b64 exec, exec, s[36:37]
.LBB6_25836:                            ;   in Loop: Header=BB6_25823 Depth=3
	s_or_b64 exec, exec, s[34:35]
.LBB6_25837:                            ;   in Loop: Header=BB6_25823 Depth=3
	s_or_b64 exec, exec, s[28:29]
	v_mul_f32_e32 v2, v4, v1
	v_and_b32_e32 v5, 0x7f800000, v2
	v_mov_b32_e32 v6, v33
	v_cmp_ne_u64_e32 vcc, s[76:77], v[5:6]
	v_and_b32_e32 v0, 0x7fffff, v2
	v_mov_b32_e32 v1, v33
                                        ; implicit-def: $vgpr36
	s_and_saveexec_b64 s[28:29], vcc
	s_xor_b64 s[34:35], exec, s[28:29]
	s_cbranch_execz .LBB6_25855
; %bb.25838:                            ;   in Loop: Header=BB6_25823 Depth=3
	v_and_b32_e32 v5, 0x7fffffff, v2
	v_mov_b32_e32 v6, v33
	v_cmp_gt_u64_e32 vcc, s[78:79], v[5:6]
	v_and_b32_sdwa v3, v2, s97 dst_sel:DWORD dst_unused:UNUSED_PAD src0_sel:BYTE_3 src1_sel:DWORD
                                        ; implicit-def: $vgpr36
	s_and_saveexec_b64 s[28:29], vcc
	s_xor_b64 s[36:37], exec, s[28:29]
	s_cbranch_execz .LBB6_25852
; %bb.25839:                            ;   in Loop: Header=BB6_25823 Depth=3
	v_cmp_ne_u32_e32 vcc, 0, v2
	v_mov_b32_e32 v36, 0
	s_and_saveexec_b64 s[38:39], vcc
	s_cbranch_execz .LBB6_25851
; %bb.25840:                            ;   in Loop: Header=BB6_25823 Depth=3
	v_bfe_u32 v5, v2, 23, 8
	v_cmp_gt_u32_e64 s[28:29], s47, v5
	v_sub_u32_e32 v2, 0x71, v5
	v_cmp_eq_u32_e32 vcc, 0, v5
	v_cndmask_b32_e64 v2, 0, v2, s[28:29]
	v_mov_b32_e32 v6, 0x70
	v_cndmask_b32_e32 v6, v2, v6, vcc
	v_add_u32_e32 v2, 21, v6
	v_or_b32_e32 v7, 0x800000, v0
	v_lshlrev_b64 v[14:15], v2, -1
	v_cndmask_b32_e32 v0, v7, v0, vcc
	v_add_u32_e32 v2, 20, v6
	v_bfi_b32 v14, v14, 0, v0
	v_lshlrev_b64 v[16:17], v2, 1
	v_lshrrev_b64 v[0:1], v6, v[0:1]
	v_bfi_b32 v15, v15, 0, 0
	v_cmp_eq_u64_e64 s[28:29], v[14:15], v[16:17]
	v_mov_b32_e32 v2, v1
	v_mov_b32_e32 v1, v0
	s_and_saveexec_b64 s[48:49], s[28:29]
; %bb.25841:                            ;   in Loop: Header=BB6_25823 Depth=3
	v_bfe_u32 v1, v0, 21, 1
	v_add_co_u32_e64 v1, s[28:29], v0, v1
	v_add_co_u32_e64 v1, s[28:29], -1, v1
; %bb.25842:                            ;   in Loop: Header=BB6_25823 Depth=3
	s_or_b64 exec, exec, s[48:49]
	v_add_u32_e32 v2, 0xffffff81, v5
	v_mov_b32_e32 v5, 0xffffff82
	v_cndmask_b32_e32 v2, v2, v5, vcc
	v_lshrrev_b32_e32 v5, 23, v0
	v_add3_u32 v6, v6, v2, v5
	v_add_u32_e32 v5, 14, v6
	v_and_b32_e32 v1, 0x1fffff, v1
	v_add_u32_e32 v0, v1, v0
	v_mov_b32_e32 v1, v33
	v_cmp_ne_u32_e32 vcc, 0, v5
                                        ; implicit-def: $vgpr2
	s_and_saveexec_b64 s[28:29], vcc
	s_xor_b64 s[28:29], exec, s[28:29]
; %bb.25843:                            ;   in Loop: Header=BB6_25823 Depth=3
	v_cmp_lt_u64_e32 vcc, s[88:89], v[0:1]
	v_add_u32_e32 v2, 15, v6
	v_cndmask_b32_e32 v2, v5, v2, vcc
	v_cndmask_b32_e64 v5, 0, 1, vcc
	v_lshrrev_b64 v[0:1], v5, v[0:1]
; %bb.25844:                            ;   in Loop: Header=BB6_25823 Depth=3
	s_andn2_saveexec_b64 s[28:29], s[28:29]
; %bb.25845:                            ;   in Loop: Header=BB6_25823 Depth=3
	v_bfe_u32 v2, v0, 23, 1
; %bb.25846:                            ;   in Loop: Header=BB6_25823 Depth=3
	s_or_b64 exec, exec, s[28:29]
	v_lshrrev_b64 v[0:1], 21, v[0:1]
	v_cmp_gt_i32_e32 vcc, 32, v2
	v_cndmask_b32_e32 v1, 0, v1, vcc
	v_cndmask_b32_e32 v0, 3, v0, vcc
	v_cmp_ne_u64_e32 vcc, 0, v[0:1]
	v_cmp_ne_u32_e64 s[28:29], 0, v2
	s_or_b64 s[28:29], s[28:29], vcc
                                        ; implicit-def: $vgpr36
	s_and_saveexec_b64 s[62:63], s[28:29]
	s_xor_b64 s[28:29], exec, s[62:63]
; %bb.25847:                            ;   in Loop: Header=BB6_25823 Depth=3
	v_min_i32_e32 v1, 31, v2
	v_lshl_or_b32 v1, v1, 2, v3
	v_and_or_b32 v36, v0, 3, v1
                                        ; implicit-def: $vgpr3
; %bb.25848:                            ;   in Loop: Header=BB6_25823 Depth=3
	s_andn2_saveexec_b64 s[28:29], s[28:29]
; %bb.25849:                            ;   in Loop: Header=BB6_25823 Depth=3
	v_mov_b32_e32 v36, v3
; %bb.25850:                            ;   in Loop: Header=BB6_25823 Depth=3
	s_or_b64 exec, exec, s[28:29]
.LBB6_25851:                            ;   in Loop: Header=BB6_25823 Depth=3
	s_or_b64 exec, exec, s[38:39]
                                        ; implicit-def: $vgpr3
.LBB6_25852:                            ;   in Loop: Header=BB6_25823 Depth=3
	s_andn2_saveexec_b64 s[28:29], s[36:37]
; %bb.25853:                            ;   in Loop: Header=BB6_25823 Depth=3
	v_or_b32_e32 v36, 0x7b, v3
; %bb.25854:                            ;   in Loop: Header=BB6_25823 Depth=3
	s_or_b64 exec, exec, s[28:29]
                                        ; implicit-def: $vgpr2
                                        ; implicit-def: $vgpr0_vgpr1
.LBB6_25855:                            ;   in Loop: Header=BB6_25823 Depth=3
	s_andn2_saveexec_b64 s[28:29], s[34:35]
	s_cbranch_execz .LBB6_25861
; %bb.25856:                            ;   in Loop: Header=BB6_25823 Depth=3
	v_cmp_ne_u64_e32 vcc, 0, v[0:1]
                                        ; implicit-def: $vgpr36
	s_and_saveexec_b64 s[62:63], vcc
	s_xor_b64 vcc, exec, s[62:63]
; %bb.25857:                            ;   in Loop: Header=BB6_25823 Depth=3
	v_or_b32_sdwa v36, v2, s44 dst_sel:DWORD dst_unused:UNUSED_PAD src0_sel:BYTE_3 src1_sel:DWORD
                                        ; implicit-def: $vgpr2
; %bb.25858:                            ;   in Loop: Header=BB6_25823 Depth=3
	s_andn2_saveexec_b64 s[34:35], vcc
; %bb.25859:                            ;   in Loop: Header=BB6_25823 Depth=3
	v_cmp_lt_i32_e32 vcc, -1, v2
	v_mov_b32_e32 v0, 0x7c
	v_cndmask_b32_e32 v36, -4, v0, vcc
; %bb.25860:                            ;   in Loop: Header=BB6_25823 Depth=3
	s_or_b64 exec, exec, s[34:35]
.LBB6_25861:                            ;   in Loop: Header=BB6_25823 Depth=3
	s_or_b64 exec, exec, s[28:29]
	flat_load_sbyte v0, v[8:9] offset:64 glc slc
	v_mov_b32_e32 v1, 0
	s_waitcnt vmcnt(0) lgkmcnt(0)
	v_cmp_ne_u16_e32 vcc, 0, v0
	s_and_saveexec_b64 s[28:29], vcc
	s_cbranch_execz .LBB6_25869
; %bb.25862:                            ;   in Loop: Header=BB6_25823 Depth=3
	v_cmp_ne_u16_e32 vcc, s46, v0
	v_bfrev_b32_e32 v1, 1
	s_and_saveexec_b64 s[34:35], vcc
	s_cbranch_execz .LBB6_25868
; %bb.25863:                            ;   in Loop: Header=BB6_25823 Depth=3
	v_and_b32_e32 v1, 0x7c, v0
	v_and_b32_e32 v2, 3, v0
	v_cmp_ne_u32_e32 vcc, s86, v1
                                        ; implicit-def: $vgpr1
	s_and_saveexec_b64 s[62:63], vcc
	s_xor_b64 s[36:37], exec, s[62:63]
	s_cbranch_execz .LBB6_25865
; %bb.25864:                            ;   in Loop: Header=BB6_25823 Depth=3
	v_ffbh_u32_e32 v5, v2
	v_min_u32_e32 v7, 32, v5
	v_and_b32_e32 v3, 0xff, v0
	v_mov_b32_e32 v1, v33
	v_subrev_u32_e32 v5, 29, v7
	v_bfe_u32 v3, v3, 2, 5
	v_lshlrev_b64 v[5:6], v5, v[0:1]
	v_sub_u32_e32 v1, 30, v7
	v_cmp_eq_u32_e32 vcc, 0, v3
	v_and_b32_e32 v5, 3, v5
	v_cndmask_b32_e32 v1, v3, v1, vcc
	v_and_b32_sdwa v0, sext(v0), s87 dst_sel:DWORD dst_unused:UNUSED_PAD src0_sel:WORD_0 src1_sel:DWORD
	v_cndmask_b32_e32 v2, v2, v5, vcc
	v_lshl_add_u32 v0, v1, 23, v0
	v_lshl_or_b32 v0, v2, 21, v0
	v_add_u32_e32 v1, 0x38000000, v0
                                        ; implicit-def: $vgpr2
                                        ; implicit-def: $vgpr0
.LBB6_25865:                            ;   in Loop: Header=BB6_25823 Depth=3
	s_andn2_saveexec_b64 s[36:37], s[36:37]
; %bb.25866:                            ;   in Loop: Header=BB6_25823 Depth=3
	v_cmp_lt_i16_e32 vcc, -1, v0
	v_mov_b32_e32 v0, 0xff800000
	v_mov_b32_e32 v1, 0x7f800000
	v_cndmask_b32_e32 v0, v0, v1, vcc
	v_cmp_eq_u32_e32 vcc, 0, v2
	v_mov_b32_e32 v1, 0x7f800001
	v_cndmask_b32_e32 v1, v1, v0, vcc
; %bb.25867:                            ;   in Loop: Header=BB6_25823 Depth=3
	s_or_b64 exec, exec, s[36:37]
.LBB6_25868:                            ;   in Loop: Header=BB6_25823 Depth=3
	s_or_b64 exec, exec, s[34:35]
.LBB6_25869:                            ;   in Loop: Header=BB6_25823 Depth=3
	s_or_b64 exec, exec, s[28:29]
	v_mul_f32_e32 v2, v4, v1
	v_and_b32_e32 v5, 0x7f800000, v2
	v_mov_b32_e32 v6, v33
	v_cmp_ne_u64_e32 vcc, s[76:77], v[5:6]
	v_and_b32_e32 v0, 0x7fffff, v2
	v_mov_b32_e32 v1, v33
                                        ; implicit-def: $vgpr53
	s_and_saveexec_b64 s[28:29], vcc
	s_xor_b64 s[34:35], exec, s[28:29]
	s_cbranch_execz .LBB6_25887
; %bb.25870:                            ;   in Loop: Header=BB6_25823 Depth=3
	v_and_b32_e32 v5, 0x7fffffff, v2
	v_mov_b32_e32 v6, v33
	v_cmp_gt_u64_e32 vcc, s[78:79], v[5:6]
	v_and_b32_sdwa v3, v2, s97 dst_sel:DWORD dst_unused:UNUSED_PAD src0_sel:BYTE_3 src1_sel:DWORD
                                        ; implicit-def: $vgpr53
	s_and_saveexec_b64 s[28:29], vcc
	s_xor_b64 s[36:37], exec, s[28:29]
	s_cbranch_execz .LBB6_25884
; %bb.25871:                            ;   in Loop: Header=BB6_25823 Depth=3
	v_cmp_ne_u32_e32 vcc, 0, v2
	v_mov_b32_e32 v53, 0
	s_and_saveexec_b64 s[38:39], vcc
	s_cbranch_execz .LBB6_25883
; %bb.25872:                            ;   in Loop: Header=BB6_25823 Depth=3
	v_bfe_u32 v5, v2, 23, 8
	v_cmp_gt_u32_e64 s[28:29], s47, v5
	v_sub_u32_e32 v2, 0x71, v5
	v_cmp_eq_u32_e32 vcc, 0, v5
	v_cndmask_b32_e64 v2, 0, v2, s[28:29]
	v_mov_b32_e32 v6, 0x70
	v_cndmask_b32_e32 v6, v2, v6, vcc
	v_add_u32_e32 v2, 21, v6
	v_or_b32_e32 v7, 0x800000, v0
	v_lshlrev_b64 v[14:15], v2, -1
	v_cndmask_b32_e32 v0, v7, v0, vcc
	v_add_u32_e32 v2, 20, v6
	v_bfi_b32 v14, v14, 0, v0
	v_lshlrev_b64 v[16:17], v2, 1
	v_lshrrev_b64 v[0:1], v6, v[0:1]
	v_bfi_b32 v15, v15, 0, 0
	v_cmp_eq_u64_e64 s[28:29], v[14:15], v[16:17]
	v_mov_b32_e32 v2, v1
	v_mov_b32_e32 v1, v0
	s_and_saveexec_b64 s[48:49], s[28:29]
; %bb.25873:                            ;   in Loop: Header=BB6_25823 Depth=3
	v_bfe_u32 v1, v0, 21, 1
	v_add_co_u32_e64 v1, s[28:29], v0, v1
	v_add_co_u32_e64 v1, s[28:29], -1, v1
; %bb.25874:                            ;   in Loop: Header=BB6_25823 Depth=3
	s_or_b64 exec, exec, s[48:49]
	v_add_u32_e32 v2, 0xffffff81, v5
	v_mov_b32_e32 v5, 0xffffff82
	v_cndmask_b32_e32 v2, v2, v5, vcc
	v_lshrrev_b32_e32 v5, 23, v0
	v_add3_u32 v6, v6, v2, v5
	v_add_u32_e32 v5, 14, v6
	v_and_b32_e32 v1, 0x1fffff, v1
	v_add_u32_e32 v0, v1, v0
	v_mov_b32_e32 v1, v33
	v_cmp_ne_u32_e32 vcc, 0, v5
                                        ; implicit-def: $vgpr2
	s_and_saveexec_b64 s[28:29], vcc
	s_xor_b64 s[28:29], exec, s[28:29]
; %bb.25875:                            ;   in Loop: Header=BB6_25823 Depth=3
	v_cmp_lt_u64_e32 vcc, s[88:89], v[0:1]
	v_add_u32_e32 v2, 15, v6
	v_cndmask_b32_e32 v2, v5, v2, vcc
	v_cndmask_b32_e64 v5, 0, 1, vcc
	v_lshrrev_b64 v[0:1], v5, v[0:1]
; %bb.25876:                            ;   in Loop: Header=BB6_25823 Depth=3
	s_andn2_saveexec_b64 s[28:29], s[28:29]
; %bb.25877:                            ;   in Loop: Header=BB6_25823 Depth=3
	v_bfe_u32 v2, v0, 23, 1
; %bb.25878:                            ;   in Loop: Header=BB6_25823 Depth=3
	s_or_b64 exec, exec, s[28:29]
	v_lshrrev_b64 v[0:1], 21, v[0:1]
	v_cmp_gt_i32_e32 vcc, 32, v2
	v_cndmask_b32_e32 v1, 0, v1, vcc
	v_cndmask_b32_e32 v0, 3, v0, vcc
	v_cmp_ne_u64_e32 vcc, 0, v[0:1]
	v_cmp_ne_u32_e64 s[28:29], 0, v2
	s_or_b64 s[28:29], s[28:29], vcc
                                        ; implicit-def: $vgpr53
	s_and_saveexec_b64 s[62:63], s[28:29]
	s_xor_b64 s[28:29], exec, s[62:63]
; %bb.25879:                            ;   in Loop: Header=BB6_25823 Depth=3
	v_min_i32_e32 v1, 31, v2
	v_lshl_or_b32 v1, v1, 2, v3
	v_and_or_b32 v53, v0, 3, v1
                                        ; implicit-def: $vgpr3
; %bb.25880:                            ;   in Loop: Header=BB6_25823 Depth=3
	s_andn2_saveexec_b64 s[28:29], s[28:29]
; %bb.25881:                            ;   in Loop: Header=BB6_25823 Depth=3
	v_mov_b32_e32 v53, v3
; %bb.25882:                            ;   in Loop: Header=BB6_25823 Depth=3
	s_or_b64 exec, exec, s[28:29]
.LBB6_25883:                            ;   in Loop: Header=BB6_25823 Depth=3
	s_or_b64 exec, exec, s[38:39]
                                        ; implicit-def: $vgpr3
.LBB6_25884:                            ;   in Loop: Header=BB6_25823 Depth=3
	s_andn2_saveexec_b64 s[28:29], s[36:37]
; %bb.25885:                            ;   in Loop: Header=BB6_25823 Depth=3
	v_or_b32_e32 v53, 0x7b, v3
; %bb.25886:                            ;   in Loop: Header=BB6_25823 Depth=3
	s_or_b64 exec, exec, s[28:29]
                                        ; implicit-def: $vgpr2
                                        ; implicit-def: $vgpr0_vgpr1
.LBB6_25887:                            ;   in Loop: Header=BB6_25823 Depth=3
	s_andn2_saveexec_b64 s[28:29], s[34:35]
	s_cbranch_execz .LBB6_25893
; %bb.25888:                            ;   in Loop: Header=BB6_25823 Depth=3
	v_cmp_ne_u64_e32 vcc, 0, v[0:1]
                                        ; implicit-def: $vgpr53
	s_and_saveexec_b64 s[62:63], vcc
	s_xor_b64 vcc, exec, s[62:63]
; %bb.25889:                            ;   in Loop: Header=BB6_25823 Depth=3
	v_or_b32_sdwa v53, v2, s44 dst_sel:DWORD dst_unused:UNUSED_PAD src0_sel:BYTE_3 src1_sel:DWORD
                                        ; implicit-def: $vgpr2
; %bb.25890:                            ;   in Loop: Header=BB6_25823 Depth=3
	s_andn2_saveexec_b64 s[34:35], vcc
; %bb.25891:                            ;   in Loop: Header=BB6_25823 Depth=3
	v_cmp_lt_i32_e32 vcc, -1, v2
	v_mov_b32_e32 v0, 0x7c
	v_cndmask_b32_e32 v53, -4, v0, vcc
; %bb.25892:                            ;   in Loop: Header=BB6_25823 Depth=3
	s_or_b64 exec, exec, s[34:35]
.LBB6_25893:                            ;   in Loop: Header=BB6_25823 Depth=3
	s_or_b64 exec, exec, s[28:29]
	flat_load_sbyte v0, v[8:9] offset:128 glc slc
	v_mov_b32_e32 v1, 0
	s_waitcnt vmcnt(0) lgkmcnt(0)
	v_cmp_ne_u16_e32 vcc, 0, v0
	s_and_saveexec_b64 s[28:29], vcc
	s_cbranch_execz .LBB6_25901
; %bb.25894:                            ;   in Loop: Header=BB6_25823 Depth=3
	v_cmp_ne_u16_e32 vcc, s46, v0
	v_bfrev_b32_e32 v1, 1
	s_and_saveexec_b64 s[34:35], vcc
	s_cbranch_execz .LBB6_25900
; %bb.25895:                            ;   in Loop: Header=BB6_25823 Depth=3
	v_and_b32_e32 v1, 0x7c, v0
	v_and_b32_e32 v2, 3, v0
	v_cmp_ne_u32_e32 vcc, s86, v1
                                        ; implicit-def: $vgpr1
	s_and_saveexec_b64 s[62:63], vcc
	s_xor_b64 s[36:37], exec, s[62:63]
	s_cbranch_execz .LBB6_25897
; %bb.25896:                            ;   in Loop: Header=BB6_25823 Depth=3
	v_ffbh_u32_e32 v5, v2
	v_min_u32_e32 v7, 32, v5
	v_and_b32_e32 v3, 0xff, v0
	v_mov_b32_e32 v1, v33
	v_subrev_u32_e32 v5, 29, v7
	v_bfe_u32 v3, v3, 2, 5
	v_lshlrev_b64 v[5:6], v5, v[0:1]
	v_sub_u32_e32 v1, 30, v7
	v_cmp_eq_u32_e32 vcc, 0, v3
	v_and_b32_e32 v5, 3, v5
	v_cndmask_b32_e32 v1, v3, v1, vcc
	v_and_b32_sdwa v0, sext(v0), s87 dst_sel:DWORD dst_unused:UNUSED_PAD src0_sel:WORD_0 src1_sel:DWORD
	v_cndmask_b32_e32 v2, v2, v5, vcc
	v_lshl_add_u32 v0, v1, 23, v0
	v_lshl_or_b32 v0, v2, 21, v0
	v_add_u32_e32 v1, 0x38000000, v0
                                        ; implicit-def: $vgpr2
                                        ; implicit-def: $vgpr0
.LBB6_25897:                            ;   in Loop: Header=BB6_25823 Depth=3
	s_andn2_saveexec_b64 s[36:37], s[36:37]
; %bb.25898:                            ;   in Loop: Header=BB6_25823 Depth=3
	v_cmp_lt_i16_e32 vcc, -1, v0
	v_mov_b32_e32 v0, 0xff800000
	v_mov_b32_e32 v1, 0x7f800000
	v_cndmask_b32_e32 v0, v0, v1, vcc
	v_cmp_eq_u32_e32 vcc, 0, v2
	v_mov_b32_e32 v1, 0x7f800001
	v_cndmask_b32_e32 v1, v1, v0, vcc
; %bb.25899:                            ;   in Loop: Header=BB6_25823 Depth=3
	s_or_b64 exec, exec, s[36:37]
.LBB6_25900:                            ;   in Loop: Header=BB6_25823 Depth=3
	s_or_b64 exec, exec, s[34:35]
.LBB6_25901:                            ;   in Loop: Header=BB6_25823 Depth=3
	s_or_b64 exec, exec, s[28:29]
	v_mul_f32_e32 v2, v4, v1
	v_and_b32_e32 v5, 0x7f800000, v2
	v_mov_b32_e32 v6, v33
	v_cmp_ne_u64_e32 vcc, s[76:77], v[5:6]
	v_and_b32_e32 v0, 0x7fffff, v2
	v_mov_b32_e32 v1, v33
                                        ; implicit-def: $vgpr31
	s_and_saveexec_b64 s[28:29], vcc
	s_xor_b64 s[34:35], exec, s[28:29]
	s_cbranch_execz .LBB6_25919
; %bb.25902:                            ;   in Loop: Header=BB6_25823 Depth=3
	v_and_b32_e32 v5, 0x7fffffff, v2
	v_mov_b32_e32 v6, v33
	v_cmp_gt_u64_e32 vcc, s[78:79], v[5:6]
	v_and_b32_sdwa v3, v2, s97 dst_sel:DWORD dst_unused:UNUSED_PAD src0_sel:BYTE_3 src1_sel:DWORD
                                        ; implicit-def: $vgpr31
	s_and_saveexec_b64 s[28:29], vcc
	s_xor_b64 s[36:37], exec, s[28:29]
	s_cbranch_execz .LBB6_25916
; %bb.25903:                            ;   in Loop: Header=BB6_25823 Depth=3
	v_cmp_ne_u32_e32 vcc, 0, v2
	v_mov_b32_e32 v31, 0
	s_and_saveexec_b64 s[38:39], vcc
	s_cbranch_execz .LBB6_25915
; %bb.25904:                            ;   in Loop: Header=BB6_25823 Depth=3
	v_bfe_u32 v5, v2, 23, 8
	v_cmp_gt_u32_e64 s[28:29], s47, v5
	v_sub_u32_e32 v2, 0x71, v5
	v_cmp_eq_u32_e32 vcc, 0, v5
	v_cndmask_b32_e64 v2, 0, v2, s[28:29]
	v_mov_b32_e32 v6, 0x70
	v_cndmask_b32_e32 v6, v2, v6, vcc
	v_add_u32_e32 v2, 21, v6
	v_or_b32_e32 v7, 0x800000, v0
	v_lshlrev_b64 v[14:15], v2, -1
	v_cndmask_b32_e32 v0, v7, v0, vcc
	v_add_u32_e32 v2, 20, v6
	v_bfi_b32 v14, v14, 0, v0
	v_lshlrev_b64 v[16:17], v2, 1
	v_lshrrev_b64 v[0:1], v6, v[0:1]
	v_bfi_b32 v15, v15, 0, 0
	v_cmp_eq_u64_e64 s[28:29], v[14:15], v[16:17]
	v_mov_b32_e32 v2, v1
	v_mov_b32_e32 v1, v0
	s_and_saveexec_b64 s[48:49], s[28:29]
; %bb.25905:                            ;   in Loop: Header=BB6_25823 Depth=3
	v_bfe_u32 v1, v0, 21, 1
	v_add_co_u32_e64 v1, s[28:29], v0, v1
	v_add_co_u32_e64 v1, s[28:29], -1, v1
; %bb.25906:                            ;   in Loop: Header=BB6_25823 Depth=3
	s_or_b64 exec, exec, s[48:49]
	v_add_u32_e32 v2, 0xffffff81, v5
	v_mov_b32_e32 v5, 0xffffff82
	v_cndmask_b32_e32 v2, v2, v5, vcc
	v_lshrrev_b32_e32 v5, 23, v0
	v_add3_u32 v6, v6, v2, v5
	v_add_u32_e32 v5, 14, v6
	v_and_b32_e32 v1, 0x1fffff, v1
	v_add_u32_e32 v0, v1, v0
	v_mov_b32_e32 v1, v33
	v_cmp_ne_u32_e32 vcc, 0, v5
                                        ; implicit-def: $vgpr2
	s_and_saveexec_b64 s[28:29], vcc
	s_xor_b64 s[28:29], exec, s[28:29]
; %bb.25907:                            ;   in Loop: Header=BB6_25823 Depth=3
	v_cmp_lt_u64_e32 vcc, s[88:89], v[0:1]
	v_add_u32_e32 v2, 15, v6
	v_cndmask_b32_e32 v2, v5, v2, vcc
	v_cndmask_b32_e64 v5, 0, 1, vcc
	v_lshrrev_b64 v[0:1], v5, v[0:1]
; %bb.25908:                            ;   in Loop: Header=BB6_25823 Depth=3
	s_andn2_saveexec_b64 s[28:29], s[28:29]
; %bb.25909:                            ;   in Loop: Header=BB6_25823 Depth=3
	v_bfe_u32 v2, v0, 23, 1
; %bb.25910:                            ;   in Loop: Header=BB6_25823 Depth=3
	s_or_b64 exec, exec, s[28:29]
	v_lshrrev_b64 v[0:1], 21, v[0:1]
	v_cmp_gt_i32_e32 vcc, 32, v2
	v_cndmask_b32_e32 v1, 0, v1, vcc
	v_cndmask_b32_e32 v0, 3, v0, vcc
	v_cmp_ne_u64_e32 vcc, 0, v[0:1]
	v_cmp_ne_u32_e64 s[28:29], 0, v2
	s_or_b64 s[28:29], s[28:29], vcc
                                        ; implicit-def: $vgpr31
	s_and_saveexec_b64 s[62:63], s[28:29]
	s_xor_b64 s[28:29], exec, s[62:63]
; %bb.25911:                            ;   in Loop: Header=BB6_25823 Depth=3
	v_min_i32_e32 v1, 31, v2
	v_lshl_or_b32 v1, v1, 2, v3
	v_and_or_b32 v31, v0, 3, v1
                                        ; implicit-def: $vgpr3
; %bb.25912:                            ;   in Loop: Header=BB6_25823 Depth=3
	s_andn2_saveexec_b64 s[28:29], s[28:29]
; %bb.25913:                            ;   in Loop: Header=BB6_25823 Depth=3
	v_mov_b32_e32 v31, v3
; %bb.25914:                            ;   in Loop: Header=BB6_25823 Depth=3
	s_or_b64 exec, exec, s[28:29]
.LBB6_25915:                            ;   in Loop: Header=BB6_25823 Depth=3
	s_or_b64 exec, exec, s[38:39]
                                        ; implicit-def: $vgpr3
.LBB6_25916:                            ;   in Loop: Header=BB6_25823 Depth=3
	s_andn2_saveexec_b64 s[28:29], s[36:37]
; %bb.25917:                            ;   in Loop: Header=BB6_25823 Depth=3
	v_or_b32_e32 v31, 0x7b, v3
; %bb.25918:                            ;   in Loop: Header=BB6_25823 Depth=3
	s_or_b64 exec, exec, s[28:29]
                                        ; implicit-def: $vgpr2
                                        ; implicit-def: $vgpr0_vgpr1
.LBB6_25919:                            ;   in Loop: Header=BB6_25823 Depth=3
	s_andn2_saveexec_b64 s[28:29], s[34:35]
	s_cbranch_execz .LBB6_25925
; %bb.25920:                            ;   in Loop: Header=BB6_25823 Depth=3
	v_cmp_ne_u64_e32 vcc, 0, v[0:1]
                                        ; implicit-def: $vgpr31
	s_and_saveexec_b64 s[62:63], vcc
	s_xor_b64 vcc, exec, s[62:63]
; %bb.25921:                            ;   in Loop: Header=BB6_25823 Depth=3
	v_or_b32_sdwa v31, v2, s44 dst_sel:DWORD dst_unused:UNUSED_PAD src0_sel:BYTE_3 src1_sel:DWORD
                                        ; implicit-def: $vgpr2
; %bb.25922:                            ;   in Loop: Header=BB6_25823 Depth=3
	s_andn2_saveexec_b64 s[34:35], vcc
; %bb.25923:                            ;   in Loop: Header=BB6_25823 Depth=3
	v_cmp_lt_i32_e32 vcc, -1, v2
	v_mov_b32_e32 v0, 0x7c
	v_cndmask_b32_e32 v31, -4, v0, vcc
; %bb.25924:                            ;   in Loop: Header=BB6_25823 Depth=3
	s_or_b64 exec, exec, s[34:35]
.LBB6_25925:                            ;   in Loop: Header=BB6_25823 Depth=3
	s_or_b64 exec, exec, s[28:29]
	flat_load_sbyte v0, v[8:9] offset:192 glc slc
	v_mov_b32_e32 v1, 0
	s_waitcnt vmcnt(0) lgkmcnt(0)
	v_cmp_ne_u16_e32 vcc, 0, v0
	s_and_saveexec_b64 s[28:29], vcc
	s_cbranch_execz .LBB6_25933
; %bb.25926:                            ;   in Loop: Header=BB6_25823 Depth=3
	v_cmp_ne_u16_e32 vcc, s46, v0
	v_bfrev_b32_e32 v1, 1
	s_and_saveexec_b64 s[34:35], vcc
	s_cbranch_execz .LBB6_25932
; %bb.25927:                            ;   in Loop: Header=BB6_25823 Depth=3
	v_and_b32_e32 v1, 0x7c, v0
	v_and_b32_e32 v2, 3, v0
	v_cmp_ne_u32_e32 vcc, s86, v1
                                        ; implicit-def: $vgpr1
	s_and_saveexec_b64 s[62:63], vcc
	s_xor_b64 s[36:37], exec, s[62:63]
	s_cbranch_execz .LBB6_25929
; %bb.25928:                            ;   in Loop: Header=BB6_25823 Depth=3
	v_ffbh_u32_e32 v5, v2
	v_min_u32_e32 v7, 32, v5
	v_and_b32_e32 v3, 0xff, v0
	v_mov_b32_e32 v1, v33
	v_subrev_u32_e32 v5, 29, v7
	v_bfe_u32 v3, v3, 2, 5
	v_lshlrev_b64 v[5:6], v5, v[0:1]
	v_sub_u32_e32 v1, 30, v7
	v_cmp_eq_u32_e32 vcc, 0, v3
	v_and_b32_e32 v5, 3, v5
	v_cndmask_b32_e32 v1, v3, v1, vcc
	v_and_b32_sdwa v0, sext(v0), s87 dst_sel:DWORD dst_unused:UNUSED_PAD src0_sel:WORD_0 src1_sel:DWORD
	v_cndmask_b32_e32 v2, v2, v5, vcc
	v_lshl_add_u32 v0, v1, 23, v0
	v_lshl_or_b32 v0, v2, 21, v0
	v_add_u32_e32 v1, 0x38000000, v0
                                        ; implicit-def: $vgpr2
                                        ; implicit-def: $vgpr0
.LBB6_25929:                            ;   in Loop: Header=BB6_25823 Depth=3
	s_andn2_saveexec_b64 s[36:37], s[36:37]
; %bb.25930:                            ;   in Loop: Header=BB6_25823 Depth=3
	v_cmp_lt_i16_e32 vcc, -1, v0
	v_mov_b32_e32 v0, 0xff800000
	v_mov_b32_e32 v1, 0x7f800000
	v_cndmask_b32_e32 v0, v0, v1, vcc
	v_cmp_eq_u32_e32 vcc, 0, v2
	v_mov_b32_e32 v1, 0x7f800001
	v_cndmask_b32_e32 v1, v1, v0, vcc
; %bb.25931:                            ;   in Loop: Header=BB6_25823 Depth=3
	s_or_b64 exec, exec, s[36:37]
.LBB6_25932:                            ;   in Loop: Header=BB6_25823 Depth=3
	s_or_b64 exec, exec, s[34:35]
.LBB6_25933:                            ;   in Loop: Header=BB6_25823 Depth=3
	s_or_b64 exec, exec, s[28:29]
	v_mul_f32_e32 v2, v4, v1
	v_and_b32_e32 v5, 0x7f800000, v2
	v_mov_b32_e32 v6, v33
	v_cmp_ne_u64_e32 vcc, s[76:77], v[5:6]
	v_and_b32_e32 v0, 0x7fffff, v2
	v_mov_b32_e32 v1, v33
                                        ; implicit-def: $vgpr25
	s_and_saveexec_b64 s[28:29], vcc
	s_xor_b64 s[34:35], exec, s[28:29]
	s_cbranch_execz .LBB6_25951
; %bb.25934:                            ;   in Loop: Header=BB6_25823 Depth=3
	v_and_b32_e32 v5, 0x7fffffff, v2
	v_mov_b32_e32 v6, v33
	v_cmp_gt_u64_e32 vcc, s[78:79], v[5:6]
	v_and_b32_sdwa v3, v2, s97 dst_sel:DWORD dst_unused:UNUSED_PAD src0_sel:BYTE_3 src1_sel:DWORD
                                        ; implicit-def: $vgpr25
	s_and_saveexec_b64 s[28:29], vcc
	s_xor_b64 s[36:37], exec, s[28:29]
	s_cbranch_execz .LBB6_25948
; %bb.25935:                            ;   in Loop: Header=BB6_25823 Depth=3
	v_cmp_ne_u32_e32 vcc, 0, v2
	v_mov_b32_e32 v25, 0
	s_and_saveexec_b64 s[38:39], vcc
	s_cbranch_execz .LBB6_25947
; %bb.25936:                            ;   in Loop: Header=BB6_25823 Depth=3
	v_bfe_u32 v5, v2, 23, 8
	v_cmp_gt_u32_e64 s[28:29], s47, v5
	v_sub_u32_e32 v2, 0x71, v5
	v_cmp_eq_u32_e32 vcc, 0, v5
	v_cndmask_b32_e64 v2, 0, v2, s[28:29]
	v_mov_b32_e32 v6, 0x70
	v_cndmask_b32_e32 v6, v2, v6, vcc
	v_add_u32_e32 v2, 21, v6
	v_or_b32_e32 v7, 0x800000, v0
	v_lshlrev_b64 v[14:15], v2, -1
	v_cndmask_b32_e32 v0, v7, v0, vcc
	v_add_u32_e32 v2, 20, v6
	v_bfi_b32 v14, v14, 0, v0
	v_lshlrev_b64 v[16:17], v2, 1
	v_lshrrev_b64 v[0:1], v6, v[0:1]
	v_bfi_b32 v15, v15, 0, 0
	v_cmp_eq_u64_e64 s[28:29], v[14:15], v[16:17]
	v_mov_b32_e32 v2, v1
	v_mov_b32_e32 v1, v0
	s_and_saveexec_b64 s[48:49], s[28:29]
; %bb.25937:                            ;   in Loop: Header=BB6_25823 Depth=3
	v_bfe_u32 v1, v0, 21, 1
	v_add_co_u32_e64 v1, s[28:29], v0, v1
	v_add_co_u32_e64 v1, s[28:29], -1, v1
; %bb.25938:                            ;   in Loop: Header=BB6_25823 Depth=3
	s_or_b64 exec, exec, s[48:49]
	v_add_u32_e32 v2, 0xffffff81, v5
	v_mov_b32_e32 v5, 0xffffff82
	v_cndmask_b32_e32 v2, v2, v5, vcc
	v_lshrrev_b32_e32 v5, 23, v0
	v_add3_u32 v6, v6, v2, v5
	v_add_u32_e32 v5, 14, v6
	v_and_b32_e32 v1, 0x1fffff, v1
	v_add_u32_e32 v0, v1, v0
	v_mov_b32_e32 v1, v33
	v_cmp_ne_u32_e32 vcc, 0, v5
                                        ; implicit-def: $vgpr2
	s_and_saveexec_b64 s[28:29], vcc
	s_xor_b64 s[28:29], exec, s[28:29]
; %bb.25939:                            ;   in Loop: Header=BB6_25823 Depth=3
	v_cmp_lt_u64_e32 vcc, s[88:89], v[0:1]
	v_add_u32_e32 v2, 15, v6
	v_cndmask_b32_e32 v2, v5, v2, vcc
	v_cndmask_b32_e64 v5, 0, 1, vcc
	v_lshrrev_b64 v[0:1], v5, v[0:1]
; %bb.25940:                            ;   in Loop: Header=BB6_25823 Depth=3
	s_andn2_saveexec_b64 s[28:29], s[28:29]
; %bb.25941:                            ;   in Loop: Header=BB6_25823 Depth=3
	v_bfe_u32 v2, v0, 23, 1
; %bb.25942:                            ;   in Loop: Header=BB6_25823 Depth=3
	s_or_b64 exec, exec, s[28:29]
	v_lshrrev_b64 v[0:1], 21, v[0:1]
	v_cmp_gt_i32_e32 vcc, 32, v2
	v_cndmask_b32_e32 v1, 0, v1, vcc
	v_cndmask_b32_e32 v0, 3, v0, vcc
	v_cmp_ne_u64_e32 vcc, 0, v[0:1]
	v_cmp_ne_u32_e64 s[28:29], 0, v2
	s_or_b64 s[28:29], s[28:29], vcc
                                        ; implicit-def: $vgpr25
	s_and_saveexec_b64 s[62:63], s[28:29]
	s_xor_b64 s[28:29], exec, s[62:63]
; %bb.25943:                            ;   in Loop: Header=BB6_25823 Depth=3
	v_min_i32_e32 v1, 31, v2
	v_lshl_or_b32 v1, v1, 2, v3
	v_and_or_b32 v25, v0, 3, v1
                                        ; implicit-def: $vgpr3
; %bb.25944:                            ;   in Loop: Header=BB6_25823 Depth=3
	s_andn2_saveexec_b64 s[28:29], s[28:29]
; %bb.25945:                            ;   in Loop: Header=BB6_25823 Depth=3
	v_mov_b32_e32 v25, v3
; %bb.25946:                            ;   in Loop: Header=BB6_25823 Depth=3
	s_or_b64 exec, exec, s[28:29]
.LBB6_25947:                            ;   in Loop: Header=BB6_25823 Depth=3
	s_or_b64 exec, exec, s[38:39]
                                        ; implicit-def: $vgpr3
.LBB6_25948:                            ;   in Loop: Header=BB6_25823 Depth=3
	s_andn2_saveexec_b64 s[28:29], s[36:37]
; %bb.25949:                            ;   in Loop: Header=BB6_25823 Depth=3
	v_or_b32_e32 v25, 0x7b, v3
; %bb.25950:                            ;   in Loop: Header=BB6_25823 Depth=3
	s_or_b64 exec, exec, s[28:29]
                                        ; implicit-def: $vgpr2
                                        ; implicit-def: $vgpr0_vgpr1
.LBB6_25951:                            ;   in Loop: Header=BB6_25823 Depth=3
	s_andn2_saveexec_b64 s[28:29], s[34:35]
	s_cbranch_execz .LBB6_25957
; %bb.25952:                            ;   in Loop: Header=BB6_25823 Depth=3
	v_cmp_ne_u64_e32 vcc, 0, v[0:1]
                                        ; implicit-def: $vgpr25
	s_and_saveexec_b64 s[62:63], vcc
	s_xor_b64 vcc, exec, s[62:63]
; %bb.25953:                            ;   in Loop: Header=BB6_25823 Depth=3
	v_or_b32_sdwa v25, v2, s44 dst_sel:DWORD dst_unused:UNUSED_PAD src0_sel:BYTE_3 src1_sel:DWORD
                                        ; implicit-def: $vgpr2
; %bb.25954:                            ;   in Loop: Header=BB6_25823 Depth=3
	s_andn2_saveexec_b64 s[34:35], vcc
; %bb.25955:                            ;   in Loop: Header=BB6_25823 Depth=3
	v_cmp_lt_i32_e32 vcc, -1, v2
	v_mov_b32_e32 v0, 0x7c
	v_cndmask_b32_e32 v25, -4, v0, vcc
; %bb.25956:                            ;   in Loop: Header=BB6_25823 Depth=3
	s_or_b64 exec, exec, s[34:35]
.LBB6_25957:                            ;   in Loop: Header=BB6_25823 Depth=3
	s_or_b64 exec, exec, s[28:29]
	flat_load_sbyte v0, v[8:9] offset:256 glc slc
	v_mov_b32_e32 v1, 0
	s_waitcnt vmcnt(0) lgkmcnt(0)
	v_cmp_ne_u16_e32 vcc, 0, v0
	s_and_saveexec_b64 s[28:29], vcc
	s_cbranch_execz .LBB6_25965
; %bb.25958:                            ;   in Loop: Header=BB6_25823 Depth=3
	v_cmp_ne_u16_e32 vcc, s46, v0
	v_bfrev_b32_e32 v1, 1
	s_and_saveexec_b64 s[34:35], vcc
	s_cbranch_execz .LBB6_25964
; %bb.25959:                            ;   in Loop: Header=BB6_25823 Depth=3
	v_and_b32_e32 v1, 0x7c, v0
	v_and_b32_e32 v2, 3, v0
	v_cmp_ne_u32_e32 vcc, s86, v1
                                        ; implicit-def: $vgpr1
	s_and_saveexec_b64 s[62:63], vcc
	s_xor_b64 s[36:37], exec, s[62:63]
	s_cbranch_execz .LBB6_25961
; %bb.25960:                            ;   in Loop: Header=BB6_25823 Depth=3
	v_ffbh_u32_e32 v5, v2
	v_min_u32_e32 v7, 32, v5
	v_and_b32_e32 v3, 0xff, v0
	v_mov_b32_e32 v1, v33
	v_subrev_u32_e32 v5, 29, v7
	v_bfe_u32 v3, v3, 2, 5
	v_lshlrev_b64 v[5:6], v5, v[0:1]
	v_sub_u32_e32 v1, 30, v7
	v_cmp_eq_u32_e32 vcc, 0, v3
	v_and_b32_e32 v5, 3, v5
	v_cndmask_b32_e32 v1, v3, v1, vcc
	v_and_b32_sdwa v0, sext(v0), s87 dst_sel:DWORD dst_unused:UNUSED_PAD src0_sel:WORD_0 src1_sel:DWORD
	v_cndmask_b32_e32 v2, v2, v5, vcc
	v_lshl_add_u32 v0, v1, 23, v0
	v_lshl_or_b32 v0, v2, 21, v0
	v_add_u32_e32 v1, 0x38000000, v0
                                        ; implicit-def: $vgpr2
                                        ; implicit-def: $vgpr0
.LBB6_25961:                            ;   in Loop: Header=BB6_25823 Depth=3
	s_andn2_saveexec_b64 s[36:37], s[36:37]
; %bb.25962:                            ;   in Loop: Header=BB6_25823 Depth=3
	v_cmp_lt_i16_e32 vcc, -1, v0
	v_mov_b32_e32 v0, 0xff800000
	v_mov_b32_e32 v1, 0x7f800000
	v_cndmask_b32_e32 v0, v0, v1, vcc
	v_cmp_eq_u32_e32 vcc, 0, v2
	v_mov_b32_e32 v1, 0x7f800001
	v_cndmask_b32_e32 v1, v1, v0, vcc
; %bb.25963:                            ;   in Loop: Header=BB6_25823 Depth=3
	s_or_b64 exec, exec, s[36:37]
.LBB6_25964:                            ;   in Loop: Header=BB6_25823 Depth=3
	s_or_b64 exec, exec, s[34:35]
.LBB6_25965:                            ;   in Loop: Header=BB6_25823 Depth=3
	s_or_b64 exec, exec, s[28:29]
	v_mul_f32_e32 v2, v4, v1
	v_and_b32_e32 v5, 0x7f800000, v2
	v_mov_b32_e32 v6, v33
	v_cmp_ne_u64_e32 vcc, s[76:77], v[5:6]
	v_and_b32_e32 v0, 0x7fffff, v2
	v_mov_b32_e32 v1, v33
                                        ; implicit-def: $vgpr48
	s_and_saveexec_b64 s[28:29], vcc
	s_xor_b64 s[34:35], exec, s[28:29]
	s_cbranch_execz .LBB6_25983
; %bb.25966:                            ;   in Loop: Header=BB6_25823 Depth=3
	v_and_b32_e32 v5, 0x7fffffff, v2
	v_mov_b32_e32 v6, v33
	v_cmp_gt_u64_e32 vcc, s[78:79], v[5:6]
	v_and_b32_sdwa v3, v2, s97 dst_sel:DWORD dst_unused:UNUSED_PAD src0_sel:BYTE_3 src1_sel:DWORD
                                        ; implicit-def: $vgpr48
	s_and_saveexec_b64 s[28:29], vcc
	s_xor_b64 s[36:37], exec, s[28:29]
	s_cbranch_execz .LBB6_25980
; %bb.25967:                            ;   in Loop: Header=BB6_25823 Depth=3
	v_cmp_ne_u32_e32 vcc, 0, v2
	v_mov_b32_e32 v48, 0
	s_and_saveexec_b64 s[38:39], vcc
	s_cbranch_execz .LBB6_25979
; %bb.25968:                            ;   in Loop: Header=BB6_25823 Depth=3
	v_bfe_u32 v5, v2, 23, 8
	v_cmp_gt_u32_e64 s[28:29], s47, v5
	v_sub_u32_e32 v2, 0x71, v5
	v_cmp_eq_u32_e32 vcc, 0, v5
	v_cndmask_b32_e64 v2, 0, v2, s[28:29]
	v_mov_b32_e32 v6, 0x70
	v_cndmask_b32_e32 v6, v2, v6, vcc
	v_add_u32_e32 v2, 21, v6
	v_or_b32_e32 v7, 0x800000, v0
	v_lshlrev_b64 v[14:15], v2, -1
	v_cndmask_b32_e32 v0, v7, v0, vcc
	v_add_u32_e32 v2, 20, v6
	v_bfi_b32 v14, v14, 0, v0
	v_lshlrev_b64 v[17:18], v2, 1
	v_lshrrev_b64 v[0:1], v6, v[0:1]
	v_bfi_b32 v15, v15, 0, 0
	v_cmp_eq_u64_e64 s[28:29], v[14:15], v[17:18]
	v_mov_b32_e32 v2, v1
	v_mov_b32_e32 v1, v0
	s_and_saveexec_b64 s[48:49], s[28:29]
; %bb.25969:                            ;   in Loop: Header=BB6_25823 Depth=3
	v_bfe_u32 v1, v0, 21, 1
	v_add_co_u32_e64 v1, s[28:29], v0, v1
	v_add_co_u32_e64 v1, s[28:29], -1, v1
; %bb.25970:                            ;   in Loop: Header=BB6_25823 Depth=3
	s_or_b64 exec, exec, s[48:49]
	v_add_u32_e32 v2, 0xffffff81, v5
	v_mov_b32_e32 v5, 0xffffff82
	v_cndmask_b32_e32 v2, v2, v5, vcc
	v_lshrrev_b32_e32 v5, 23, v0
	v_add3_u32 v6, v6, v2, v5
	v_add_u32_e32 v5, 14, v6
	v_and_b32_e32 v1, 0x1fffff, v1
	v_add_u32_e32 v0, v1, v0
	v_mov_b32_e32 v1, v33
	v_cmp_ne_u32_e32 vcc, 0, v5
                                        ; implicit-def: $vgpr2
	s_and_saveexec_b64 s[28:29], vcc
	s_xor_b64 s[28:29], exec, s[28:29]
; %bb.25971:                            ;   in Loop: Header=BB6_25823 Depth=3
	v_cmp_lt_u64_e32 vcc, s[88:89], v[0:1]
	v_add_u32_e32 v2, 15, v6
	v_cndmask_b32_e32 v2, v5, v2, vcc
	v_cndmask_b32_e64 v5, 0, 1, vcc
	v_lshrrev_b64 v[0:1], v5, v[0:1]
; %bb.25972:                            ;   in Loop: Header=BB6_25823 Depth=3
	s_andn2_saveexec_b64 s[28:29], s[28:29]
; %bb.25973:                            ;   in Loop: Header=BB6_25823 Depth=3
	v_bfe_u32 v2, v0, 23, 1
; %bb.25974:                            ;   in Loop: Header=BB6_25823 Depth=3
	s_or_b64 exec, exec, s[28:29]
	v_lshrrev_b64 v[0:1], 21, v[0:1]
	v_cmp_gt_i32_e32 vcc, 32, v2
	v_cndmask_b32_e32 v1, 0, v1, vcc
	v_cndmask_b32_e32 v0, 3, v0, vcc
	v_cmp_ne_u64_e32 vcc, 0, v[0:1]
	v_cmp_ne_u32_e64 s[28:29], 0, v2
	s_or_b64 s[28:29], s[28:29], vcc
                                        ; implicit-def: $vgpr48
	s_and_saveexec_b64 s[62:63], s[28:29]
	s_xor_b64 s[28:29], exec, s[62:63]
; %bb.25975:                            ;   in Loop: Header=BB6_25823 Depth=3
	v_min_i32_e32 v1, 31, v2
	v_lshl_or_b32 v1, v1, 2, v3
	v_and_or_b32 v48, v0, 3, v1
                                        ; implicit-def: $vgpr3
; %bb.25976:                            ;   in Loop: Header=BB6_25823 Depth=3
	s_andn2_saveexec_b64 s[28:29], s[28:29]
; %bb.25977:                            ;   in Loop: Header=BB6_25823 Depth=3
	v_mov_b32_e32 v48, v3
; %bb.25978:                            ;   in Loop: Header=BB6_25823 Depth=3
	s_or_b64 exec, exec, s[28:29]
.LBB6_25979:                            ;   in Loop: Header=BB6_25823 Depth=3
	s_or_b64 exec, exec, s[38:39]
                                        ; implicit-def: $vgpr3
.LBB6_25980:                            ;   in Loop: Header=BB6_25823 Depth=3
	s_andn2_saveexec_b64 s[28:29], s[36:37]
; %bb.25981:                            ;   in Loop: Header=BB6_25823 Depth=3
	v_or_b32_e32 v48, 0x7b, v3
; %bb.25982:                            ;   in Loop: Header=BB6_25823 Depth=3
	s_or_b64 exec, exec, s[28:29]
                                        ; implicit-def: $vgpr2
                                        ; implicit-def: $vgpr0_vgpr1
.LBB6_25983:                            ;   in Loop: Header=BB6_25823 Depth=3
	s_andn2_saveexec_b64 s[28:29], s[34:35]
	s_cbranch_execz .LBB6_25989
; %bb.25984:                            ;   in Loop: Header=BB6_25823 Depth=3
	v_cmp_ne_u64_e32 vcc, 0, v[0:1]
                                        ; implicit-def: $vgpr48
	s_and_saveexec_b64 s[62:63], vcc
	s_xor_b64 vcc, exec, s[62:63]
; %bb.25985:                            ;   in Loop: Header=BB6_25823 Depth=3
	v_or_b32_sdwa v48, v2, s44 dst_sel:DWORD dst_unused:UNUSED_PAD src0_sel:BYTE_3 src1_sel:DWORD
                                        ; implicit-def: $vgpr2
; %bb.25986:                            ;   in Loop: Header=BB6_25823 Depth=3
	s_andn2_saveexec_b64 s[34:35], vcc
; %bb.25987:                            ;   in Loop: Header=BB6_25823 Depth=3
	v_cmp_lt_i32_e32 vcc, -1, v2
	v_mov_b32_e32 v0, 0x7c
	v_cndmask_b32_e32 v48, -4, v0, vcc
; %bb.25988:                            ;   in Loop: Header=BB6_25823 Depth=3
	s_or_b64 exec, exec, s[34:35]
.LBB6_25989:                            ;   in Loop: Header=BB6_25823 Depth=3
	s_or_b64 exec, exec, s[28:29]
	flat_load_sbyte v0, v[8:9] offset:320 glc slc
	v_mov_b32_e32 v1, 0
	s_waitcnt vmcnt(0) lgkmcnt(0)
	v_cmp_ne_u16_e32 vcc, 0, v0
	s_and_saveexec_b64 s[28:29], vcc
	s_cbranch_execz .LBB6_25997
; %bb.25990:                            ;   in Loop: Header=BB6_25823 Depth=3
	v_cmp_ne_u16_e32 vcc, s46, v0
	v_bfrev_b32_e32 v1, 1
	s_and_saveexec_b64 s[34:35], vcc
	s_cbranch_execz .LBB6_25996
; %bb.25991:                            ;   in Loop: Header=BB6_25823 Depth=3
	v_and_b32_e32 v1, 0x7c, v0
	v_and_b32_e32 v2, 3, v0
	v_cmp_ne_u32_e32 vcc, s86, v1
                                        ; implicit-def: $vgpr1
	s_and_saveexec_b64 s[62:63], vcc
	s_xor_b64 s[36:37], exec, s[62:63]
	s_cbranch_execz .LBB6_25993
; %bb.25992:                            ;   in Loop: Header=BB6_25823 Depth=3
	v_ffbh_u32_e32 v5, v2
	v_min_u32_e32 v7, 32, v5
	v_and_b32_e32 v3, 0xff, v0
	v_mov_b32_e32 v1, v33
	v_subrev_u32_e32 v5, 29, v7
	v_bfe_u32 v3, v3, 2, 5
	v_lshlrev_b64 v[5:6], v5, v[0:1]
	v_sub_u32_e32 v1, 30, v7
	v_cmp_eq_u32_e32 vcc, 0, v3
	v_and_b32_e32 v5, 3, v5
	v_cndmask_b32_e32 v1, v3, v1, vcc
	v_and_b32_sdwa v0, sext(v0), s87 dst_sel:DWORD dst_unused:UNUSED_PAD src0_sel:WORD_0 src1_sel:DWORD
	v_cndmask_b32_e32 v2, v2, v5, vcc
	v_lshl_add_u32 v0, v1, 23, v0
	v_lshl_or_b32 v0, v2, 21, v0
	v_add_u32_e32 v1, 0x38000000, v0
                                        ; implicit-def: $vgpr2
                                        ; implicit-def: $vgpr0
.LBB6_25993:                            ;   in Loop: Header=BB6_25823 Depth=3
	s_andn2_saveexec_b64 s[36:37], s[36:37]
; %bb.25994:                            ;   in Loop: Header=BB6_25823 Depth=3
	v_cmp_lt_i16_e32 vcc, -1, v0
	v_mov_b32_e32 v0, 0xff800000
	v_mov_b32_e32 v1, 0x7f800000
	v_cndmask_b32_e32 v0, v0, v1, vcc
	v_cmp_eq_u32_e32 vcc, 0, v2
	v_mov_b32_e32 v1, 0x7f800001
	v_cndmask_b32_e32 v1, v1, v0, vcc
; %bb.25995:                            ;   in Loop: Header=BB6_25823 Depth=3
	s_or_b64 exec, exec, s[36:37]
.LBB6_25996:                            ;   in Loop: Header=BB6_25823 Depth=3
	s_or_b64 exec, exec, s[34:35]
.LBB6_25997:                            ;   in Loop: Header=BB6_25823 Depth=3
	s_or_b64 exec, exec, s[28:29]
	v_mul_f32_e32 v2, v4, v1
	v_and_b32_e32 v5, 0x7f800000, v2
	v_mov_b32_e32 v6, v33
	v_cmp_ne_u64_e32 vcc, s[76:77], v[5:6]
	v_and_b32_e32 v0, 0x7fffff, v2
	v_mov_b32_e32 v1, v33
                                        ; implicit-def: $vgpr40
	s_and_saveexec_b64 s[28:29], vcc
	s_xor_b64 s[34:35], exec, s[28:29]
	s_cbranch_execz .LBB6_26015
; %bb.25998:                            ;   in Loop: Header=BB6_25823 Depth=3
	v_and_b32_e32 v5, 0x7fffffff, v2
	v_mov_b32_e32 v6, v33
	v_cmp_gt_u64_e32 vcc, s[78:79], v[5:6]
	v_and_b32_sdwa v3, v2, s97 dst_sel:DWORD dst_unused:UNUSED_PAD src0_sel:BYTE_3 src1_sel:DWORD
                                        ; implicit-def: $vgpr40
	s_and_saveexec_b64 s[28:29], vcc
	s_xor_b64 s[36:37], exec, s[28:29]
	s_cbranch_execz .LBB6_26012
; %bb.25999:                            ;   in Loop: Header=BB6_25823 Depth=3
	v_cmp_ne_u32_e32 vcc, 0, v2
	v_mov_b32_e32 v40, 0
	s_and_saveexec_b64 s[38:39], vcc
	s_cbranch_execz .LBB6_26011
; %bb.26000:                            ;   in Loop: Header=BB6_25823 Depth=3
	v_bfe_u32 v5, v2, 23, 8
	v_cmp_gt_u32_e64 s[28:29], s47, v5
	v_sub_u32_e32 v2, 0x71, v5
	v_cmp_eq_u32_e32 vcc, 0, v5
	v_cndmask_b32_e64 v2, 0, v2, s[28:29]
	v_mov_b32_e32 v6, 0x70
	v_cndmask_b32_e32 v6, v2, v6, vcc
	v_add_u32_e32 v2, 21, v6
	v_or_b32_e32 v7, 0x800000, v0
	v_lshlrev_b64 v[14:15], v2, -1
	v_cndmask_b32_e32 v0, v7, v0, vcc
	v_add_u32_e32 v2, 20, v6
	v_bfi_b32 v14, v14, 0, v0
	v_lshlrev_b64 v[17:18], v2, 1
	v_lshrrev_b64 v[0:1], v6, v[0:1]
	v_bfi_b32 v15, v15, 0, 0
	v_cmp_eq_u64_e64 s[28:29], v[14:15], v[17:18]
	v_mov_b32_e32 v2, v1
	v_mov_b32_e32 v1, v0
	s_and_saveexec_b64 s[48:49], s[28:29]
; %bb.26001:                            ;   in Loop: Header=BB6_25823 Depth=3
	v_bfe_u32 v1, v0, 21, 1
	v_add_co_u32_e64 v1, s[28:29], v0, v1
	v_add_co_u32_e64 v1, s[28:29], -1, v1
; %bb.26002:                            ;   in Loop: Header=BB6_25823 Depth=3
	s_or_b64 exec, exec, s[48:49]
	v_add_u32_e32 v2, 0xffffff81, v5
	v_mov_b32_e32 v5, 0xffffff82
	v_cndmask_b32_e32 v2, v2, v5, vcc
	v_lshrrev_b32_e32 v5, 23, v0
	v_add3_u32 v6, v6, v2, v5
	v_add_u32_e32 v5, 14, v6
	v_and_b32_e32 v1, 0x1fffff, v1
	v_add_u32_e32 v0, v1, v0
	v_mov_b32_e32 v1, v33
	v_cmp_ne_u32_e32 vcc, 0, v5
                                        ; implicit-def: $vgpr2
	s_and_saveexec_b64 s[28:29], vcc
	s_xor_b64 s[28:29], exec, s[28:29]
; %bb.26003:                            ;   in Loop: Header=BB6_25823 Depth=3
	v_cmp_lt_u64_e32 vcc, s[88:89], v[0:1]
	v_add_u32_e32 v2, 15, v6
	v_cndmask_b32_e32 v2, v5, v2, vcc
	v_cndmask_b32_e64 v5, 0, 1, vcc
	v_lshrrev_b64 v[0:1], v5, v[0:1]
; %bb.26004:                            ;   in Loop: Header=BB6_25823 Depth=3
	s_andn2_saveexec_b64 s[28:29], s[28:29]
; %bb.26005:                            ;   in Loop: Header=BB6_25823 Depth=3
	v_bfe_u32 v2, v0, 23, 1
; %bb.26006:                            ;   in Loop: Header=BB6_25823 Depth=3
	s_or_b64 exec, exec, s[28:29]
	v_lshrrev_b64 v[0:1], 21, v[0:1]
	v_cmp_gt_i32_e32 vcc, 32, v2
	v_cndmask_b32_e32 v1, 0, v1, vcc
	v_cndmask_b32_e32 v0, 3, v0, vcc
	v_cmp_ne_u64_e32 vcc, 0, v[0:1]
	v_cmp_ne_u32_e64 s[28:29], 0, v2
	s_or_b64 s[28:29], s[28:29], vcc
                                        ; implicit-def: $vgpr40
	s_and_saveexec_b64 s[62:63], s[28:29]
	s_xor_b64 s[28:29], exec, s[62:63]
; %bb.26007:                            ;   in Loop: Header=BB6_25823 Depth=3
	v_min_i32_e32 v1, 31, v2
	v_lshl_or_b32 v1, v1, 2, v3
	v_and_or_b32 v40, v0, 3, v1
                                        ; implicit-def: $vgpr3
; %bb.26008:                            ;   in Loop: Header=BB6_25823 Depth=3
	s_andn2_saveexec_b64 s[28:29], s[28:29]
; %bb.26009:                            ;   in Loop: Header=BB6_25823 Depth=3
	v_mov_b32_e32 v40, v3
; %bb.26010:                            ;   in Loop: Header=BB6_25823 Depth=3
	s_or_b64 exec, exec, s[28:29]
.LBB6_26011:                            ;   in Loop: Header=BB6_25823 Depth=3
	s_or_b64 exec, exec, s[38:39]
                                        ; implicit-def: $vgpr3
.LBB6_26012:                            ;   in Loop: Header=BB6_25823 Depth=3
	s_andn2_saveexec_b64 s[28:29], s[36:37]
; %bb.26013:                            ;   in Loop: Header=BB6_25823 Depth=3
	v_or_b32_e32 v40, 0x7b, v3
; %bb.26014:                            ;   in Loop: Header=BB6_25823 Depth=3
	s_or_b64 exec, exec, s[28:29]
                                        ; implicit-def: $vgpr2
                                        ; implicit-def: $vgpr0_vgpr1
.LBB6_26015:                            ;   in Loop: Header=BB6_25823 Depth=3
	s_andn2_saveexec_b64 s[28:29], s[34:35]
	s_cbranch_execz .LBB6_26021
; %bb.26016:                            ;   in Loop: Header=BB6_25823 Depth=3
	v_cmp_ne_u64_e32 vcc, 0, v[0:1]
                                        ; implicit-def: $vgpr40
	s_and_saveexec_b64 s[62:63], vcc
	s_xor_b64 vcc, exec, s[62:63]
; %bb.26017:                            ;   in Loop: Header=BB6_25823 Depth=3
	v_or_b32_sdwa v40, v2, s44 dst_sel:DWORD dst_unused:UNUSED_PAD src0_sel:BYTE_3 src1_sel:DWORD
                                        ; implicit-def: $vgpr2
; %bb.26018:                            ;   in Loop: Header=BB6_25823 Depth=3
	s_andn2_saveexec_b64 s[34:35], vcc
; %bb.26019:                            ;   in Loop: Header=BB6_25823 Depth=3
	v_cmp_lt_i32_e32 vcc, -1, v2
	v_mov_b32_e32 v0, 0x7c
	v_cndmask_b32_e32 v40, -4, v0, vcc
; %bb.26020:                            ;   in Loop: Header=BB6_25823 Depth=3
	s_or_b64 exec, exec, s[34:35]
.LBB6_26021:                            ;   in Loop: Header=BB6_25823 Depth=3
	s_or_b64 exec, exec, s[28:29]
	flat_load_sbyte v0, v[8:9] offset:384 glc slc
	v_mov_b32_e32 v1, 0
	s_waitcnt vmcnt(0) lgkmcnt(0)
	v_cmp_ne_u16_e32 vcc, 0, v0
	s_and_saveexec_b64 s[28:29], vcc
	s_cbranch_execz .LBB6_26029
; %bb.26022:                            ;   in Loop: Header=BB6_25823 Depth=3
	v_cmp_ne_u16_e32 vcc, s46, v0
	v_bfrev_b32_e32 v1, 1
	s_and_saveexec_b64 s[34:35], vcc
	s_cbranch_execz .LBB6_26028
; %bb.26023:                            ;   in Loop: Header=BB6_25823 Depth=3
	v_and_b32_e32 v1, 0x7c, v0
	v_and_b32_e32 v2, 3, v0
	v_cmp_ne_u32_e32 vcc, s86, v1
                                        ; implicit-def: $vgpr1
	s_and_saveexec_b64 s[62:63], vcc
	s_xor_b64 s[36:37], exec, s[62:63]
	s_cbranch_execz .LBB6_26025
; %bb.26024:                            ;   in Loop: Header=BB6_25823 Depth=3
	v_ffbh_u32_e32 v5, v2
	v_min_u32_e32 v7, 32, v5
	v_and_b32_e32 v3, 0xff, v0
	v_mov_b32_e32 v1, v33
	v_subrev_u32_e32 v5, 29, v7
	v_bfe_u32 v3, v3, 2, 5
	v_lshlrev_b64 v[5:6], v5, v[0:1]
	v_sub_u32_e32 v1, 30, v7
	v_cmp_eq_u32_e32 vcc, 0, v3
	v_and_b32_e32 v5, 3, v5
	v_cndmask_b32_e32 v1, v3, v1, vcc
	v_and_b32_sdwa v0, sext(v0), s87 dst_sel:DWORD dst_unused:UNUSED_PAD src0_sel:WORD_0 src1_sel:DWORD
	v_cndmask_b32_e32 v2, v2, v5, vcc
	v_lshl_add_u32 v0, v1, 23, v0
	v_lshl_or_b32 v0, v2, 21, v0
	v_add_u32_e32 v1, 0x38000000, v0
                                        ; implicit-def: $vgpr2
                                        ; implicit-def: $vgpr0
.LBB6_26025:                            ;   in Loop: Header=BB6_25823 Depth=3
	s_andn2_saveexec_b64 s[36:37], s[36:37]
; %bb.26026:                            ;   in Loop: Header=BB6_25823 Depth=3
	v_cmp_lt_i16_e32 vcc, -1, v0
	v_mov_b32_e32 v0, 0xff800000
	v_mov_b32_e32 v1, 0x7f800000
	v_cndmask_b32_e32 v0, v0, v1, vcc
	v_cmp_eq_u32_e32 vcc, 0, v2
	v_mov_b32_e32 v1, 0x7f800001
	v_cndmask_b32_e32 v1, v1, v0, vcc
; %bb.26027:                            ;   in Loop: Header=BB6_25823 Depth=3
	s_or_b64 exec, exec, s[36:37]
.LBB6_26028:                            ;   in Loop: Header=BB6_25823 Depth=3
	s_or_b64 exec, exec, s[34:35]
.LBB6_26029:                            ;   in Loop: Header=BB6_25823 Depth=3
	s_or_b64 exec, exec, s[28:29]
	v_mul_f32_e32 v2, v4, v1
	v_and_b32_e32 v5, 0x7f800000, v2
	v_mov_b32_e32 v6, v33
	v_cmp_ne_u64_e32 vcc, s[76:77], v[5:6]
	v_and_b32_e32 v0, 0x7fffff, v2
	v_mov_b32_e32 v1, v33
                                        ; implicit-def: $vgpr3
	buffer_store_dword v3, off, s[0:3], s33 offset:260 ; 4-byte Folded Spill
	s_nop 0
	buffer_store_dword v4, off, s[0:3], s33 offset:264 ; 4-byte Folded Spill
	s_and_saveexec_b64 s[28:29], vcc
	s_xor_b64 s[34:35], exec, s[28:29]
	s_cbranch_execz .LBB6_26047
; %bb.26030:                            ;   in Loop: Header=BB6_25823 Depth=3
	v_and_b32_e32 v5, 0x7fffffff, v2
	v_mov_b32_e32 v6, v33
	v_cmp_gt_u64_e32 vcc, s[78:79], v[5:6]
	v_and_b32_sdwa v3, v2, s97 dst_sel:DWORD dst_unused:UNUSED_PAD src0_sel:BYTE_3 src1_sel:DWORD
                                        ; implicit-def: $vgpr5
	buffer_store_dword v5, off, s[0:3], s33 offset:260 ; 4-byte Folded Spill
	s_nop 0
	buffer_store_dword v6, off, s[0:3], s33 offset:264 ; 4-byte Folded Spill
	s_and_saveexec_b64 s[28:29], vcc
	s_xor_b64 s[36:37], exec, s[28:29]
	s_cbranch_execz .LBB6_26044
; %bb.26031:                            ;   in Loop: Header=BB6_25823 Depth=3
	v_cmp_ne_u32_e32 vcc, 0, v2
	v_mov_b32_e32 v5, 0
	buffer_store_dword v5, off, s[0:3], s33 offset:260 ; 4-byte Folded Spill
	s_nop 0
	buffer_store_dword v6, off, s[0:3], s33 offset:264 ; 4-byte Folded Spill
	s_and_saveexec_b64 s[38:39], vcc
	s_cbranch_execz .LBB6_26043
; %bb.26032:                            ;   in Loop: Header=BB6_25823 Depth=3
	v_bfe_u32 v5, v2, 23, 8
	v_cmp_gt_u32_e64 s[28:29], s47, v5
	v_sub_u32_e32 v2, 0x71, v5
	v_cmp_eq_u32_e32 vcc, 0, v5
	v_cndmask_b32_e64 v2, 0, v2, s[28:29]
	v_mov_b32_e32 v6, 0x70
	v_cndmask_b32_e32 v6, v2, v6, vcc
	v_add_u32_e32 v2, 21, v6
	v_or_b32_e32 v7, 0x800000, v0
	v_lshlrev_b64 v[14:15], v2, -1
	v_cndmask_b32_e32 v0, v7, v0, vcc
	v_add_u32_e32 v2, 20, v6
	v_bfi_b32 v14, v14, 0, v0
	v_lshlrev_b64 v[17:18], v2, 1
	v_lshrrev_b64 v[0:1], v6, v[0:1]
	v_bfi_b32 v15, v15, 0, 0
	v_cmp_eq_u64_e64 s[28:29], v[14:15], v[17:18]
	v_mov_b32_e32 v2, v1
	v_mov_b32_e32 v1, v0
	s_and_saveexec_b64 s[48:49], s[28:29]
; %bb.26033:                            ;   in Loop: Header=BB6_25823 Depth=3
	v_bfe_u32 v1, v0, 21, 1
	v_add_co_u32_e64 v1, s[28:29], v0, v1
	v_add_co_u32_e64 v1, s[28:29], -1, v1
; %bb.26034:                            ;   in Loop: Header=BB6_25823 Depth=3
	s_or_b64 exec, exec, s[48:49]
	v_add_u32_e32 v2, 0xffffff81, v5
	v_mov_b32_e32 v5, 0xffffff82
	v_cndmask_b32_e32 v2, v2, v5, vcc
	v_lshrrev_b32_e32 v5, 23, v0
	v_add3_u32 v6, v6, v2, v5
	v_add_u32_e32 v5, 14, v6
	v_and_b32_e32 v1, 0x1fffff, v1
	v_add_u32_e32 v0, v1, v0
	v_mov_b32_e32 v1, v33
	v_cmp_ne_u32_e32 vcc, 0, v5
                                        ; implicit-def: $vgpr2
	s_and_saveexec_b64 s[28:29], vcc
	s_xor_b64 s[28:29], exec, s[28:29]
; %bb.26035:                            ;   in Loop: Header=BB6_25823 Depth=3
	v_cmp_lt_u64_e32 vcc, s[88:89], v[0:1]
	v_add_u32_e32 v2, 15, v6
	v_cndmask_b32_e32 v2, v5, v2, vcc
	v_cndmask_b32_e64 v5, 0, 1, vcc
	v_lshrrev_b64 v[0:1], v5, v[0:1]
; %bb.26036:                            ;   in Loop: Header=BB6_25823 Depth=3
	s_andn2_saveexec_b64 s[28:29], s[28:29]
; %bb.26037:                            ;   in Loop: Header=BB6_25823 Depth=3
	v_bfe_u32 v2, v0, 23, 1
; %bb.26038:                            ;   in Loop: Header=BB6_25823 Depth=3
	s_or_b64 exec, exec, s[28:29]
	v_lshrrev_b64 v[0:1], 21, v[0:1]
	v_cmp_gt_i32_e32 vcc, 32, v2
	v_cndmask_b32_e32 v1, 0, v1, vcc
	v_cndmask_b32_e32 v0, 3, v0, vcc
	v_cmp_ne_u64_e32 vcc, 0, v[0:1]
	v_cmp_ne_u32_e64 s[28:29], 0, v2
	s_or_b64 s[28:29], s[28:29], vcc
                                        ; implicit-def: $vgpr1
	buffer_store_dword v1, off, s[0:3], s33 offset:260 ; 4-byte Folded Spill
	s_nop 0
	buffer_store_dword v2, off, s[0:3], s33 offset:264 ; 4-byte Folded Spill
	s_and_saveexec_b64 s[62:63], s[28:29]
	s_xor_b64 s[28:29], exec, s[62:63]
	s_cbranch_execz .LBB6_26040
; %bb.26039:                            ;   in Loop: Header=BB6_25823 Depth=3
	v_min_i32_e32 v1, 31, v2
	v_lshl_or_b32 v1, v1, 2, v3
	v_and_or_b32 v0, v0, 3, v1
	buffer_store_dword v0, off, s[0:3], s33 offset:260 ; 4-byte Folded Spill
	s_nop 0
	buffer_store_dword v1, off, s[0:3], s33 offset:264 ; 4-byte Folded Spill
                                        ; implicit-def: $vgpr3
.LBB6_26040:                            ;   in Loop: Header=BB6_25823 Depth=3
	s_andn2_saveexec_b64 s[28:29], s[28:29]
	s_cbranch_execz .LBB6_26042
; %bb.26041:                            ;   in Loop: Header=BB6_25823 Depth=3
	v_mov_b32_e32 v0, v3
	buffer_store_dword v0, off, s[0:3], s33 offset:260 ; 4-byte Folded Spill
	s_nop 0
	buffer_store_dword v1, off, s[0:3], s33 offset:264 ; 4-byte Folded Spill
.LBB6_26042:                            ;   in Loop: Header=BB6_25823 Depth=3
	s_or_b64 exec, exec, s[28:29]
.LBB6_26043:                            ;   in Loop: Header=BB6_25823 Depth=3
	s_or_b64 exec, exec, s[38:39]
                                        ; implicit-def: $vgpr3
.LBB6_26044:                            ;   in Loop: Header=BB6_25823 Depth=3
	s_andn2_saveexec_b64 s[28:29], s[36:37]
	s_cbranch_execz .LBB6_26046
; %bb.26045:                            ;   in Loop: Header=BB6_25823 Depth=3
	v_or_b32_e32 v0, 0x7b, v3
	buffer_store_dword v0, off, s[0:3], s33 offset:260 ; 4-byte Folded Spill
	s_nop 0
	buffer_store_dword v1, off, s[0:3], s33 offset:264 ; 4-byte Folded Spill
.LBB6_26046:                            ;   in Loop: Header=BB6_25823 Depth=3
	s_or_b64 exec, exec, s[28:29]
                                        ; implicit-def: $vgpr2
                                        ; implicit-def: $vgpr0_vgpr1
.LBB6_26047:                            ;   in Loop: Header=BB6_25823 Depth=3
	s_andn2_saveexec_b64 s[28:29], s[34:35]
	s_cbranch_execz .LBB6_26053
; %bb.26048:                            ;   in Loop: Header=BB6_25823 Depth=3
	v_cmp_ne_u64_e32 vcc, 0, v[0:1]
                                        ; implicit-def: $vgpr0
	buffer_store_dword v0, off, s[0:3], s33 offset:260 ; 4-byte Folded Spill
	s_nop 0
	buffer_store_dword v1, off, s[0:3], s33 offset:264 ; 4-byte Folded Spill
	s_and_saveexec_b64 s[62:63], vcc
	s_xor_b64 vcc, exec, s[62:63]
	s_cbranch_execz .LBB6_26050
; %bb.26049:                            ;   in Loop: Header=BB6_25823 Depth=3
	v_or_b32_sdwa v0, v2, s44 dst_sel:DWORD dst_unused:UNUSED_PAD src0_sel:BYTE_3 src1_sel:DWORD
	buffer_store_dword v0, off, s[0:3], s33 offset:260 ; 4-byte Folded Spill
	s_nop 0
	buffer_store_dword v1, off, s[0:3], s33 offset:264 ; 4-byte Folded Spill
                                        ; implicit-def: $vgpr2
.LBB6_26050:                            ;   in Loop: Header=BB6_25823 Depth=3
	s_andn2_saveexec_b64 s[34:35], vcc
	s_cbranch_execz .LBB6_26052
; %bb.26051:                            ;   in Loop: Header=BB6_25823 Depth=3
	v_cmp_lt_i32_e32 vcc, -1, v2
	v_mov_b32_e32 v0, 0x7c
	v_cndmask_b32_e32 v0, -4, v0, vcc
	buffer_store_dword v0, off, s[0:3], s33 offset:260 ; 4-byte Folded Spill
	s_nop 0
	buffer_store_dword v1, off, s[0:3], s33 offset:264 ; 4-byte Folded Spill
.LBB6_26052:                            ;   in Loop: Header=BB6_25823 Depth=3
	s_or_b64 exec, exec, s[34:35]
.LBB6_26053:                            ;   in Loop: Header=BB6_25823 Depth=3
	s_or_b64 exec, exec, s[28:29]
	flat_load_sbyte v0, v[8:9] offset:448 glc slc
	v_mov_b32_e32 v1, 0
	s_waitcnt vmcnt(0) lgkmcnt(0)
	v_cmp_ne_u16_e32 vcc, 0, v0
	s_and_saveexec_b64 s[28:29], vcc
	s_cbranch_execz .LBB6_26061
; %bb.26054:                            ;   in Loop: Header=BB6_25823 Depth=3
	v_cmp_ne_u16_e32 vcc, s46, v0
	v_bfrev_b32_e32 v1, 1
	s_and_saveexec_b64 s[34:35], vcc
	s_cbranch_execz .LBB6_26060
; %bb.26055:                            ;   in Loop: Header=BB6_25823 Depth=3
	v_and_b32_e32 v1, 0x7c, v0
	v_and_b32_e32 v2, 3, v0
	v_cmp_ne_u32_e32 vcc, s86, v1
                                        ; implicit-def: $vgpr1
	s_and_saveexec_b64 s[62:63], vcc
	s_xor_b64 s[36:37], exec, s[62:63]
	s_cbranch_execz .LBB6_26057
; %bb.26056:                            ;   in Loop: Header=BB6_25823 Depth=3
	v_ffbh_u32_e32 v5, v2
	v_min_u32_e32 v7, 32, v5
	v_and_b32_e32 v3, 0xff, v0
	v_mov_b32_e32 v1, v33
	v_subrev_u32_e32 v5, 29, v7
	v_bfe_u32 v3, v3, 2, 5
	v_lshlrev_b64 v[5:6], v5, v[0:1]
	v_sub_u32_e32 v1, 30, v7
	v_cmp_eq_u32_e32 vcc, 0, v3
	v_and_b32_e32 v5, 3, v5
	v_cndmask_b32_e32 v1, v3, v1, vcc
	v_and_b32_sdwa v0, sext(v0), s87 dst_sel:DWORD dst_unused:UNUSED_PAD src0_sel:WORD_0 src1_sel:DWORD
	v_cndmask_b32_e32 v2, v2, v5, vcc
	v_lshl_add_u32 v0, v1, 23, v0
	v_lshl_or_b32 v0, v2, 21, v0
	v_add_u32_e32 v1, 0x38000000, v0
                                        ; implicit-def: $vgpr2
                                        ; implicit-def: $vgpr0
.LBB6_26057:                            ;   in Loop: Header=BB6_25823 Depth=3
	s_andn2_saveexec_b64 s[36:37], s[36:37]
; %bb.26058:                            ;   in Loop: Header=BB6_25823 Depth=3
	v_cmp_lt_i16_e32 vcc, -1, v0
	v_mov_b32_e32 v0, 0xff800000
	v_mov_b32_e32 v1, 0x7f800000
	v_cndmask_b32_e32 v0, v0, v1, vcc
	v_cmp_eq_u32_e32 vcc, 0, v2
	v_mov_b32_e32 v1, 0x7f800001
	v_cndmask_b32_e32 v1, v1, v0, vcc
; %bb.26059:                            ;   in Loop: Header=BB6_25823 Depth=3
	s_or_b64 exec, exec, s[36:37]
.LBB6_26060:                            ;   in Loop: Header=BB6_25823 Depth=3
	s_or_b64 exec, exec, s[34:35]
.LBB6_26061:                            ;   in Loop: Header=BB6_25823 Depth=3
	s_or_b64 exec, exec, s[28:29]
	v_mul_f32_e32 v2, v4, v1
	v_and_b32_e32 v5, 0x7f800000, v2
	v_mov_b32_e32 v6, v33
	v_cmp_ne_u64_e32 vcc, s[76:77], v[5:6]
	v_and_b32_e32 v0, 0x7fffff, v2
	v_mov_b32_e32 v1, v33
                                        ; implicit-def: $vgpr3
	buffer_store_dword v3, off, s[0:3], s33 offset:252 ; 4-byte Folded Spill
	s_nop 0
	buffer_store_dword v4, off, s[0:3], s33 offset:256 ; 4-byte Folded Spill
	s_and_saveexec_b64 s[28:29], vcc
	s_xor_b64 s[34:35], exec, s[28:29]
	s_cbranch_execz .LBB6_26079
; %bb.26062:                            ;   in Loop: Header=BB6_25823 Depth=3
	v_and_b32_e32 v5, 0x7fffffff, v2
	v_mov_b32_e32 v6, v33
	v_cmp_gt_u64_e32 vcc, s[78:79], v[5:6]
	v_and_b32_sdwa v3, v2, s97 dst_sel:DWORD dst_unused:UNUSED_PAD src0_sel:BYTE_3 src1_sel:DWORD
                                        ; implicit-def: $vgpr5
	buffer_store_dword v5, off, s[0:3], s33 offset:252 ; 4-byte Folded Spill
	s_nop 0
	buffer_store_dword v6, off, s[0:3], s33 offset:256 ; 4-byte Folded Spill
	s_and_saveexec_b64 s[28:29], vcc
	s_xor_b64 s[36:37], exec, s[28:29]
	s_cbranch_execz .LBB6_26076
; %bb.26063:                            ;   in Loop: Header=BB6_25823 Depth=3
	v_cmp_ne_u32_e32 vcc, 0, v2
	v_mov_b32_e32 v5, 0
	buffer_store_dword v5, off, s[0:3], s33 offset:252 ; 4-byte Folded Spill
	s_nop 0
	buffer_store_dword v6, off, s[0:3], s33 offset:256 ; 4-byte Folded Spill
	s_and_saveexec_b64 s[38:39], vcc
	s_cbranch_execz .LBB6_26075
; %bb.26064:                            ;   in Loop: Header=BB6_25823 Depth=3
	v_bfe_u32 v5, v2, 23, 8
	v_cmp_gt_u32_e64 s[28:29], s47, v5
	v_sub_u32_e32 v2, 0x71, v5
	v_cmp_eq_u32_e32 vcc, 0, v5
	v_cndmask_b32_e64 v2, 0, v2, s[28:29]
	v_mov_b32_e32 v6, 0x70
	v_cndmask_b32_e32 v6, v2, v6, vcc
	v_add_u32_e32 v2, 21, v6
	v_or_b32_e32 v7, 0x800000, v0
	v_lshlrev_b64 v[14:15], v2, -1
	v_cndmask_b32_e32 v0, v7, v0, vcc
	v_add_u32_e32 v2, 20, v6
	v_bfi_b32 v14, v14, 0, v0
	v_lshlrev_b64 v[17:18], v2, 1
	v_lshrrev_b64 v[0:1], v6, v[0:1]
	v_bfi_b32 v15, v15, 0, 0
	v_cmp_eq_u64_e64 s[28:29], v[14:15], v[17:18]
	v_mov_b32_e32 v2, v1
	v_mov_b32_e32 v1, v0
	s_and_saveexec_b64 s[48:49], s[28:29]
; %bb.26065:                            ;   in Loop: Header=BB6_25823 Depth=3
	v_bfe_u32 v1, v0, 21, 1
	v_add_co_u32_e64 v1, s[28:29], v0, v1
	v_add_co_u32_e64 v1, s[28:29], -1, v1
; %bb.26066:                            ;   in Loop: Header=BB6_25823 Depth=3
	s_or_b64 exec, exec, s[48:49]
	v_add_u32_e32 v2, 0xffffff81, v5
	v_mov_b32_e32 v5, 0xffffff82
	v_cndmask_b32_e32 v2, v2, v5, vcc
	v_lshrrev_b32_e32 v5, 23, v0
	v_add3_u32 v6, v6, v2, v5
	v_add_u32_e32 v5, 14, v6
	v_and_b32_e32 v1, 0x1fffff, v1
	v_add_u32_e32 v0, v1, v0
	v_mov_b32_e32 v1, v33
	v_cmp_ne_u32_e32 vcc, 0, v5
                                        ; implicit-def: $vgpr2
	s_and_saveexec_b64 s[28:29], vcc
	s_xor_b64 s[28:29], exec, s[28:29]
; %bb.26067:                            ;   in Loop: Header=BB6_25823 Depth=3
	v_cmp_lt_u64_e32 vcc, s[88:89], v[0:1]
	v_add_u32_e32 v2, 15, v6
	v_cndmask_b32_e32 v2, v5, v2, vcc
	v_cndmask_b32_e64 v5, 0, 1, vcc
	v_lshrrev_b64 v[0:1], v5, v[0:1]
; %bb.26068:                            ;   in Loop: Header=BB6_25823 Depth=3
	s_andn2_saveexec_b64 s[28:29], s[28:29]
; %bb.26069:                            ;   in Loop: Header=BB6_25823 Depth=3
	v_bfe_u32 v2, v0, 23, 1
; %bb.26070:                            ;   in Loop: Header=BB6_25823 Depth=3
	s_or_b64 exec, exec, s[28:29]
	v_lshrrev_b64 v[0:1], 21, v[0:1]
	v_cmp_gt_i32_e32 vcc, 32, v2
	v_cndmask_b32_e32 v1, 0, v1, vcc
	v_cndmask_b32_e32 v0, 3, v0, vcc
	v_cmp_ne_u64_e32 vcc, 0, v[0:1]
	v_cmp_ne_u32_e64 s[28:29], 0, v2
	s_or_b64 s[28:29], s[28:29], vcc
                                        ; implicit-def: $vgpr1
	buffer_store_dword v1, off, s[0:3], s33 offset:252 ; 4-byte Folded Spill
	s_nop 0
	buffer_store_dword v2, off, s[0:3], s33 offset:256 ; 4-byte Folded Spill
	s_and_saveexec_b64 s[62:63], s[28:29]
	s_xor_b64 s[28:29], exec, s[62:63]
	s_cbranch_execz .LBB6_26072
; %bb.26071:                            ;   in Loop: Header=BB6_25823 Depth=3
	v_min_i32_e32 v1, 31, v2
	v_lshl_or_b32 v1, v1, 2, v3
	v_and_or_b32 v0, v0, 3, v1
	buffer_store_dword v0, off, s[0:3], s33 offset:252 ; 4-byte Folded Spill
	s_nop 0
	buffer_store_dword v1, off, s[0:3], s33 offset:256 ; 4-byte Folded Spill
                                        ; implicit-def: $vgpr3
.LBB6_26072:                            ;   in Loop: Header=BB6_25823 Depth=3
	s_andn2_saveexec_b64 s[28:29], s[28:29]
	s_cbranch_execz .LBB6_26074
; %bb.26073:                            ;   in Loop: Header=BB6_25823 Depth=3
	v_mov_b32_e32 v0, v3
	buffer_store_dword v0, off, s[0:3], s33 offset:252 ; 4-byte Folded Spill
	s_nop 0
	buffer_store_dword v1, off, s[0:3], s33 offset:256 ; 4-byte Folded Spill
.LBB6_26074:                            ;   in Loop: Header=BB6_25823 Depth=3
	s_or_b64 exec, exec, s[28:29]
.LBB6_26075:                            ;   in Loop: Header=BB6_25823 Depth=3
	s_or_b64 exec, exec, s[38:39]
                                        ; implicit-def: $vgpr3
.LBB6_26076:                            ;   in Loop: Header=BB6_25823 Depth=3
	s_andn2_saveexec_b64 s[28:29], s[36:37]
	s_cbranch_execz .LBB6_26078
; %bb.26077:                            ;   in Loop: Header=BB6_25823 Depth=3
	v_or_b32_e32 v0, 0x7b, v3
	buffer_store_dword v0, off, s[0:3], s33 offset:252 ; 4-byte Folded Spill
	s_nop 0
	buffer_store_dword v1, off, s[0:3], s33 offset:256 ; 4-byte Folded Spill
.LBB6_26078:                            ;   in Loop: Header=BB6_25823 Depth=3
	s_or_b64 exec, exec, s[28:29]
                                        ; implicit-def: $vgpr2
                                        ; implicit-def: $vgpr0_vgpr1
.LBB6_26079:                            ;   in Loop: Header=BB6_25823 Depth=3
	s_andn2_saveexec_b64 s[28:29], s[34:35]
	s_cbranch_execz .LBB6_26085
; %bb.26080:                            ;   in Loop: Header=BB6_25823 Depth=3
	v_cmp_ne_u64_e32 vcc, 0, v[0:1]
                                        ; implicit-def: $vgpr0
	buffer_store_dword v0, off, s[0:3], s33 offset:252 ; 4-byte Folded Spill
	s_nop 0
	buffer_store_dword v1, off, s[0:3], s33 offset:256 ; 4-byte Folded Spill
	s_and_saveexec_b64 s[62:63], vcc
	s_xor_b64 vcc, exec, s[62:63]
	s_cbranch_execz .LBB6_26082
; %bb.26081:                            ;   in Loop: Header=BB6_25823 Depth=3
	v_or_b32_sdwa v0, v2, s44 dst_sel:DWORD dst_unused:UNUSED_PAD src0_sel:BYTE_3 src1_sel:DWORD
	buffer_store_dword v0, off, s[0:3], s33 offset:252 ; 4-byte Folded Spill
	s_nop 0
	buffer_store_dword v1, off, s[0:3], s33 offset:256 ; 4-byte Folded Spill
                                        ; implicit-def: $vgpr2
.LBB6_26082:                            ;   in Loop: Header=BB6_25823 Depth=3
	s_andn2_saveexec_b64 s[34:35], vcc
	s_cbranch_execz .LBB6_26084
; %bb.26083:                            ;   in Loop: Header=BB6_25823 Depth=3
	v_cmp_lt_i32_e32 vcc, -1, v2
	v_mov_b32_e32 v0, 0x7c
	v_cndmask_b32_e32 v0, -4, v0, vcc
	buffer_store_dword v0, off, s[0:3], s33 offset:252 ; 4-byte Folded Spill
	s_nop 0
	buffer_store_dword v1, off, s[0:3], s33 offset:256 ; 4-byte Folded Spill
.LBB6_26084:                            ;   in Loop: Header=BB6_25823 Depth=3
	s_or_b64 exec, exec, s[34:35]
.LBB6_26085:                            ;   in Loop: Header=BB6_25823 Depth=3
	s_or_b64 exec, exec, s[28:29]
	flat_load_sbyte v0, v[8:9] offset:512 glc slc
	v_mov_b32_e32 v1, 0
	s_waitcnt vmcnt(0) lgkmcnt(0)
	v_cmp_ne_u16_e32 vcc, 0, v0
	s_and_saveexec_b64 s[28:29], vcc
	s_cbranch_execz .LBB6_26093
; %bb.26086:                            ;   in Loop: Header=BB6_25823 Depth=3
	v_cmp_ne_u16_e32 vcc, s46, v0
	v_bfrev_b32_e32 v1, 1
	s_and_saveexec_b64 s[34:35], vcc
	s_cbranch_execz .LBB6_26092
; %bb.26087:                            ;   in Loop: Header=BB6_25823 Depth=3
	v_and_b32_e32 v1, 0x7c, v0
	v_and_b32_e32 v2, 3, v0
	v_cmp_ne_u32_e32 vcc, s86, v1
                                        ; implicit-def: $vgpr1
	s_and_saveexec_b64 s[62:63], vcc
	s_xor_b64 s[36:37], exec, s[62:63]
	s_cbranch_execz .LBB6_26089
; %bb.26088:                            ;   in Loop: Header=BB6_25823 Depth=3
	v_ffbh_u32_e32 v5, v2
	v_min_u32_e32 v7, 32, v5
	v_and_b32_e32 v3, 0xff, v0
	v_mov_b32_e32 v1, v33
	v_subrev_u32_e32 v5, 29, v7
	v_bfe_u32 v3, v3, 2, 5
	v_lshlrev_b64 v[5:6], v5, v[0:1]
	v_sub_u32_e32 v1, 30, v7
	v_cmp_eq_u32_e32 vcc, 0, v3
	v_and_b32_e32 v5, 3, v5
	v_cndmask_b32_e32 v1, v3, v1, vcc
	v_and_b32_sdwa v0, sext(v0), s87 dst_sel:DWORD dst_unused:UNUSED_PAD src0_sel:WORD_0 src1_sel:DWORD
	v_cndmask_b32_e32 v2, v2, v5, vcc
	v_lshl_add_u32 v0, v1, 23, v0
	v_lshl_or_b32 v0, v2, 21, v0
	v_add_u32_e32 v1, 0x38000000, v0
                                        ; implicit-def: $vgpr2
                                        ; implicit-def: $vgpr0
.LBB6_26089:                            ;   in Loop: Header=BB6_25823 Depth=3
	s_andn2_saveexec_b64 s[36:37], s[36:37]
; %bb.26090:                            ;   in Loop: Header=BB6_25823 Depth=3
	v_cmp_lt_i16_e32 vcc, -1, v0
	v_mov_b32_e32 v0, 0xff800000
	v_mov_b32_e32 v1, 0x7f800000
	v_cndmask_b32_e32 v0, v0, v1, vcc
	v_cmp_eq_u32_e32 vcc, 0, v2
	v_mov_b32_e32 v1, 0x7f800001
	v_cndmask_b32_e32 v1, v1, v0, vcc
; %bb.26091:                            ;   in Loop: Header=BB6_25823 Depth=3
	s_or_b64 exec, exec, s[36:37]
.LBB6_26092:                            ;   in Loop: Header=BB6_25823 Depth=3
	s_or_b64 exec, exec, s[34:35]
.LBB6_26093:                            ;   in Loop: Header=BB6_25823 Depth=3
	s_or_b64 exec, exec, s[28:29]
	v_mul_f32_e32 v2, v4, v1
	v_and_b32_e32 v5, 0x7f800000, v2
	v_mov_b32_e32 v6, v33
	v_cmp_ne_u64_e32 vcc, s[76:77], v[5:6]
	v_and_b32_e32 v0, 0x7fffff, v2
	v_mov_b32_e32 v1, v33
                                        ; implicit-def: $vgpr3
	buffer_store_dword v3, off, s[0:3], s33 offset:244 ; 4-byte Folded Spill
	s_nop 0
	buffer_store_dword v4, off, s[0:3], s33 offset:248 ; 4-byte Folded Spill
	s_and_saveexec_b64 s[28:29], vcc
	s_xor_b64 s[34:35], exec, s[28:29]
	s_cbranch_execz .LBB6_26111
; %bb.26094:                            ;   in Loop: Header=BB6_25823 Depth=3
	v_and_b32_e32 v5, 0x7fffffff, v2
	v_mov_b32_e32 v6, v33
	v_cmp_gt_u64_e32 vcc, s[78:79], v[5:6]
	v_and_b32_sdwa v3, v2, s97 dst_sel:DWORD dst_unused:UNUSED_PAD src0_sel:BYTE_3 src1_sel:DWORD
                                        ; implicit-def: $vgpr5
	buffer_store_dword v5, off, s[0:3], s33 offset:244 ; 4-byte Folded Spill
	s_nop 0
	buffer_store_dword v6, off, s[0:3], s33 offset:248 ; 4-byte Folded Spill
	s_and_saveexec_b64 s[28:29], vcc
	s_xor_b64 s[36:37], exec, s[28:29]
	s_cbranch_execz .LBB6_26108
; %bb.26095:                            ;   in Loop: Header=BB6_25823 Depth=3
	v_cmp_ne_u32_e32 vcc, 0, v2
	v_mov_b32_e32 v5, 0
	buffer_store_dword v5, off, s[0:3], s33 offset:244 ; 4-byte Folded Spill
	s_nop 0
	buffer_store_dword v6, off, s[0:3], s33 offset:248 ; 4-byte Folded Spill
	s_and_saveexec_b64 s[38:39], vcc
	s_cbranch_execz .LBB6_26107
; %bb.26096:                            ;   in Loop: Header=BB6_25823 Depth=3
	v_bfe_u32 v5, v2, 23, 8
	v_cmp_gt_u32_e64 s[28:29], s47, v5
	v_sub_u32_e32 v2, 0x71, v5
	v_cmp_eq_u32_e32 vcc, 0, v5
	v_cndmask_b32_e64 v2, 0, v2, s[28:29]
	v_mov_b32_e32 v6, 0x70
	v_cndmask_b32_e32 v6, v2, v6, vcc
	v_add_u32_e32 v2, 21, v6
	v_or_b32_e32 v7, 0x800000, v0
	v_lshlrev_b64 v[14:15], v2, -1
	v_cndmask_b32_e32 v0, v7, v0, vcc
	v_add_u32_e32 v2, 20, v6
	v_bfi_b32 v14, v14, 0, v0
	v_lshlrev_b64 v[17:18], v2, 1
	v_lshrrev_b64 v[0:1], v6, v[0:1]
	v_bfi_b32 v15, v15, 0, 0
	v_cmp_eq_u64_e64 s[28:29], v[14:15], v[17:18]
	v_mov_b32_e32 v2, v1
	v_mov_b32_e32 v1, v0
	s_and_saveexec_b64 s[48:49], s[28:29]
; %bb.26097:                            ;   in Loop: Header=BB6_25823 Depth=3
	v_bfe_u32 v1, v0, 21, 1
	v_add_co_u32_e64 v1, s[28:29], v0, v1
	v_add_co_u32_e64 v1, s[28:29], -1, v1
; %bb.26098:                            ;   in Loop: Header=BB6_25823 Depth=3
	s_or_b64 exec, exec, s[48:49]
	v_add_u32_e32 v2, 0xffffff81, v5
	v_mov_b32_e32 v5, 0xffffff82
	v_cndmask_b32_e32 v2, v2, v5, vcc
	v_lshrrev_b32_e32 v5, 23, v0
	v_add3_u32 v6, v6, v2, v5
	v_add_u32_e32 v5, 14, v6
	v_and_b32_e32 v1, 0x1fffff, v1
	v_add_u32_e32 v0, v1, v0
	v_mov_b32_e32 v1, v33
	v_cmp_ne_u32_e32 vcc, 0, v5
                                        ; implicit-def: $vgpr2
	s_and_saveexec_b64 s[28:29], vcc
	s_xor_b64 s[28:29], exec, s[28:29]
; %bb.26099:                            ;   in Loop: Header=BB6_25823 Depth=3
	v_cmp_lt_u64_e32 vcc, s[88:89], v[0:1]
	v_add_u32_e32 v2, 15, v6
	v_cndmask_b32_e32 v2, v5, v2, vcc
	v_cndmask_b32_e64 v5, 0, 1, vcc
	v_lshrrev_b64 v[0:1], v5, v[0:1]
; %bb.26100:                            ;   in Loop: Header=BB6_25823 Depth=3
	s_andn2_saveexec_b64 s[28:29], s[28:29]
; %bb.26101:                            ;   in Loop: Header=BB6_25823 Depth=3
	v_bfe_u32 v2, v0, 23, 1
; %bb.26102:                            ;   in Loop: Header=BB6_25823 Depth=3
	s_or_b64 exec, exec, s[28:29]
	v_lshrrev_b64 v[0:1], 21, v[0:1]
	v_cmp_gt_i32_e32 vcc, 32, v2
	v_cndmask_b32_e32 v1, 0, v1, vcc
	v_cndmask_b32_e32 v0, 3, v0, vcc
	v_cmp_ne_u64_e32 vcc, 0, v[0:1]
	v_cmp_ne_u32_e64 s[28:29], 0, v2
	s_or_b64 s[28:29], s[28:29], vcc
                                        ; implicit-def: $vgpr1
	buffer_store_dword v1, off, s[0:3], s33 offset:244 ; 4-byte Folded Spill
	s_nop 0
	buffer_store_dword v2, off, s[0:3], s33 offset:248 ; 4-byte Folded Spill
	s_and_saveexec_b64 s[62:63], s[28:29]
	s_xor_b64 s[28:29], exec, s[62:63]
	s_cbranch_execz .LBB6_26104
; %bb.26103:                            ;   in Loop: Header=BB6_25823 Depth=3
	v_min_i32_e32 v1, 31, v2
	v_lshl_or_b32 v1, v1, 2, v3
	v_and_or_b32 v0, v0, 3, v1
	buffer_store_dword v0, off, s[0:3], s33 offset:244 ; 4-byte Folded Spill
	s_nop 0
	buffer_store_dword v1, off, s[0:3], s33 offset:248 ; 4-byte Folded Spill
                                        ; implicit-def: $vgpr3
.LBB6_26104:                            ;   in Loop: Header=BB6_25823 Depth=3
	s_andn2_saveexec_b64 s[28:29], s[28:29]
	s_cbranch_execz .LBB6_26106
; %bb.26105:                            ;   in Loop: Header=BB6_25823 Depth=3
	v_mov_b32_e32 v0, v3
	buffer_store_dword v0, off, s[0:3], s33 offset:244 ; 4-byte Folded Spill
	s_nop 0
	buffer_store_dword v1, off, s[0:3], s33 offset:248 ; 4-byte Folded Spill
.LBB6_26106:                            ;   in Loop: Header=BB6_25823 Depth=3
	s_or_b64 exec, exec, s[28:29]
.LBB6_26107:                            ;   in Loop: Header=BB6_25823 Depth=3
	s_or_b64 exec, exec, s[38:39]
                                        ; implicit-def: $vgpr3
.LBB6_26108:                            ;   in Loop: Header=BB6_25823 Depth=3
	s_andn2_saveexec_b64 s[28:29], s[36:37]
	s_cbranch_execz .LBB6_26110
; %bb.26109:                            ;   in Loop: Header=BB6_25823 Depth=3
	v_or_b32_e32 v0, 0x7b, v3
	buffer_store_dword v0, off, s[0:3], s33 offset:244 ; 4-byte Folded Spill
	s_nop 0
	buffer_store_dword v1, off, s[0:3], s33 offset:248 ; 4-byte Folded Spill
.LBB6_26110:                            ;   in Loop: Header=BB6_25823 Depth=3
	s_or_b64 exec, exec, s[28:29]
                                        ; implicit-def: $vgpr2
                                        ; implicit-def: $vgpr0_vgpr1
.LBB6_26111:                            ;   in Loop: Header=BB6_25823 Depth=3
	s_andn2_saveexec_b64 s[28:29], s[34:35]
	s_cbranch_execz .LBB6_26117
; %bb.26112:                            ;   in Loop: Header=BB6_25823 Depth=3
	v_cmp_ne_u64_e32 vcc, 0, v[0:1]
                                        ; implicit-def: $vgpr0
	buffer_store_dword v0, off, s[0:3], s33 offset:244 ; 4-byte Folded Spill
	s_nop 0
	buffer_store_dword v1, off, s[0:3], s33 offset:248 ; 4-byte Folded Spill
	s_and_saveexec_b64 s[62:63], vcc
	s_xor_b64 vcc, exec, s[62:63]
	s_cbranch_execz .LBB6_26114
; %bb.26113:                            ;   in Loop: Header=BB6_25823 Depth=3
	v_or_b32_sdwa v0, v2, s44 dst_sel:DWORD dst_unused:UNUSED_PAD src0_sel:BYTE_3 src1_sel:DWORD
	buffer_store_dword v0, off, s[0:3], s33 offset:244 ; 4-byte Folded Spill
	s_nop 0
	buffer_store_dword v1, off, s[0:3], s33 offset:248 ; 4-byte Folded Spill
                                        ; implicit-def: $vgpr2
.LBB6_26114:                            ;   in Loop: Header=BB6_25823 Depth=3
	s_andn2_saveexec_b64 s[34:35], vcc
	s_cbranch_execz .LBB6_26116
; %bb.26115:                            ;   in Loop: Header=BB6_25823 Depth=3
	v_cmp_lt_i32_e32 vcc, -1, v2
	v_mov_b32_e32 v0, 0x7c
	v_cndmask_b32_e32 v0, -4, v0, vcc
	buffer_store_dword v0, off, s[0:3], s33 offset:244 ; 4-byte Folded Spill
	s_nop 0
	buffer_store_dword v1, off, s[0:3], s33 offset:248 ; 4-byte Folded Spill
.LBB6_26116:                            ;   in Loop: Header=BB6_25823 Depth=3
	s_or_b64 exec, exec, s[34:35]
.LBB6_26117:                            ;   in Loop: Header=BB6_25823 Depth=3
	s_or_b64 exec, exec, s[28:29]
	flat_load_sbyte v0, v[8:9] offset:576 glc slc
	v_mov_b32_e32 v1, 0
	s_waitcnt vmcnt(0) lgkmcnt(0)
	v_cmp_ne_u16_e32 vcc, 0, v0
	s_and_saveexec_b64 s[28:29], vcc
	s_cbranch_execz .LBB6_26125
; %bb.26118:                            ;   in Loop: Header=BB6_25823 Depth=3
	v_cmp_ne_u16_e32 vcc, s46, v0
	v_bfrev_b32_e32 v1, 1
	s_and_saveexec_b64 s[34:35], vcc
	s_cbranch_execz .LBB6_26124
; %bb.26119:                            ;   in Loop: Header=BB6_25823 Depth=3
	v_and_b32_e32 v1, 0x7c, v0
	v_and_b32_e32 v2, 3, v0
	v_cmp_ne_u32_e32 vcc, s86, v1
                                        ; implicit-def: $vgpr1
	s_and_saveexec_b64 s[62:63], vcc
	s_xor_b64 s[36:37], exec, s[62:63]
	s_cbranch_execz .LBB6_26121
; %bb.26120:                            ;   in Loop: Header=BB6_25823 Depth=3
	v_ffbh_u32_e32 v5, v2
	v_min_u32_e32 v7, 32, v5
	v_and_b32_e32 v3, 0xff, v0
	v_mov_b32_e32 v1, v33
	v_subrev_u32_e32 v5, 29, v7
	v_bfe_u32 v3, v3, 2, 5
	v_lshlrev_b64 v[5:6], v5, v[0:1]
	v_sub_u32_e32 v1, 30, v7
	v_cmp_eq_u32_e32 vcc, 0, v3
	v_and_b32_e32 v5, 3, v5
	v_cndmask_b32_e32 v1, v3, v1, vcc
	v_and_b32_sdwa v0, sext(v0), s87 dst_sel:DWORD dst_unused:UNUSED_PAD src0_sel:WORD_0 src1_sel:DWORD
	v_cndmask_b32_e32 v2, v2, v5, vcc
	v_lshl_add_u32 v0, v1, 23, v0
	v_lshl_or_b32 v0, v2, 21, v0
	v_add_u32_e32 v1, 0x38000000, v0
                                        ; implicit-def: $vgpr2
                                        ; implicit-def: $vgpr0
.LBB6_26121:                            ;   in Loop: Header=BB6_25823 Depth=3
	s_andn2_saveexec_b64 s[36:37], s[36:37]
; %bb.26122:                            ;   in Loop: Header=BB6_25823 Depth=3
	v_cmp_lt_i16_e32 vcc, -1, v0
	v_mov_b32_e32 v0, 0xff800000
	v_mov_b32_e32 v1, 0x7f800000
	v_cndmask_b32_e32 v0, v0, v1, vcc
	v_cmp_eq_u32_e32 vcc, 0, v2
	v_mov_b32_e32 v1, 0x7f800001
	v_cndmask_b32_e32 v1, v1, v0, vcc
; %bb.26123:                            ;   in Loop: Header=BB6_25823 Depth=3
	s_or_b64 exec, exec, s[36:37]
.LBB6_26124:                            ;   in Loop: Header=BB6_25823 Depth=3
	s_or_b64 exec, exec, s[34:35]
.LBB6_26125:                            ;   in Loop: Header=BB6_25823 Depth=3
	s_or_b64 exec, exec, s[28:29]
	v_mul_f32_e32 v5, v4, v1
	v_and_b32_e32 v2, 0x7f800000, v5
	v_mov_b32_e32 v3, v33
	v_cmp_ne_u64_e32 vcc, s[76:77], v[2:3]
	v_and_b32_e32 v1, 0x7fffff, v5
	v_mov_b32_e32 v2, v33
                                        ; implicit-def: $vgpr0
	s_and_saveexec_b64 s[28:29], vcc
	s_xor_b64 s[34:35], exec, s[28:29]
	s_cbranch_execz .LBB6_26143
; %bb.26126:                            ;   in Loop: Header=BB6_25823 Depth=3
	v_and_b32_e32 v6, 0x7fffffff, v5
	v_mov_b32_e32 v7, v33
	v_cmp_gt_u64_e32 vcc, s[78:79], v[6:7]
	v_and_b32_sdwa v3, v5, s97 dst_sel:DWORD dst_unused:UNUSED_PAD src0_sel:BYTE_3 src1_sel:DWORD
                                        ; implicit-def: $vgpr0
	s_and_saveexec_b64 s[28:29], vcc
	s_xor_b64 s[36:37], exec, s[28:29]
	s_cbranch_execz .LBB6_26140
; %bb.26127:                            ;   in Loop: Header=BB6_25823 Depth=3
	v_cmp_ne_u32_e32 vcc, 0, v5
	v_mov_b32_e32 v0, 0
	s_and_saveexec_b64 s[38:39], vcc
	s_cbranch_execz .LBB6_26139
; %bb.26128:                            ;   in Loop: Header=BB6_25823 Depth=3
	v_bfe_u32 v5, v5, 23, 8
	v_cmp_gt_u32_e64 s[28:29], s47, v5
	v_sub_u32_e32 v0, 0x71, v5
	v_cmp_eq_u32_e32 vcc, 0, v5
	v_cndmask_b32_e64 v0, 0, v0, s[28:29]
	v_mov_b32_e32 v6, 0x70
	v_cndmask_b32_e32 v6, v0, v6, vcc
	v_add_u32_e32 v0, 21, v6
	v_or_b32_e32 v7, 0x800000, v1
	v_lshlrev_b64 v[14:15], v0, -1
	v_cndmask_b32_e32 v1, v7, v1, vcc
	v_add_u32_e32 v0, 20, v6
	v_bfi_b32 v14, v14, 0, v1
	v_lshlrev_b64 v[17:18], v0, 1
	v_lshrrev_b64 v[0:1], v6, v[1:2]
	v_bfi_b32 v15, v15, 0, 0
	v_cmp_eq_u64_e64 s[28:29], v[14:15], v[17:18]
	v_mov_b32_e32 v2, v1
	v_mov_b32_e32 v1, v0
	s_and_saveexec_b64 s[48:49], s[28:29]
; %bb.26129:                            ;   in Loop: Header=BB6_25823 Depth=3
	v_bfe_u32 v1, v0, 21, 1
	v_add_co_u32_e64 v1, s[28:29], v0, v1
	v_add_co_u32_e64 v1, s[28:29], -1, v1
; %bb.26130:                            ;   in Loop: Header=BB6_25823 Depth=3
	s_or_b64 exec, exec, s[48:49]
	v_add_u32_e32 v2, 0xffffff81, v5
	v_mov_b32_e32 v5, 0xffffff82
	v_cndmask_b32_e32 v2, v2, v5, vcc
	v_lshrrev_b32_e32 v5, 23, v0
	v_add3_u32 v6, v6, v2, v5
	v_add_u32_e32 v2, 14, v6
	v_and_b32_e32 v1, 0x1fffff, v1
	v_add_u32_e32 v0, v1, v0
	v_mov_b32_e32 v1, v33
	v_cmp_ne_u32_e32 vcc, 0, v2
                                        ; implicit-def: $vgpr5
	s_and_saveexec_b64 s[28:29], vcc
	s_xor_b64 s[28:29], exec, s[28:29]
; %bb.26131:                            ;   in Loop: Header=BB6_25823 Depth=3
	v_cmp_lt_u64_e32 vcc, s[88:89], v[0:1]
	v_add_u32_e32 v5, 15, v6
	v_cndmask_b32_e32 v5, v2, v5, vcc
	v_cndmask_b32_e64 v2, 0, 1, vcc
	v_lshrrev_b64 v[0:1], v2, v[0:1]
; %bb.26132:                            ;   in Loop: Header=BB6_25823 Depth=3
	s_andn2_saveexec_b64 s[28:29], s[28:29]
; %bb.26133:                            ;   in Loop: Header=BB6_25823 Depth=3
	v_bfe_u32 v5, v0, 23, 1
; %bb.26134:                            ;   in Loop: Header=BB6_25823 Depth=3
	s_or_b64 exec, exec, s[28:29]
	v_lshrrev_b64 v[0:1], 21, v[0:1]
	v_cmp_gt_i32_e32 vcc, 32, v5
	v_cndmask_b32_e32 v2, 0, v1, vcc
	v_cndmask_b32_e32 v1, 3, v0, vcc
	v_cmp_ne_u64_e32 vcc, 0, v[1:2]
	v_cmp_ne_u32_e64 s[28:29], 0, v5
	s_or_b64 s[28:29], s[28:29], vcc
                                        ; implicit-def: $vgpr0
	s_and_saveexec_b64 s[62:63], s[28:29]
	s_xor_b64 s[28:29], exec, s[62:63]
; %bb.26135:                            ;   in Loop: Header=BB6_25823 Depth=3
	v_min_i32_e32 v0, 31, v5
	v_lshl_or_b32 v0, v0, 2, v3
	v_and_or_b32 v0, v1, 3, v0
                                        ; implicit-def: $vgpr3
; %bb.26136:                            ;   in Loop: Header=BB6_25823 Depth=3
	s_andn2_saveexec_b64 s[28:29], s[28:29]
; %bb.26137:                            ;   in Loop: Header=BB6_25823 Depth=3
	v_mov_b32_e32 v0, v3
; %bb.26138:                            ;   in Loop: Header=BB6_25823 Depth=3
	s_or_b64 exec, exec, s[28:29]
.LBB6_26139:                            ;   in Loop: Header=BB6_25823 Depth=3
	s_or_b64 exec, exec, s[38:39]
                                        ; implicit-def: $vgpr3
.LBB6_26140:                            ;   in Loop: Header=BB6_25823 Depth=3
	s_andn2_saveexec_b64 s[28:29], s[36:37]
; %bb.26141:                            ;   in Loop: Header=BB6_25823 Depth=3
	v_or_b32_e32 v0, 0x7b, v3
; %bb.26142:                            ;   in Loop: Header=BB6_25823 Depth=3
	s_or_b64 exec, exec, s[28:29]
                                        ; implicit-def: $vgpr5
                                        ; implicit-def: $vgpr1_vgpr2
.LBB6_26143:                            ;   in Loop: Header=BB6_25823 Depth=3
	s_andn2_saveexec_b64 s[28:29], s[34:35]
	s_cbranch_execz .LBB6_26149
; %bb.26144:                            ;   in Loop: Header=BB6_25823 Depth=3
	v_cmp_ne_u64_e32 vcc, 0, v[1:2]
                                        ; implicit-def: $vgpr0
	s_and_saveexec_b64 s[62:63], vcc
	s_xor_b64 vcc, exec, s[62:63]
; %bb.26145:                            ;   in Loop: Header=BB6_25823 Depth=3
	v_or_b32_sdwa v0, v5, s44 dst_sel:DWORD dst_unused:UNUSED_PAD src0_sel:BYTE_3 src1_sel:DWORD
                                        ; implicit-def: $vgpr5
; %bb.26146:                            ;   in Loop: Header=BB6_25823 Depth=3
	s_andn2_saveexec_b64 s[34:35], vcc
; %bb.26147:                            ;   in Loop: Header=BB6_25823 Depth=3
	v_cmp_lt_i32_e32 vcc, -1, v5
	v_mov_b32_e32 v0, 0x7c
	v_cndmask_b32_e32 v0, -4, v0, vcc
; %bb.26148:                            ;   in Loop: Header=BB6_25823 Depth=3
	s_or_b64 exec, exec, s[34:35]
.LBB6_26149:                            ;   in Loop: Header=BB6_25823 Depth=3
	s_or_b64 exec, exec, s[28:29]
	flat_load_sbyte v1, v[8:9] offset:640 glc slc
	v_mov_b32_e32 v2, 0
	s_waitcnt vmcnt(0) lgkmcnt(0)
	v_cmp_ne_u16_e32 vcc, 0, v1
	s_and_saveexec_b64 s[28:29], vcc
	s_cbranch_execz .LBB6_26157
; %bb.26150:                            ;   in Loop: Header=BB6_25823 Depth=3
	v_cmp_ne_u16_e32 vcc, s46, v1
	v_bfrev_b32_e32 v2, 1
	s_and_saveexec_b64 s[34:35], vcc
	s_cbranch_execz .LBB6_26156
; %bb.26151:                            ;   in Loop: Header=BB6_25823 Depth=3
	v_and_b32_e32 v2, 0x7c, v1
	v_and_b32_e32 v3, 3, v1
	v_cmp_ne_u32_e32 vcc, s86, v2
                                        ; implicit-def: $vgpr2
	s_and_saveexec_b64 s[62:63], vcc
	s_xor_b64 s[36:37], exec, s[62:63]
	s_cbranch_execz .LBB6_26153
; %bb.26152:                            ;   in Loop: Header=BB6_25823 Depth=3
	v_and_b32_e32 v5, 0xff, v1
	v_bfe_u32 v7, v5, 2, 5
	v_ffbh_u32_e32 v5, v3
	v_min_u32_e32 v14, 32, v5
	v_mov_b32_e32 v2, v33
	v_subrev_u32_e32 v5, 29, v14
	v_lshlrev_b64 v[5:6], v5, v[1:2]
	v_sub_u32_e32 v2, 30, v14
	v_cmp_eq_u32_e32 vcc, 0, v7
	v_and_b32_e32 v5, 3, v5
	v_cndmask_b32_e32 v2, v7, v2, vcc
	v_and_b32_sdwa v1, sext(v1), s87 dst_sel:DWORD dst_unused:UNUSED_PAD src0_sel:WORD_0 src1_sel:DWORD
	v_cndmask_b32_e32 v3, v3, v5, vcc
	v_lshl_add_u32 v1, v2, 23, v1
	v_lshl_or_b32 v1, v3, 21, v1
	v_add_u32_e32 v2, 0x38000000, v1
                                        ; implicit-def: $vgpr3
                                        ; implicit-def: $vgpr1
.LBB6_26153:                            ;   in Loop: Header=BB6_25823 Depth=3
	s_andn2_saveexec_b64 s[36:37], s[36:37]
; %bb.26154:                            ;   in Loop: Header=BB6_25823 Depth=3
	v_cmp_lt_i16_e32 vcc, -1, v1
	v_mov_b32_e32 v1, 0xff800000
	v_mov_b32_e32 v2, 0x7f800000
	v_cndmask_b32_e32 v1, v1, v2, vcc
	v_cmp_eq_u32_e32 vcc, 0, v3
	v_mov_b32_e32 v2, 0x7f800001
	v_cndmask_b32_e32 v2, v2, v1, vcc
; %bb.26155:                            ;   in Loop: Header=BB6_25823 Depth=3
	s_or_b64 exec, exec, s[36:37]
.LBB6_26156:                            ;   in Loop: Header=BB6_25823 Depth=3
	s_or_b64 exec, exec, s[34:35]
.LBB6_26157:                            ;   in Loop: Header=BB6_25823 Depth=3
	s_or_b64 exec, exec, s[28:29]
	v_mul_f32_e32 v3, v4, v2
	v_and_b32_e32 v5, 0x7f800000, v3
	v_mov_b32_e32 v6, v33
	v_cmp_ne_u64_e32 vcc, s[76:77], v[5:6]
	v_and_b32_e32 v1, 0x7fffff, v3
	v_mov_b32_e32 v2, v33
                                        ; implicit-def: $vgpr5
	buffer_store_dword v5, off, s[0:3], s33 offset:236 ; 4-byte Folded Spill
	s_nop 0
	buffer_store_dword v6, off, s[0:3], s33 offset:240 ; 4-byte Folded Spill
	s_and_saveexec_b64 s[28:29], vcc
	s_xor_b64 s[34:35], exec, s[28:29]
	s_cbranch_execz .LBB6_26175
; %bb.26158:                            ;   in Loop: Header=BB6_25823 Depth=3
	v_and_b32_e32 v5, 0x7fffffff, v3
	v_mov_b32_e32 v6, v33
	v_cmp_gt_u64_e32 vcc, s[78:79], v[5:6]
	v_and_b32_sdwa v5, v3, s97 dst_sel:DWORD dst_unused:UNUSED_PAD src0_sel:BYTE_3 src1_sel:DWORD
                                        ; implicit-def: $vgpr6
	buffer_store_dword v6, off, s[0:3], s33 offset:236 ; 4-byte Folded Spill
	s_nop 0
	buffer_store_dword v7, off, s[0:3], s33 offset:240 ; 4-byte Folded Spill
	s_and_saveexec_b64 s[28:29], vcc
	s_xor_b64 s[36:37], exec, s[28:29]
	s_cbranch_execz .LBB6_26172
; %bb.26159:                            ;   in Loop: Header=BB6_25823 Depth=3
	v_cmp_ne_u32_e32 vcc, 0, v3
	v_mov_b32_e32 v6, 0
	buffer_store_dword v6, off, s[0:3], s33 offset:236 ; 4-byte Folded Spill
	s_nop 0
	buffer_store_dword v7, off, s[0:3], s33 offset:240 ; 4-byte Folded Spill
	s_and_saveexec_b64 s[38:39], vcc
	s_cbranch_execz .LBB6_26171
; %bb.26160:                            ;   in Loop: Header=BB6_25823 Depth=3
	v_bfe_u32 v6, v3, 23, 8
	v_cmp_gt_u32_e64 s[28:29], s47, v6
	v_sub_u32_e32 v3, 0x71, v6
	v_cmp_eq_u32_e32 vcc, 0, v6
	v_cndmask_b32_e64 v3, 0, v3, s[28:29]
	v_mov_b32_e32 v7, 0x70
	v_cndmask_b32_e32 v7, v3, v7, vcc
	v_or_b32_e32 v14, 0x800000, v1
	v_add_u32_e32 v3, 21, v7
	v_cndmask_b32_e32 v1, v14, v1, vcc
	v_lshlrev_b64 v[14:15], v3, -1
	v_add_u32_e32 v3, 20, v7
	v_bfi_b32 v14, v14, 0, v1
	v_lshlrev_b64 v[17:18], v3, 1
	v_lshrrev_b64 v[1:2], v7, v[1:2]
	v_bfi_b32 v15, v15, 0, 0
	v_cmp_eq_u64_e64 s[28:29], v[14:15], v[17:18]
	v_mov_b32_e32 v3, v2
	v_mov_b32_e32 v2, v1
	s_and_saveexec_b64 s[48:49], s[28:29]
; %bb.26161:                            ;   in Loop: Header=BB6_25823 Depth=3
	v_bfe_u32 v2, v1, 21, 1
	v_add_co_u32_e64 v2, s[28:29], v1, v2
	v_add_co_u32_e64 v2, s[28:29], -1, v2
; %bb.26162:                            ;   in Loop: Header=BB6_25823 Depth=3
	s_or_b64 exec, exec, s[48:49]
	v_add_u32_e32 v3, 0xffffff81, v6
	v_mov_b32_e32 v6, 0xffffff82
	v_cndmask_b32_e32 v3, v3, v6, vcc
	v_lshrrev_b32_e32 v6, 23, v1
	v_add3_u32 v7, v7, v3, v6
	v_add_u32_e32 v6, 14, v7
	v_and_b32_e32 v2, 0x1fffff, v2
	v_add_u32_e32 v1, v2, v1
	v_mov_b32_e32 v2, v33
	v_cmp_ne_u32_e32 vcc, 0, v6
                                        ; implicit-def: $vgpr3
	s_and_saveexec_b64 s[28:29], vcc
	s_xor_b64 s[28:29], exec, s[28:29]
; %bb.26163:                            ;   in Loop: Header=BB6_25823 Depth=3
	v_cmp_lt_u64_e32 vcc, s[88:89], v[1:2]
	v_add_u32_e32 v3, 15, v7
	v_cndmask_b32_e32 v3, v6, v3, vcc
	v_cndmask_b32_e64 v6, 0, 1, vcc
	v_lshrrev_b64 v[1:2], v6, v[1:2]
; %bb.26164:                            ;   in Loop: Header=BB6_25823 Depth=3
	s_andn2_saveexec_b64 s[28:29], s[28:29]
; %bb.26165:                            ;   in Loop: Header=BB6_25823 Depth=3
	v_bfe_u32 v3, v1, 23, 1
; %bb.26166:                            ;   in Loop: Header=BB6_25823 Depth=3
	s_or_b64 exec, exec, s[28:29]
	v_lshrrev_b64 v[1:2], 21, v[1:2]
	v_cmp_gt_i32_e32 vcc, 32, v3
	v_cndmask_b32_e32 v2, 0, v2, vcc
	v_cndmask_b32_e32 v1, 3, v1, vcc
	v_cmp_ne_u64_e32 vcc, 0, v[1:2]
	v_cmp_ne_u32_e64 s[28:29], 0, v3
	s_or_b64 s[28:29], s[28:29], vcc
                                        ; implicit-def: $vgpr2
	buffer_store_dword v2, off, s[0:3], s33 offset:236 ; 4-byte Folded Spill
	s_nop 0
	buffer_store_dword v3, off, s[0:3], s33 offset:240 ; 4-byte Folded Spill
	s_and_saveexec_b64 s[62:63], s[28:29]
	s_xor_b64 s[28:29], exec, s[62:63]
	s_cbranch_execz .LBB6_26168
; %bb.26167:                            ;   in Loop: Header=BB6_25823 Depth=3
	v_min_i32_e32 v2, 31, v3
	v_lshl_or_b32 v2, v2, 2, v5
	v_and_or_b32 v1, v1, 3, v2
	buffer_store_dword v1, off, s[0:3], s33 offset:236 ; 4-byte Folded Spill
	s_nop 0
	buffer_store_dword v2, off, s[0:3], s33 offset:240 ; 4-byte Folded Spill
                                        ; implicit-def: $vgpr5
.LBB6_26168:                            ;   in Loop: Header=BB6_25823 Depth=3
	s_andn2_saveexec_b64 s[28:29], s[28:29]
	s_cbranch_execz .LBB6_26170
; %bb.26169:                            ;   in Loop: Header=BB6_25823 Depth=3
	v_mov_b32_e32 v1, v5
	buffer_store_dword v1, off, s[0:3], s33 offset:236 ; 4-byte Folded Spill
	s_nop 0
	buffer_store_dword v2, off, s[0:3], s33 offset:240 ; 4-byte Folded Spill
.LBB6_26170:                            ;   in Loop: Header=BB6_25823 Depth=3
	s_or_b64 exec, exec, s[28:29]
.LBB6_26171:                            ;   in Loop: Header=BB6_25823 Depth=3
	s_or_b64 exec, exec, s[38:39]
                                        ; implicit-def: $vgpr5
.LBB6_26172:                            ;   in Loop: Header=BB6_25823 Depth=3
	s_andn2_saveexec_b64 s[28:29], s[36:37]
	s_cbranch_execz .LBB6_26174
; %bb.26173:                            ;   in Loop: Header=BB6_25823 Depth=3
	v_or_b32_e32 v1, 0x7b, v5
	buffer_store_dword v1, off, s[0:3], s33 offset:236 ; 4-byte Folded Spill
	s_nop 0
	buffer_store_dword v2, off, s[0:3], s33 offset:240 ; 4-byte Folded Spill
.LBB6_26174:                            ;   in Loop: Header=BB6_25823 Depth=3
	s_or_b64 exec, exec, s[28:29]
                                        ; implicit-def: $vgpr3
                                        ; implicit-def: $vgpr1_vgpr2
.LBB6_26175:                            ;   in Loop: Header=BB6_25823 Depth=3
	s_andn2_saveexec_b64 s[28:29], s[34:35]
	s_cbranch_execz .LBB6_26181
; %bb.26176:                            ;   in Loop: Header=BB6_25823 Depth=3
	v_cmp_ne_u64_e32 vcc, 0, v[1:2]
                                        ; implicit-def: $vgpr1
	buffer_store_dword v1, off, s[0:3], s33 offset:236 ; 4-byte Folded Spill
	s_nop 0
	buffer_store_dword v2, off, s[0:3], s33 offset:240 ; 4-byte Folded Spill
	s_and_saveexec_b64 s[62:63], vcc
	s_xor_b64 vcc, exec, s[62:63]
	s_cbranch_execz .LBB6_26178
; %bb.26177:                            ;   in Loop: Header=BB6_25823 Depth=3
	v_or_b32_sdwa v1, v3, s44 dst_sel:DWORD dst_unused:UNUSED_PAD src0_sel:BYTE_3 src1_sel:DWORD
	buffer_store_dword v1, off, s[0:3], s33 offset:236 ; 4-byte Folded Spill
	s_nop 0
	buffer_store_dword v2, off, s[0:3], s33 offset:240 ; 4-byte Folded Spill
                                        ; implicit-def: $vgpr3
.LBB6_26178:                            ;   in Loop: Header=BB6_25823 Depth=3
	s_andn2_saveexec_b64 s[34:35], vcc
	s_cbranch_execz .LBB6_26180
; %bb.26179:                            ;   in Loop: Header=BB6_25823 Depth=3
	v_cmp_lt_i32_e32 vcc, -1, v3
	v_mov_b32_e32 v1, 0x7c
	v_cndmask_b32_e32 v1, -4, v1, vcc
	buffer_store_dword v1, off, s[0:3], s33 offset:236 ; 4-byte Folded Spill
	s_nop 0
	buffer_store_dword v2, off, s[0:3], s33 offset:240 ; 4-byte Folded Spill
.LBB6_26180:                            ;   in Loop: Header=BB6_25823 Depth=3
	s_or_b64 exec, exec, s[34:35]
.LBB6_26181:                            ;   in Loop: Header=BB6_25823 Depth=3
	s_or_b64 exec, exec, s[28:29]
	flat_load_sbyte v1, v[8:9] offset:704 glc slc
	v_mov_b32_e32 v2, 0
	s_waitcnt vmcnt(0) lgkmcnt(0)
	v_cmp_ne_u16_e32 vcc, 0, v1
	s_and_saveexec_b64 s[28:29], vcc
	s_cbranch_execz .LBB6_26189
; %bb.26182:                            ;   in Loop: Header=BB6_25823 Depth=3
	v_cmp_ne_u16_e32 vcc, s46, v1
	v_bfrev_b32_e32 v2, 1
	s_and_saveexec_b64 s[34:35], vcc
	s_cbranch_execz .LBB6_26188
; %bb.26183:                            ;   in Loop: Header=BB6_25823 Depth=3
	v_and_b32_e32 v2, 0x7c, v1
	v_and_b32_e32 v3, 3, v1
	v_cmp_ne_u32_e32 vcc, s86, v2
                                        ; implicit-def: $vgpr2
	s_and_saveexec_b64 s[62:63], vcc
	s_xor_b64 s[36:37], exec, s[62:63]
	s_cbranch_execz .LBB6_26185
; %bb.26184:                            ;   in Loop: Header=BB6_25823 Depth=3
	v_and_b32_e32 v5, 0xff, v1
	v_bfe_u32 v7, v5, 2, 5
	v_ffbh_u32_e32 v5, v3
	v_min_u32_e32 v14, 32, v5
	v_mov_b32_e32 v2, v33
	v_subrev_u32_e32 v5, 29, v14
	v_lshlrev_b64 v[5:6], v5, v[1:2]
	v_sub_u32_e32 v2, 30, v14
	v_cmp_eq_u32_e32 vcc, 0, v7
	v_and_b32_e32 v5, 3, v5
	v_cndmask_b32_e32 v2, v7, v2, vcc
	v_and_b32_sdwa v1, sext(v1), s87 dst_sel:DWORD dst_unused:UNUSED_PAD src0_sel:WORD_0 src1_sel:DWORD
	v_cndmask_b32_e32 v3, v3, v5, vcc
	v_lshl_add_u32 v1, v2, 23, v1
	v_lshl_or_b32 v1, v3, 21, v1
	v_add_u32_e32 v2, 0x38000000, v1
                                        ; implicit-def: $vgpr3
                                        ; implicit-def: $vgpr1
.LBB6_26185:                            ;   in Loop: Header=BB6_25823 Depth=3
	s_andn2_saveexec_b64 s[36:37], s[36:37]
; %bb.26186:                            ;   in Loop: Header=BB6_25823 Depth=3
	v_cmp_lt_i16_e32 vcc, -1, v1
	v_mov_b32_e32 v1, 0xff800000
	v_mov_b32_e32 v2, 0x7f800000
	v_cndmask_b32_e32 v1, v1, v2, vcc
	v_cmp_eq_u32_e32 vcc, 0, v3
	v_mov_b32_e32 v2, 0x7f800001
	v_cndmask_b32_e32 v2, v2, v1, vcc
; %bb.26187:                            ;   in Loop: Header=BB6_25823 Depth=3
	s_or_b64 exec, exec, s[36:37]
.LBB6_26188:                            ;   in Loop: Header=BB6_25823 Depth=3
	s_or_b64 exec, exec, s[34:35]
.LBB6_26189:                            ;   in Loop: Header=BB6_25823 Depth=3
	s_or_b64 exec, exec, s[28:29]
	v_mul_f32_e32 v3, v4, v2
	v_and_b32_e32 v5, 0x7f800000, v3
	v_mov_b32_e32 v6, v33
	v_cmp_ne_u64_e32 vcc, s[76:77], v[5:6]
	v_and_b32_e32 v1, 0x7fffff, v3
	v_mov_b32_e32 v2, v33
                                        ; implicit-def: $vgpr57
	s_and_saveexec_b64 s[28:29], vcc
	s_xor_b64 s[34:35], exec, s[28:29]
	s_cbranch_execz .LBB6_26207
; %bb.26190:                            ;   in Loop: Header=BB6_25823 Depth=3
	v_and_b32_e32 v5, 0x7fffffff, v3
	v_mov_b32_e32 v6, v33
	v_cmp_gt_u64_e32 vcc, s[78:79], v[5:6]
	v_and_b32_sdwa v5, v3, s97 dst_sel:DWORD dst_unused:UNUSED_PAD src0_sel:BYTE_3 src1_sel:DWORD
                                        ; implicit-def: $vgpr57
	s_and_saveexec_b64 s[28:29], vcc
	s_xor_b64 s[36:37], exec, s[28:29]
	s_cbranch_execz .LBB6_26204
; %bb.26191:                            ;   in Loop: Header=BB6_25823 Depth=3
	v_cmp_ne_u32_e32 vcc, 0, v3
	v_mov_b32_e32 v57, 0
	s_and_saveexec_b64 s[38:39], vcc
	s_cbranch_execz .LBB6_26203
; %bb.26192:                            ;   in Loop: Header=BB6_25823 Depth=3
	v_bfe_u32 v6, v3, 23, 8
	v_cmp_gt_u32_e64 s[28:29], s47, v6
	v_sub_u32_e32 v3, 0x71, v6
	v_cmp_eq_u32_e32 vcc, 0, v6
	v_cndmask_b32_e64 v3, 0, v3, s[28:29]
	v_mov_b32_e32 v7, 0x70
	v_cndmask_b32_e32 v7, v3, v7, vcc
	v_or_b32_e32 v14, 0x800000, v1
	v_add_u32_e32 v3, 21, v7
	v_cndmask_b32_e32 v1, v14, v1, vcc
	v_lshlrev_b64 v[14:15], v3, -1
	v_add_u32_e32 v3, 20, v7
	v_bfi_b32 v14, v14, 0, v1
	v_lshlrev_b64 v[17:18], v3, 1
	v_lshrrev_b64 v[1:2], v7, v[1:2]
	v_bfi_b32 v15, v15, 0, 0
	v_cmp_eq_u64_e64 s[28:29], v[14:15], v[17:18]
	v_mov_b32_e32 v3, v2
	v_mov_b32_e32 v2, v1
	s_and_saveexec_b64 s[48:49], s[28:29]
; %bb.26193:                            ;   in Loop: Header=BB6_25823 Depth=3
	v_bfe_u32 v2, v1, 21, 1
	v_add_co_u32_e64 v2, s[28:29], v1, v2
	v_add_co_u32_e64 v2, s[28:29], -1, v2
; %bb.26194:                            ;   in Loop: Header=BB6_25823 Depth=3
	s_or_b64 exec, exec, s[48:49]
	v_add_u32_e32 v3, 0xffffff81, v6
	v_mov_b32_e32 v6, 0xffffff82
	v_cndmask_b32_e32 v3, v3, v6, vcc
	v_lshrrev_b32_e32 v6, 23, v1
	v_add3_u32 v7, v7, v3, v6
	v_add_u32_e32 v6, 14, v7
	v_and_b32_e32 v2, 0x1fffff, v2
	v_add_u32_e32 v1, v2, v1
	v_mov_b32_e32 v2, v33
	v_cmp_ne_u32_e32 vcc, 0, v6
                                        ; implicit-def: $vgpr3
	s_and_saveexec_b64 s[28:29], vcc
	s_xor_b64 s[28:29], exec, s[28:29]
; %bb.26195:                            ;   in Loop: Header=BB6_25823 Depth=3
	v_cmp_lt_u64_e32 vcc, s[88:89], v[1:2]
	v_add_u32_e32 v3, 15, v7
	v_cndmask_b32_e32 v3, v6, v3, vcc
	v_cndmask_b32_e64 v6, 0, 1, vcc
	v_lshrrev_b64 v[1:2], v6, v[1:2]
; %bb.26196:                            ;   in Loop: Header=BB6_25823 Depth=3
	s_andn2_saveexec_b64 s[28:29], s[28:29]
; %bb.26197:                            ;   in Loop: Header=BB6_25823 Depth=3
	v_bfe_u32 v3, v1, 23, 1
; %bb.26198:                            ;   in Loop: Header=BB6_25823 Depth=3
	s_or_b64 exec, exec, s[28:29]
	v_lshrrev_b64 v[1:2], 21, v[1:2]
	v_cmp_gt_i32_e32 vcc, 32, v3
	v_cndmask_b32_e32 v2, 0, v2, vcc
	v_cndmask_b32_e32 v1, 3, v1, vcc
	v_cmp_ne_u64_e32 vcc, 0, v[1:2]
	v_cmp_ne_u32_e64 s[28:29], 0, v3
	s_or_b64 s[28:29], s[28:29], vcc
                                        ; implicit-def: $vgpr57
	s_and_saveexec_b64 s[62:63], s[28:29]
	s_xor_b64 s[28:29], exec, s[62:63]
; %bb.26199:                            ;   in Loop: Header=BB6_25823 Depth=3
	v_min_i32_e32 v2, 31, v3
	v_lshl_or_b32 v2, v2, 2, v5
	v_and_or_b32 v57, v1, 3, v2
                                        ; implicit-def: $vgpr5
; %bb.26200:                            ;   in Loop: Header=BB6_25823 Depth=3
	s_andn2_saveexec_b64 s[28:29], s[28:29]
; %bb.26201:                            ;   in Loop: Header=BB6_25823 Depth=3
	v_mov_b32_e32 v57, v5
; %bb.26202:                            ;   in Loop: Header=BB6_25823 Depth=3
	s_or_b64 exec, exec, s[28:29]
.LBB6_26203:                            ;   in Loop: Header=BB6_25823 Depth=3
	s_or_b64 exec, exec, s[38:39]
                                        ; implicit-def: $vgpr5
.LBB6_26204:                            ;   in Loop: Header=BB6_25823 Depth=3
	s_andn2_saveexec_b64 s[28:29], s[36:37]
; %bb.26205:                            ;   in Loop: Header=BB6_25823 Depth=3
	v_or_b32_e32 v57, 0x7b, v5
; %bb.26206:                            ;   in Loop: Header=BB6_25823 Depth=3
	s_or_b64 exec, exec, s[28:29]
                                        ; implicit-def: $vgpr3
                                        ; implicit-def: $vgpr1_vgpr2
.LBB6_26207:                            ;   in Loop: Header=BB6_25823 Depth=3
	s_andn2_saveexec_b64 s[28:29], s[34:35]
	s_cbranch_execz .LBB6_26213
; %bb.26208:                            ;   in Loop: Header=BB6_25823 Depth=3
	v_cmp_ne_u64_e32 vcc, 0, v[1:2]
                                        ; implicit-def: $vgpr57
	s_and_saveexec_b64 s[62:63], vcc
	s_xor_b64 vcc, exec, s[62:63]
; %bb.26209:                            ;   in Loop: Header=BB6_25823 Depth=3
	v_or_b32_sdwa v57, v3, s44 dst_sel:DWORD dst_unused:UNUSED_PAD src0_sel:BYTE_3 src1_sel:DWORD
                                        ; implicit-def: $vgpr3
; %bb.26210:                            ;   in Loop: Header=BB6_25823 Depth=3
	s_andn2_saveexec_b64 s[34:35], vcc
; %bb.26211:                            ;   in Loop: Header=BB6_25823 Depth=3
	v_cmp_lt_i32_e32 vcc, -1, v3
	v_mov_b32_e32 v1, 0x7c
	v_cndmask_b32_e32 v57, -4, v1, vcc
; %bb.26212:                            ;   in Loop: Header=BB6_25823 Depth=3
	s_or_b64 exec, exec, s[34:35]
.LBB6_26213:                            ;   in Loop: Header=BB6_25823 Depth=3
	s_or_b64 exec, exec, s[28:29]
	flat_load_sbyte v1, v[8:9] offset:768 glc slc
	v_mov_b32_e32 v2, 0
	s_waitcnt vmcnt(0) lgkmcnt(0)
	v_cmp_ne_u16_e32 vcc, 0, v1
	s_and_saveexec_b64 s[28:29], vcc
	s_cbranch_execz .LBB6_26221
; %bb.26214:                            ;   in Loop: Header=BB6_25823 Depth=3
	v_cmp_ne_u16_e32 vcc, s46, v1
	v_bfrev_b32_e32 v2, 1
	s_and_saveexec_b64 s[34:35], vcc
	s_cbranch_execz .LBB6_26220
; %bb.26215:                            ;   in Loop: Header=BB6_25823 Depth=3
	v_and_b32_e32 v2, 0x7c, v1
	v_and_b32_e32 v3, 3, v1
	v_cmp_ne_u32_e32 vcc, s86, v2
                                        ; implicit-def: $vgpr2
	s_and_saveexec_b64 s[62:63], vcc
	s_xor_b64 s[36:37], exec, s[62:63]
	s_cbranch_execz .LBB6_26217
; %bb.26216:                            ;   in Loop: Header=BB6_25823 Depth=3
	v_and_b32_e32 v5, 0xff, v1
	v_bfe_u32 v7, v5, 2, 5
	v_ffbh_u32_e32 v5, v3
	v_min_u32_e32 v14, 32, v5
	v_mov_b32_e32 v2, v33
	v_subrev_u32_e32 v5, 29, v14
	v_lshlrev_b64 v[5:6], v5, v[1:2]
	v_sub_u32_e32 v2, 30, v14
	v_cmp_eq_u32_e32 vcc, 0, v7
	v_and_b32_e32 v5, 3, v5
	v_cndmask_b32_e32 v2, v7, v2, vcc
	v_and_b32_sdwa v1, sext(v1), s87 dst_sel:DWORD dst_unused:UNUSED_PAD src0_sel:WORD_0 src1_sel:DWORD
	v_cndmask_b32_e32 v3, v3, v5, vcc
	v_lshl_add_u32 v1, v2, 23, v1
	v_lshl_or_b32 v1, v3, 21, v1
	v_add_u32_e32 v2, 0x38000000, v1
                                        ; implicit-def: $vgpr3
                                        ; implicit-def: $vgpr1
.LBB6_26217:                            ;   in Loop: Header=BB6_25823 Depth=3
	s_andn2_saveexec_b64 s[36:37], s[36:37]
; %bb.26218:                            ;   in Loop: Header=BB6_25823 Depth=3
	v_cmp_lt_i16_e32 vcc, -1, v1
	v_mov_b32_e32 v1, 0xff800000
	v_mov_b32_e32 v2, 0x7f800000
	v_cndmask_b32_e32 v1, v1, v2, vcc
	v_cmp_eq_u32_e32 vcc, 0, v3
	v_mov_b32_e32 v2, 0x7f800001
	v_cndmask_b32_e32 v2, v2, v1, vcc
; %bb.26219:                            ;   in Loop: Header=BB6_25823 Depth=3
	s_or_b64 exec, exec, s[36:37]
.LBB6_26220:                            ;   in Loop: Header=BB6_25823 Depth=3
	s_or_b64 exec, exec, s[34:35]
.LBB6_26221:                            ;   in Loop: Header=BB6_25823 Depth=3
	s_or_b64 exec, exec, s[28:29]
	v_mul_f32_e32 v3, v4, v2
	v_and_b32_e32 v5, 0x7f800000, v3
	v_mov_b32_e32 v6, v33
	v_cmp_ne_u64_e32 vcc, s[76:77], v[5:6]
	v_and_b32_e32 v1, 0x7fffff, v3
	v_mov_b32_e32 v2, v33
                                        ; implicit-def: $vgpr46
	s_and_saveexec_b64 s[28:29], vcc
	s_xor_b64 s[34:35], exec, s[28:29]
	s_cbranch_execz .LBB6_26239
; %bb.26222:                            ;   in Loop: Header=BB6_25823 Depth=3
	v_and_b32_e32 v5, 0x7fffffff, v3
	v_mov_b32_e32 v6, v33
	v_cmp_gt_u64_e32 vcc, s[78:79], v[5:6]
	v_and_b32_sdwa v5, v3, s97 dst_sel:DWORD dst_unused:UNUSED_PAD src0_sel:BYTE_3 src1_sel:DWORD
                                        ; implicit-def: $vgpr46
	s_and_saveexec_b64 s[28:29], vcc
	s_xor_b64 s[36:37], exec, s[28:29]
	s_cbranch_execz .LBB6_26236
; %bb.26223:                            ;   in Loop: Header=BB6_25823 Depth=3
	v_cmp_ne_u32_e32 vcc, 0, v3
	v_mov_b32_e32 v46, 0
	s_and_saveexec_b64 s[38:39], vcc
	s_cbranch_execz .LBB6_26235
; %bb.26224:                            ;   in Loop: Header=BB6_25823 Depth=3
	v_bfe_u32 v6, v3, 23, 8
	v_cmp_gt_u32_e64 s[28:29], s47, v6
	v_sub_u32_e32 v3, 0x71, v6
	v_cmp_eq_u32_e32 vcc, 0, v6
	v_cndmask_b32_e64 v3, 0, v3, s[28:29]
	v_mov_b32_e32 v7, 0x70
	v_cndmask_b32_e32 v7, v3, v7, vcc
	v_or_b32_e32 v14, 0x800000, v1
	v_add_u32_e32 v3, 21, v7
	v_cndmask_b32_e32 v1, v14, v1, vcc
	v_lshlrev_b64 v[14:15], v3, -1
	v_add_u32_e32 v3, 20, v7
	v_bfi_b32 v14, v14, 0, v1
	v_lshlrev_b64 v[17:18], v3, 1
	v_lshrrev_b64 v[1:2], v7, v[1:2]
	v_bfi_b32 v15, v15, 0, 0
	v_cmp_eq_u64_e64 s[28:29], v[14:15], v[17:18]
	v_mov_b32_e32 v3, v2
	v_mov_b32_e32 v2, v1
	s_and_saveexec_b64 s[48:49], s[28:29]
; %bb.26225:                            ;   in Loop: Header=BB6_25823 Depth=3
	v_bfe_u32 v2, v1, 21, 1
	v_add_co_u32_e64 v2, s[28:29], v1, v2
	v_add_co_u32_e64 v2, s[28:29], -1, v2
; %bb.26226:                            ;   in Loop: Header=BB6_25823 Depth=3
	s_or_b64 exec, exec, s[48:49]
	v_add_u32_e32 v3, 0xffffff81, v6
	v_mov_b32_e32 v6, 0xffffff82
	v_cndmask_b32_e32 v3, v3, v6, vcc
	v_lshrrev_b32_e32 v6, 23, v1
	v_add3_u32 v7, v7, v3, v6
	v_add_u32_e32 v6, 14, v7
	v_and_b32_e32 v2, 0x1fffff, v2
	v_add_u32_e32 v1, v2, v1
	v_mov_b32_e32 v2, v33
	v_cmp_ne_u32_e32 vcc, 0, v6
                                        ; implicit-def: $vgpr3
	s_and_saveexec_b64 s[28:29], vcc
	s_xor_b64 s[28:29], exec, s[28:29]
; %bb.26227:                            ;   in Loop: Header=BB6_25823 Depth=3
	v_cmp_lt_u64_e32 vcc, s[88:89], v[1:2]
	v_add_u32_e32 v3, 15, v7
	v_cndmask_b32_e32 v3, v6, v3, vcc
	v_cndmask_b32_e64 v6, 0, 1, vcc
	v_lshrrev_b64 v[1:2], v6, v[1:2]
; %bb.26228:                            ;   in Loop: Header=BB6_25823 Depth=3
	s_andn2_saveexec_b64 s[28:29], s[28:29]
; %bb.26229:                            ;   in Loop: Header=BB6_25823 Depth=3
	v_bfe_u32 v3, v1, 23, 1
; %bb.26230:                            ;   in Loop: Header=BB6_25823 Depth=3
	s_or_b64 exec, exec, s[28:29]
	v_lshrrev_b64 v[1:2], 21, v[1:2]
	v_cmp_gt_i32_e32 vcc, 32, v3
	v_cndmask_b32_e32 v2, 0, v2, vcc
	v_cndmask_b32_e32 v1, 3, v1, vcc
	v_cmp_ne_u64_e32 vcc, 0, v[1:2]
	v_cmp_ne_u32_e64 s[28:29], 0, v3
	s_or_b64 s[28:29], s[28:29], vcc
                                        ; implicit-def: $vgpr46
	s_and_saveexec_b64 s[62:63], s[28:29]
	s_xor_b64 s[28:29], exec, s[62:63]
; %bb.26231:                            ;   in Loop: Header=BB6_25823 Depth=3
	v_min_i32_e32 v2, 31, v3
	v_lshl_or_b32 v2, v2, 2, v5
	v_and_or_b32 v46, v1, 3, v2
                                        ; implicit-def: $vgpr5
; %bb.26232:                            ;   in Loop: Header=BB6_25823 Depth=3
	s_andn2_saveexec_b64 s[28:29], s[28:29]
; %bb.26233:                            ;   in Loop: Header=BB6_25823 Depth=3
	v_mov_b32_e32 v46, v5
; %bb.26234:                            ;   in Loop: Header=BB6_25823 Depth=3
	s_or_b64 exec, exec, s[28:29]
.LBB6_26235:                            ;   in Loop: Header=BB6_25823 Depth=3
	s_or_b64 exec, exec, s[38:39]
                                        ; implicit-def: $vgpr5
.LBB6_26236:                            ;   in Loop: Header=BB6_25823 Depth=3
	s_andn2_saveexec_b64 s[28:29], s[36:37]
; %bb.26237:                            ;   in Loop: Header=BB6_25823 Depth=3
	v_or_b32_e32 v46, 0x7b, v5
; %bb.26238:                            ;   in Loop: Header=BB6_25823 Depth=3
	s_or_b64 exec, exec, s[28:29]
                                        ; implicit-def: $vgpr3
                                        ; implicit-def: $vgpr1_vgpr2
.LBB6_26239:                            ;   in Loop: Header=BB6_25823 Depth=3
	s_andn2_saveexec_b64 s[28:29], s[34:35]
	s_cbranch_execz .LBB6_26245
; %bb.26240:                            ;   in Loop: Header=BB6_25823 Depth=3
	v_cmp_ne_u64_e32 vcc, 0, v[1:2]
                                        ; implicit-def: $vgpr46
	s_and_saveexec_b64 s[62:63], vcc
	s_xor_b64 vcc, exec, s[62:63]
; %bb.26241:                            ;   in Loop: Header=BB6_25823 Depth=3
	v_or_b32_sdwa v46, v3, s44 dst_sel:DWORD dst_unused:UNUSED_PAD src0_sel:BYTE_3 src1_sel:DWORD
                                        ; implicit-def: $vgpr3
; %bb.26242:                            ;   in Loop: Header=BB6_25823 Depth=3
	s_andn2_saveexec_b64 s[34:35], vcc
; %bb.26243:                            ;   in Loop: Header=BB6_25823 Depth=3
	v_cmp_lt_i32_e32 vcc, -1, v3
	v_mov_b32_e32 v1, 0x7c
	v_cndmask_b32_e32 v46, -4, v1, vcc
; %bb.26244:                            ;   in Loop: Header=BB6_25823 Depth=3
	s_or_b64 exec, exec, s[34:35]
.LBB6_26245:                            ;   in Loop: Header=BB6_25823 Depth=3
	s_or_b64 exec, exec, s[28:29]
	flat_load_sbyte v1, v[8:9] offset:832 glc slc
	v_mov_b32_e32 v2, 0
	s_waitcnt vmcnt(0) lgkmcnt(0)
	v_cmp_ne_u16_e32 vcc, 0, v1
	s_and_saveexec_b64 s[28:29], vcc
	s_cbranch_execz .LBB6_26253
; %bb.26246:                            ;   in Loop: Header=BB6_25823 Depth=3
	v_cmp_ne_u16_e32 vcc, s46, v1
	v_bfrev_b32_e32 v2, 1
	s_and_saveexec_b64 s[34:35], vcc
	s_cbranch_execz .LBB6_26252
; %bb.26247:                            ;   in Loop: Header=BB6_25823 Depth=3
	v_and_b32_e32 v2, 0x7c, v1
	v_and_b32_e32 v3, 3, v1
	v_cmp_ne_u32_e32 vcc, s86, v2
                                        ; implicit-def: $vgpr2
	s_and_saveexec_b64 s[62:63], vcc
	s_xor_b64 s[36:37], exec, s[62:63]
	s_cbranch_execz .LBB6_26249
; %bb.26248:                            ;   in Loop: Header=BB6_25823 Depth=3
	v_and_b32_e32 v5, 0xff, v1
	v_bfe_u32 v7, v5, 2, 5
	v_ffbh_u32_e32 v5, v3
	v_min_u32_e32 v14, 32, v5
	v_mov_b32_e32 v2, v33
	v_subrev_u32_e32 v5, 29, v14
	v_lshlrev_b64 v[5:6], v5, v[1:2]
	v_sub_u32_e32 v2, 30, v14
	v_cmp_eq_u32_e32 vcc, 0, v7
	v_and_b32_e32 v5, 3, v5
	v_cndmask_b32_e32 v2, v7, v2, vcc
	v_and_b32_sdwa v1, sext(v1), s87 dst_sel:DWORD dst_unused:UNUSED_PAD src0_sel:WORD_0 src1_sel:DWORD
	v_cndmask_b32_e32 v3, v3, v5, vcc
	v_lshl_add_u32 v1, v2, 23, v1
	v_lshl_or_b32 v1, v3, 21, v1
	v_add_u32_e32 v2, 0x38000000, v1
                                        ; implicit-def: $vgpr3
                                        ; implicit-def: $vgpr1
.LBB6_26249:                            ;   in Loop: Header=BB6_25823 Depth=3
	s_andn2_saveexec_b64 s[36:37], s[36:37]
; %bb.26250:                            ;   in Loop: Header=BB6_25823 Depth=3
	v_cmp_lt_i16_e32 vcc, -1, v1
	v_mov_b32_e32 v1, 0xff800000
	v_mov_b32_e32 v2, 0x7f800000
	v_cndmask_b32_e32 v1, v1, v2, vcc
	v_cmp_eq_u32_e32 vcc, 0, v3
	v_mov_b32_e32 v2, 0x7f800001
	v_cndmask_b32_e32 v2, v2, v1, vcc
; %bb.26251:                            ;   in Loop: Header=BB6_25823 Depth=3
	s_or_b64 exec, exec, s[36:37]
.LBB6_26252:                            ;   in Loop: Header=BB6_25823 Depth=3
	s_or_b64 exec, exec, s[34:35]
.LBB6_26253:                            ;   in Loop: Header=BB6_25823 Depth=3
	s_or_b64 exec, exec, s[28:29]
	v_mul_f32_e32 v3, v4, v2
	v_and_b32_e32 v5, 0x7f800000, v3
	v_mov_b32_e32 v6, v33
	v_cmp_ne_u64_e32 vcc, s[76:77], v[5:6]
	v_and_b32_e32 v1, 0x7fffff, v3
	v_mov_b32_e32 v2, v33
                                        ; implicit-def: $vgpr5
	buffer_store_dword v5, off, s[0:3], s33 offset:228 ; 4-byte Folded Spill
	s_nop 0
	buffer_store_dword v6, off, s[0:3], s33 offset:232 ; 4-byte Folded Spill
	s_and_saveexec_b64 s[28:29], vcc
	s_xor_b64 s[34:35], exec, s[28:29]
	s_cbranch_execz .LBB6_26271
; %bb.26254:                            ;   in Loop: Header=BB6_25823 Depth=3
	v_and_b32_e32 v5, 0x7fffffff, v3
	v_mov_b32_e32 v6, v33
	v_cmp_gt_u64_e32 vcc, s[78:79], v[5:6]
	v_and_b32_sdwa v5, v3, s97 dst_sel:DWORD dst_unused:UNUSED_PAD src0_sel:BYTE_3 src1_sel:DWORD
                                        ; implicit-def: $vgpr6
	buffer_store_dword v6, off, s[0:3], s33 offset:228 ; 4-byte Folded Spill
	s_nop 0
	buffer_store_dword v7, off, s[0:3], s33 offset:232 ; 4-byte Folded Spill
	s_and_saveexec_b64 s[28:29], vcc
	s_xor_b64 s[36:37], exec, s[28:29]
	s_cbranch_execz .LBB6_26268
; %bb.26255:                            ;   in Loop: Header=BB6_25823 Depth=3
	v_cmp_ne_u32_e32 vcc, 0, v3
	v_mov_b32_e32 v6, 0
	buffer_store_dword v6, off, s[0:3], s33 offset:228 ; 4-byte Folded Spill
	s_nop 0
	buffer_store_dword v7, off, s[0:3], s33 offset:232 ; 4-byte Folded Spill
	s_and_saveexec_b64 s[38:39], vcc
	s_cbranch_execz .LBB6_26267
; %bb.26256:                            ;   in Loop: Header=BB6_25823 Depth=3
	v_bfe_u32 v6, v3, 23, 8
	v_cmp_gt_u32_e64 s[28:29], s47, v6
	v_sub_u32_e32 v3, 0x71, v6
	v_cmp_eq_u32_e32 vcc, 0, v6
	v_cndmask_b32_e64 v3, 0, v3, s[28:29]
	v_mov_b32_e32 v7, 0x70
	v_cndmask_b32_e32 v7, v3, v7, vcc
	v_or_b32_e32 v14, 0x800000, v1
	v_add_u32_e32 v3, 21, v7
	v_cndmask_b32_e32 v1, v14, v1, vcc
	v_lshlrev_b64 v[14:15], v3, -1
	v_add_u32_e32 v3, 20, v7
	v_bfi_b32 v14, v14, 0, v1
	v_lshlrev_b64 v[17:18], v3, 1
	v_lshrrev_b64 v[1:2], v7, v[1:2]
	v_bfi_b32 v15, v15, 0, 0
	v_cmp_eq_u64_e64 s[28:29], v[14:15], v[17:18]
	v_mov_b32_e32 v3, v2
	v_mov_b32_e32 v2, v1
	s_and_saveexec_b64 s[48:49], s[28:29]
; %bb.26257:                            ;   in Loop: Header=BB6_25823 Depth=3
	v_bfe_u32 v2, v1, 21, 1
	v_add_co_u32_e64 v2, s[28:29], v1, v2
	v_add_co_u32_e64 v2, s[28:29], -1, v2
; %bb.26258:                            ;   in Loop: Header=BB6_25823 Depth=3
	s_or_b64 exec, exec, s[48:49]
	v_add_u32_e32 v3, 0xffffff81, v6
	v_mov_b32_e32 v6, 0xffffff82
	v_cndmask_b32_e32 v3, v3, v6, vcc
	v_lshrrev_b32_e32 v6, 23, v1
	v_add3_u32 v7, v7, v3, v6
	v_add_u32_e32 v6, 14, v7
	v_and_b32_e32 v2, 0x1fffff, v2
	v_add_u32_e32 v1, v2, v1
	v_mov_b32_e32 v2, v33
	v_cmp_ne_u32_e32 vcc, 0, v6
                                        ; implicit-def: $vgpr3
	s_and_saveexec_b64 s[28:29], vcc
	s_xor_b64 s[28:29], exec, s[28:29]
; %bb.26259:                            ;   in Loop: Header=BB6_25823 Depth=3
	v_cmp_lt_u64_e32 vcc, s[88:89], v[1:2]
	v_add_u32_e32 v3, 15, v7
	v_cndmask_b32_e32 v3, v6, v3, vcc
	v_cndmask_b32_e64 v6, 0, 1, vcc
	v_lshrrev_b64 v[1:2], v6, v[1:2]
; %bb.26260:                            ;   in Loop: Header=BB6_25823 Depth=3
	s_andn2_saveexec_b64 s[28:29], s[28:29]
; %bb.26261:                            ;   in Loop: Header=BB6_25823 Depth=3
	v_bfe_u32 v3, v1, 23, 1
; %bb.26262:                            ;   in Loop: Header=BB6_25823 Depth=3
	s_or_b64 exec, exec, s[28:29]
	v_lshrrev_b64 v[1:2], 21, v[1:2]
	v_cmp_gt_i32_e32 vcc, 32, v3
	v_cndmask_b32_e32 v2, 0, v2, vcc
	v_cndmask_b32_e32 v1, 3, v1, vcc
	v_cmp_ne_u64_e32 vcc, 0, v[1:2]
	v_cmp_ne_u32_e64 s[28:29], 0, v3
	s_or_b64 s[28:29], s[28:29], vcc
                                        ; implicit-def: $vgpr2
	buffer_store_dword v2, off, s[0:3], s33 offset:228 ; 4-byte Folded Spill
	s_nop 0
	buffer_store_dword v3, off, s[0:3], s33 offset:232 ; 4-byte Folded Spill
	s_and_saveexec_b64 s[62:63], s[28:29]
	s_xor_b64 s[28:29], exec, s[62:63]
	s_cbranch_execz .LBB6_26264
; %bb.26263:                            ;   in Loop: Header=BB6_25823 Depth=3
	v_min_i32_e32 v2, 31, v3
	v_lshl_or_b32 v2, v2, 2, v5
	v_and_or_b32 v1, v1, 3, v2
	buffer_store_dword v1, off, s[0:3], s33 offset:228 ; 4-byte Folded Spill
	s_nop 0
	buffer_store_dword v2, off, s[0:3], s33 offset:232 ; 4-byte Folded Spill
                                        ; implicit-def: $vgpr5
.LBB6_26264:                            ;   in Loop: Header=BB6_25823 Depth=3
	s_andn2_saveexec_b64 s[28:29], s[28:29]
	s_cbranch_execz .LBB6_26266
; %bb.26265:                            ;   in Loop: Header=BB6_25823 Depth=3
	v_mov_b32_e32 v1, v5
	buffer_store_dword v1, off, s[0:3], s33 offset:228 ; 4-byte Folded Spill
	s_nop 0
	buffer_store_dword v2, off, s[0:3], s33 offset:232 ; 4-byte Folded Spill
.LBB6_26266:                            ;   in Loop: Header=BB6_25823 Depth=3
	s_or_b64 exec, exec, s[28:29]
.LBB6_26267:                            ;   in Loop: Header=BB6_25823 Depth=3
	s_or_b64 exec, exec, s[38:39]
                                        ; implicit-def: $vgpr5
.LBB6_26268:                            ;   in Loop: Header=BB6_25823 Depth=3
	s_andn2_saveexec_b64 s[28:29], s[36:37]
	s_cbranch_execz .LBB6_26270
; %bb.26269:                            ;   in Loop: Header=BB6_25823 Depth=3
	v_or_b32_e32 v1, 0x7b, v5
	buffer_store_dword v1, off, s[0:3], s33 offset:228 ; 4-byte Folded Spill
	s_nop 0
	buffer_store_dword v2, off, s[0:3], s33 offset:232 ; 4-byte Folded Spill
.LBB6_26270:                            ;   in Loop: Header=BB6_25823 Depth=3
	s_or_b64 exec, exec, s[28:29]
                                        ; implicit-def: $vgpr3
                                        ; implicit-def: $vgpr1_vgpr2
.LBB6_26271:                            ;   in Loop: Header=BB6_25823 Depth=3
	s_andn2_saveexec_b64 s[28:29], s[34:35]
	s_cbranch_execz .LBB6_26277
; %bb.26272:                            ;   in Loop: Header=BB6_25823 Depth=3
	v_cmp_ne_u64_e32 vcc, 0, v[1:2]
                                        ; implicit-def: $vgpr1
	buffer_store_dword v1, off, s[0:3], s33 offset:228 ; 4-byte Folded Spill
	s_nop 0
	buffer_store_dword v2, off, s[0:3], s33 offset:232 ; 4-byte Folded Spill
	s_and_saveexec_b64 s[62:63], vcc
	s_xor_b64 vcc, exec, s[62:63]
	s_cbranch_execz .LBB6_26274
; %bb.26273:                            ;   in Loop: Header=BB6_25823 Depth=3
	v_or_b32_sdwa v1, v3, s44 dst_sel:DWORD dst_unused:UNUSED_PAD src0_sel:BYTE_3 src1_sel:DWORD
	buffer_store_dword v1, off, s[0:3], s33 offset:228 ; 4-byte Folded Spill
	s_nop 0
	buffer_store_dword v2, off, s[0:3], s33 offset:232 ; 4-byte Folded Spill
                                        ; implicit-def: $vgpr3
.LBB6_26274:                            ;   in Loop: Header=BB6_25823 Depth=3
	s_andn2_saveexec_b64 s[34:35], vcc
	s_cbranch_execz .LBB6_26276
; %bb.26275:                            ;   in Loop: Header=BB6_25823 Depth=3
	v_cmp_lt_i32_e32 vcc, -1, v3
	v_mov_b32_e32 v1, 0x7c
	v_cndmask_b32_e32 v1, -4, v1, vcc
	buffer_store_dword v1, off, s[0:3], s33 offset:228 ; 4-byte Folded Spill
	s_nop 0
	buffer_store_dword v2, off, s[0:3], s33 offset:232 ; 4-byte Folded Spill
.LBB6_26276:                            ;   in Loop: Header=BB6_25823 Depth=3
	s_or_b64 exec, exec, s[34:35]
.LBB6_26277:                            ;   in Loop: Header=BB6_25823 Depth=3
	s_or_b64 exec, exec, s[28:29]
	flat_load_sbyte v1, v[8:9] offset:896 glc slc
	v_mov_b32_e32 v2, 0
	s_waitcnt vmcnt(0) lgkmcnt(0)
	v_cmp_ne_u16_e32 vcc, 0, v1
	s_and_saveexec_b64 s[28:29], vcc
	s_cbranch_execz .LBB6_26285
; %bb.26278:                            ;   in Loop: Header=BB6_25823 Depth=3
	v_cmp_ne_u16_e32 vcc, s46, v1
	v_bfrev_b32_e32 v2, 1
	s_and_saveexec_b64 s[34:35], vcc
	s_cbranch_execz .LBB6_26284
; %bb.26279:                            ;   in Loop: Header=BB6_25823 Depth=3
	v_and_b32_e32 v2, 0x7c, v1
	v_and_b32_e32 v3, 3, v1
	v_cmp_ne_u32_e32 vcc, s86, v2
                                        ; implicit-def: $vgpr2
	s_and_saveexec_b64 s[62:63], vcc
	s_xor_b64 s[36:37], exec, s[62:63]
	s_cbranch_execz .LBB6_26281
; %bb.26280:                            ;   in Loop: Header=BB6_25823 Depth=3
	v_and_b32_e32 v5, 0xff, v1
	v_bfe_u32 v7, v5, 2, 5
	v_ffbh_u32_e32 v5, v3
	v_min_u32_e32 v14, 32, v5
	v_mov_b32_e32 v2, v33
	v_subrev_u32_e32 v5, 29, v14
	v_lshlrev_b64 v[5:6], v5, v[1:2]
	v_sub_u32_e32 v2, 30, v14
	v_cmp_eq_u32_e32 vcc, 0, v7
	v_and_b32_e32 v5, 3, v5
	v_cndmask_b32_e32 v2, v7, v2, vcc
	v_and_b32_sdwa v1, sext(v1), s87 dst_sel:DWORD dst_unused:UNUSED_PAD src0_sel:WORD_0 src1_sel:DWORD
	v_cndmask_b32_e32 v3, v3, v5, vcc
	v_lshl_add_u32 v1, v2, 23, v1
	v_lshl_or_b32 v1, v3, 21, v1
	v_add_u32_e32 v2, 0x38000000, v1
                                        ; implicit-def: $vgpr3
                                        ; implicit-def: $vgpr1
.LBB6_26281:                            ;   in Loop: Header=BB6_25823 Depth=3
	s_andn2_saveexec_b64 s[36:37], s[36:37]
; %bb.26282:                            ;   in Loop: Header=BB6_25823 Depth=3
	v_cmp_lt_i16_e32 vcc, -1, v1
	v_mov_b32_e32 v1, 0xff800000
	v_mov_b32_e32 v2, 0x7f800000
	v_cndmask_b32_e32 v1, v1, v2, vcc
	v_cmp_eq_u32_e32 vcc, 0, v3
	v_mov_b32_e32 v2, 0x7f800001
	v_cndmask_b32_e32 v2, v2, v1, vcc
; %bb.26283:                            ;   in Loop: Header=BB6_25823 Depth=3
	s_or_b64 exec, exec, s[36:37]
.LBB6_26284:                            ;   in Loop: Header=BB6_25823 Depth=3
	s_or_b64 exec, exec, s[34:35]
.LBB6_26285:                            ;   in Loop: Header=BB6_25823 Depth=3
	s_or_b64 exec, exec, s[28:29]
	v_mul_f32_e32 v3, v4, v2
	v_and_b32_e32 v5, 0x7f800000, v3
	v_mov_b32_e32 v6, v33
	v_cmp_ne_u64_e32 vcc, s[76:77], v[5:6]
	v_and_b32_e32 v1, 0x7fffff, v3
	v_mov_b32_e32 v2, v33
                                        ; implicit-def: $vgpr5
	buffer_store_dword v5, off, s[0:3], s33 offset:220 ; 4-byte Folded Spill
	s_nop 0
	buffer_store_dword v6, off, s[0:3], s33 offset:224 ; 4-byte Folded Spill
	s_and_saveexec_b64 s[28:29], vcc
	s_xor_b64 s[34:35], exec, s[28:29]
	s_cbranch_execz .LBB6_26303
; %bb.26286:                            ;   in Loop: Header=BB6_25823 Depth=3
	v_and_b32_e32 v5, 0x7fffffff, v3
	v_mov_b32_e32 v6, v33
	v_cmp_gt_u64_e32 vcc, s[78:79], v[5:6]
	v_and_b32_sdwa v5, v3, s97 dst_sel:DWORD dst_unused:UNUSED_PAD src0_sel:BYTE_3 src1_sel:DWORD
                                        ; implicit-def: $vgpr6
	buffer_store_dword v6, off, s[0:3], s33 offset:220 ; 4-byte Folded Spill
	s_nop 0
	buffer_store_dword v7, off, s[0:3], s33 offset:224 ; 4-byte Folded Spill
	s_and_saveexec_b64 s[28:29], vcc
	s_xor_b64 s[36:37], exec, s[28:29]
	s_cbranch_execz .LBB6_26300
; %bb.26287:                            ;   in Loop: Header=BB6_25823 Depth=3
	v_cmp_ne_u32_e32 vcc, 0, v3
	v_mov_b32_e32 v6, 0
	buffer_store_dword v6, off, s[0:3], s33 offset:220 ; 4-byte Folded Spill
	s_nop 0
	buffer_store_dword v7, off, s[0:3], s33 offset:224 ; 4-byte Folded Spill
	s_and_saveexec_b64 s[38:39], vcc
	s_cbranch_execz .LBB6_26299
; %bb.26288:                            ;   in Loop: Header=BB6_25823 Depth=3
	v_bfe_u32 v6, v3, 23, 8
	v_cmp_gt_u32_e64 s[28:29], s47, v6
	v_sub_u32_e32 v3, 0x71, v6
	v_cmp_eq_u32_e32 vcc, 0, v6
	v_cndmask_b32_e64 v3, 0, v3, s[28:29]
	v_mov_b32_e32 v7, 0x70
	v_cndmask_b32_e32 v7, v3, v7, vcc
	v_or_b32_e32 v14, 0x800000, v1
	v_add_u32_e32 v3, 21, v7
	v_cndmask_b32_e32 v1, v14, v1, vcc
	v_lshlrev_b64 v[14:15], v3, -1
	v_add_u32_e32 v3, 20, v7
	v_bfi_b32 v14, v14, 0, v1
	v_lshlrev_b64 v[17:18], v3, 1
	v_lshrrev_b64 v[1:2], v7, v[1:2]
	v_bfi_b32 v15, v15, 0, 0
	v_cmp_eq_u64_e64 s[28:29], v[14:15], v[17:18]
	v_mov_b32_e32 v3, v2
	v_mov_b32_e32 v2, v1
	s_and_saveexec_b64 s[48:49], s[28:29]
; %bb.26289:                            ;   in Loop: Header=BB6_25823 Depth=3
	v_bfe_u32 v2, v1, 21, 1
	v_add_co_u32_e64 v2, s[28:29], v1, v2
	v_add_co_u32_e64 v2, s[28:29], -1, v2
; %bb.26290:                            ;   in Loop: Header=BB6_25823 Depth=3
	s_or_b64 exec, exec, s[48:49]
	v_add_u32_e32 v3, 0xffffff81, v6
	v_mov_b32_e32 v6, 0xffffff82
	v_cndmask_b32_e32 v3, v3, v6, vcc
	v_lshrrev_b32_e32 v6, 23, v1
	v_add3_u32 v7, v7, v3, v6
	v_add_u32_e32 v6, 14, v7
	v_and_b32_e32 v2, 0x1fffff, v2
	v_add_u32_e32 v1, v2, v1
	v_mov_b32_e32 v2, v33
	v_cmp_ne_u32_e32 vcc, 0, v6
                                        ; implicit-def: $vgpr3
	s_and_saveexec_b64 s[28:29], vcc
	s_xor_b64 s[28:29], exec, s[28:29]
; %bb.26291:                            ;   in Loop: Header=BB6_25823 Depth=3
	v_cmp_lt_u64_e32 vcc, s[88:89], v[1:2]
	v_add_u32_e32 v3, 15, v7
	v_cndmask_b32_e32 v3, v6, v3, vcc
	v_cndmask_b32_e64 v6, 0, 1, vcc
	v_lshrrev_b64 v[1:2], v6, v[1:2]
; %bb.26292:                            ;   in Loop: Header=BB6_25823 Depth=3
	s_andn2_saveexec_b64 s[28:29], s[28:29]
; %bb.26293:                            ;   in Loop: Header=BB6_25823 Depth=3
	v_bfe_u32 v3, v1, 23, 1
; %bb.26294:                            ;   in Loop: Header=BB6_25823 Depth=3
	s_or_b64 exec, exec, s[28:29]
	v_lshrrev_b64 v[1:2], 21, v[1:2]
	v_cmp_gt_i32_e32 vcc, 32, v3
	v_cndmask_b32_e32 v2, 0, v2, vcc
	v_cndmask_b32_e32 v1, 3, v1, vcc
	v_cmp_ne_u64_e32 vcc, 0, v[1:2]
	v_cmp_ne_u32_e64 s[28:29], 0, v3
	s_or_b64 s[28:29], s[28:29], vcc
                                        ; implicit-def: $vgpr2
	buffer_store_dword v2, off, s[0:3], s33 offset:220 ; 4-byte Folded Spill
	s_nop 0
	buffer_store_dword v3, off, s[0:3], s33 offset:224 ; 4-byte Folded Spill
	s_and_saveexec_b64 s[62:63], s[28:29]
	s_xor_b64 s[28:29], exec, s[62:63]
	s_cbranch_execz .LBB6_26296
; %bb.26295:                            ;   in Loop: Header=BB6_25823 Depth=3
	v_min_i32_e32 v2, 31, v3
	v_lshl_or_b32 v2, v2, 2, v5
	v_and_or_b32 v1, v1, 3, v2
	buffer_store_dword v1, off, s[0:3], s33 offset:220 ; 4-byte Folded Spill
	s_nop 0
	buffer_store_dword v2, off, s[0:3], s33 offset:224 ; 4-byte Folded Spill
                                        ; implicit-def: $vgpr5
.LBB6_26296:                            ;   in Loop: Header=BB6_25823 Depth=3
	s_andn2_saveexec_b64 s[28:29], s[28:29]
	s_cbranch_execz .LBB6_26298
; %bb.26297:                            ;   in Loop: Header=BB6_25823 Depth=3
	v_mov_b32_e32 v1, v5
	buffer_store_dword v1, off, s[0:3], s33 offset:220 ; 4-byte Folded Spill
	s_nop 0
	buffer_store_dword v2, off, s[0:3], s33 offset:224 ; 4-byte Folded Spill
.LBB6_26298:                            ;   in Loop: Header=BB6_25823 Depth=3
	s_or_b64 exec, exec, s[28:29]
.LBB6_26299:                            ;   in Loop: Header=BB6_25823 Depth=3
	s_or_b64 exec, exec, s[38:39]
                                        ; implicit-def: $vgpr5
.LBB6_26300:                            ;   in Loop: Header=BB6_25823 Depth=3
	s_andn2_saveexec_b64 s[28:29], s[36:37]
	s_cbranch_execz .LBB6_26302
; %bb.26301:                            ;   in Loop: Header=BB6_25823 Depth=3
	v_or_b32_e32 v1, 0x7b, v5
	buffer_store_dword v1, off, s[0:3], s33 offset:220 ; 4-byte Folded Spill
	s_nop 0
	buffer_store_dword v2, off, s[0:3], s33 offset:224 ; 4-byte Folded Spill
.LBB6_26302:                            ;   in Loop: Header=BB6_25823 Depth=3
	s_or_b64 exec, exec, s[28:29]
                                        ; implicit-def: $vgpr3
                                        ; implicit-def: $vgpr1_vgpr2
.LBB6_26303:                            ;   in Loop: Header=BB6_25823 Depth=3
	s_andn2_saveexec_b64 s[28:29], s[34:35]
	s_cbranch_execz .LBB6_26309
; %bb.26304:                            ;   in Loop: Header=BB6_25823 Depth=3
	v_cmp_ne_u64_e32 vcc, 0, v[1:2]
                                        ; implicit-def: $vgpr1
	buffer_store_dword v1, off, s[0:3], s33 offset:220 ; 4-byte Folded Spill
	s_nop 0
	buffer_store_dword v2, off, s[0:3], s33 offset:224 ; 4-byte Folded Spill
	s_and_saveexec_b64 s[62:63], vcc
	s_xor_b64 vcc, exec, s[62:63]
	s_cbranch_execz .LBB6_26306
; %bb.26305:                            ;   in Loop: Header=BB6_25823 Depth=3
	v_or_b32_sdwa v1, v3, s44 dst_sel:DWORD dst_unused:UNUSED_PAD src0_sel:BYTE_3 src1_sel:DWORD
	buffer_store_dword v1, off, s[0:3], s33 offset:220 ; 4-byte Folded Spill
	s_nop 0
	buffer_store_dword v2, off, s[0:3], s33 offset:224 ; 4-byte Folded Spill
                                        ; implicit-def: $vgpr3
.LBB6_26306:                            ;   in Loop: Header=BB6_25823 Depth=3
	s_andn2_saveexec_b64 s[34:35], vcc
	s_cbranch_execz .LBB6_26308
; %bb.26307:                            ;   in Loop: Header=BB6_25823 Depth=3
	v_cmp_lt_i32_e32 vcc, -1, v3
	v_mov_b32_e32 v1, 0x7c
	v_cndmask_b32_e32 v1, -4, v1, vcc
	buffer_store_dword v1, off, s[0:3], s33 offset:220 ; 4-byte Folded Spill
	s_nop 0
	buffer_store_dword v2, off, s[0:3], s33 offset:224 ; 4-byte Folded Spill
.LBB6_26308:                            ;   in Loop: Header=BB6_25823 Depth=3
	s_or_b64 exec, exec, s[34:35]
.LBB6_26309:                            ;   in Loop: Header=BB6_25823 Depth=3
	s_or_b64 exec, exec, s[28:29]
	flat_load_sbyte v1, v[8:9] offset:960 glc slc
	v_mov_b32_e32 v2, 0
	s_waitcnt vmcnt(0) lgkmcnt(0)
	v_cmp_ne_u16_e32 vcc, 0, v1
	s_and_saveexec_b64 s[28:29], vcc
	s_cbranch_execz .LBB6_26317
; %bb.26310:                            ;   in Loop: Header=BB6_25823 Depth=3
	v_cmp_ne_u16_e32 vcc, s46, v1
	v_bfrev_b32_e32 v2, 1
	s_and_saveexec_b64 s[34:35], vcc
	s_cbranch_execz .LBB6_26316
; %bb.26311:                            ;   in Loop: Header=BB6_25823 Depth=3
	v_and_b32_e32 v2, 0x7c, v1
	v_and_b32_e32 v3, 3, v1
	v_cmp_ne_u32_e32 vcc, s86, v2
                                        ; implicit-def: $vgpr2
	s_and_saveexec_b64 s[62:63], vcc
	s_xor_b64 s[36:37], exec, s[62:63]
	s_cbranch_execz .LBB6_26313
; %bb.26312:                            ;   in Loop: Header=BB6_25823 Depth=3
	v_and_b32_e32 v5, 0xff, v1
	v_bfe_u32 v7, v5, 2, 5
	v_ffbh_u32_e32 v5, v3
	v_min_u32_e32 v14, 32, v5
	v_mov_b32_e32 v2, v33
	v_subrev_u32_e32 v5, 29, v14
	v_lshlrev_b64 v[5:6], v5, v[1:2]
	v_sub_u32_e32 v2, 30, v14
	v_cmp_eq_u32_e32 vcc, 0, v7
	v_and_b32_e32 v5, 3, v5
	v_cndmask_b32_e32 v2, v7, v2, vcc
	v_and_b32_sdwa v1, sext(v1), s87 dst_sel:DWORD dst_unused:UNUSED_PAD src0_sel:WORD_0 src1_sel:DWORD
	v_cndmask_b32_e32 v3, v3, v5, vcc
	v_lshl_add_u32 v1, v2, 23, v1
	v_lshl_or_b32 v1, v3, 21, v1
	v_add_u32_e32 v2, 0x38000000, v1
                                        ; implicit-def: $vgpr3
                                        ; implicit-def: $vgpr1
.LBB6_26313:                            ;   in Loop: Header=BB6_25823 Depth=3
	s_andn2_saveexec_b64 s[36:37], s[36:37]
; %bb.26314:                            ;   in Loop: Header=BB6_25823 Depth=3
	v_cmp_lt_i16_e32 vcc, -1, v1
	v_mov_b32_e32 v1, 0xff800000
	v_mov_b32_e32 v2, 0x7f800000
	v_cndmask_b32_e32 v1, v1, v2, vcc
	v_cmp_eq_u32_e32 vcc, 0, v3
	v_mov_b32_e32 v2, 0x7f800001
	v_cndmask_b32_e32 v2, v2, v1, vcc
; %bb.26315:                            ;   in Loop: Header=BB6_25823 Depth=3
	s_or_b64 exec, exec, s[36:37]
.LBB6_26316:                            ;   in Loop: Header=BB6_25823 Depth=3
	s_or_b64 exec, exec, s[34:35]
.LBB6_26317:                            ;   in Loop: Header=BB6_25823 Depth=3
	s_or_b64 exec, exec, s[28:29]
	v_mul_f32_e32 v3, v4, v2
	v_and_b32_e32 v5, 0x7f800000, v3
	v_mov_b32_e32 v6, v33
	v_cmp_ne_u64_e32 vcc, s[76:77], v[5:6]
	v_and_b32_e32 v1, 0x7fffff, v3
	v_mov_b32_e32 v2, v33
                                        ; implicit-def: $vgpr5
	buffer_store_dword v5, off, s[0:3], s33 offset:212 ; 4-byte Folded Spill
	s_nop 0
	buffer_store_dword v6, off, s[0:3], s33 offset:216 ; 4-byte Folded Spill
	s_and_saveexec_b64 s[28:29], vcc
	s_xor_b64 s[34:35], exec, s[28:29]
	s_cbranch_execz .LBB6_26335
; %bb.26318:                            ;   in Loop: Header=BB6_25823 Depth=3
	v_and_b32_e32 v5, 0x7fffffff, v3
	v_mov_b32_e32 v6, v33
	v_cmp_gt_u64_e32 vcc, s[78:79], v[5:6]
	v_and_b32_sdwa v5, v3, s97 dst_sel:DWORD dst_unused:UNUSED_PAD src0_sel:BYTE_3 src1_sel:DWORD
                                        ; implicit-def: $vgpr6
	buffer_store_dword v6, off, s[0:3], s33 offset:212 ; 4-byte Folded Spill
	s_nop 0
	buffer_store_dword v7, off, s[0:3], s33 offset:216 ; 4-byte Folded Spill
	s_and_saveexec_b64 s[28:29], vcc
	s_xor_b64 s[36:37], exec, s[28:29]
	s_cbranch_execz .LBB6_26332
; %bb.26319:                            ;   in Loop: Header=BB6_25823 Depth=3
	v_cmp_ne_u32_e32 vcc, 0, v3
	v_mov_b32_e32 v6, 0
	buffer_store_dword v6, off, s[0:3], s33 offset:212 ; 4-byte Folded Spill
	s_nop 0
	buffer_store_dword v7, off, s[0:3], s33 offset:216 ; 4-byte Folded Spill
	s_and_saveexec_b64 s[38:39], vcc
	s_cbranch_execz .LBB6_26331
; %bb.26320:                            ;   in Loop: Header=BB6_25823 Depth=3
	v_bfe_u32 v6, v3, 23, 8
	v_cmp_gt_u32_e64 s[28:29], s47, v6
	v_sub_u32_e32 v3, 0x71, v6
	v_cmp_eq_u32_e32 vcc, 0, v6
	v_cndmask_b32_e64 v3, 0, v3, s[28:29]
	v_mov_b32_e32 v7, 0x70
	v_cndmask_b32_e32 v7, v3, v7, vcc
	v_or_b32_e32 v14, 0x800000, v1
	v_add_u32_e32 v3, 21, v7
	v_cndmask_b32_e32 v1, v14, v1, vcc
	v_lshlrev_b64 v[14:15], v3, -1
	v_add_u32_e32 v3, 20, v7
	v_bfi_b32 v14, v14, 0, v1
	v_lshlrev_b64 v[17:18], v3, 1
	v_lshrrev_b64 v[1:2], v7, v[1:2]
	v_bfi_b32 v15, v15, 0, 0
	v_cmp_eq_u64_e64 s[28:29], v[14:15], v[17:18]
	v_mov_b32_e32 v3, v2
	v_mov_b32_e32 v2, v1
	s_and_saveexec_b64 s[48:49], s[28:29]
; %bb.26321:                            ;   in Loop: Header=BB6_25823 Depth=3
	v_bfe_u32 v2, v1, 21, 1
	v_add_co_u32_e64 v2, s[28:29], v1, v2
	v_add_co_u32_e64 v2, s[28:29], -1, v2
; %bb.26322:                            ;   in Loop: Header=BB6_25823 Depth=3
	s_or_b64 exec, exec, s[48:49]
	v_add_u32_e32 v3, 0xffffff81, v6
	v_mov_b32_e32 v6, 0xffffff82
	v_cndmask_b32_e32 v3, v3, v6, vcc
	v_lshrrev_b32_e32 v6, 23, v1
	v_add3_u32 v7, v7, v3, v6
	v_add_u32_e32 v6, 14, v7
	v_and_b32_e32 v2, 0x1fffff, v2
	v_add_u32_e32 v1, v2, v1
	v_mov_b32_e32 v2, v33
	v_cmp_ne_u32_e32 vcc, 0, v6
                                        ; implicit-def: $vgpr3
	s_and_saveexec_b64 s[28:29], vcc
	s_xor_b64 s[28:29], exec, s[28:29]
; %bb.26323:                            ;   in Loop: Header=BB6_25823 Depth=3
	v_cmp_lt_u64_e32 vcc, s[88:89], v[1:2]
	v_add_u32_e32 v3, 15, v7
	v_cndmask_b32_e32 v3, v6, v3, vcc
	v_cndmask_b32_e64 v6, 0, 1, vcc
	v_lshrrev_b64 v[1:2], v6, v[1:2]
; %bb.26324:                            ;   in Loop: Header=BB6_25823 Depth=3
	s_andn2_saveexec_b64 s[28:29], s[28:29]
; %bb.26325:                            ;   in Loop: Header=BB6_25823 Depth=3
	v_bfe_u32 v3, v1, 23, 1
; %bb.26326:                            ;   in Loop: Header=BB6_25823 Depth=3
	s_or_b64 exec, exec, s[28:29]
	v_lshrrev_b64 v[1:2], 21, v[1:2]
	v_cmp_gt_i32_e32 vcc, 32, v3
	v_cndmask_b32_e32 v2, 0, v2, vcc
	v_cndmask_b32_e32 v1, 3, v1, vcc
	v_cmp_ne_u64_e32 vcc, 0, v[1:2]
	v_cmp_ne_u32_e64 s[28:29], 0, v3
	s_or_b64 s[28:29], s[28:29], vcc
                                        ; implicit-def: $vgpr2
	buffer_store_dword v2, off, s[0:3], s33 offset:212 ; 4-byte Folded Spill
	s_nop 0
	buffer_store_dword v3, off, s[0:3], s33 offset:216 ; 4-byte Folded Spill
	s_and_saveexec_b64 s[62:63], s[28:29]
	s_xor_b64 s[28:29], exec, s[62:63]
	s_cbranch_execz .LBB6_26328
; %bb.26327:                            ;   in Loop: Header=BB6_25823 Depth=3
	v_min_i32_e32 v2, 31, v3
	v_lshl_or_b32 v2, v2, 2, v5
	v_and_or_b32 v1, v1, 3, v2
	buffer_store_dword v1, off, s[0:3], s33 offset:212 ; 4-byte Folded Spill
	s_nop 0
	buffer_store_dword v2, off, s[0:3], s33 offset:216 ; 4-byte Folded Spill
                                        ; implicit-def: $vgpr5
.LBB6_26328:                            ;   in Loop: Header=BB6_25823 Depth=3
	s_andn2_saveexec_b64 s[28:29], s[28:29]
	s_cbranch_execz .LBB6_26330
; %bb.26329:                            ;   in Loop: Header=BB6_25823 Depth=3
	v_mov_b32_e32 v1, v5
	buffer_store_dword v1, off, s[0:3], s33 offset:212 ; 4-byte Folded Spill
	s_nop 0
	buffer_store_dword v2, off, s[0:3], s33 offset:216 ; 4-byte Folded Spill
.LBB6_26330:                            ;   in Loop: Header=BB6_25823 Depth=3
	s_or_b64 exec, exec, s[28:29]
.LBB6_26331:                            ;   in Loop: Header=BB6_25823 Depth=3
	s_or_b64 exec, exec, s[38:39]
                                        ; implicit-def: $vgpr5
.LBB6_26332:                            ;   in Loop: Header=BB6_25823 Depth=3
	s_andn2_saveexec_b64 s[28:29], s[36:37]
	s_cbranch_execz .LBB6_26334
; %bb.26333:                            ;   in Loop: Header=BB6_25823 Depth=3
	v_or_b32_e32 v1, 0x7b, v5
	buffer_store_dword v1, off, s[0:3], s33 offset:212 ; 4-byte Folded Spill
	s_nop 0
	buffer_store_dword v2, off, s[0:3], s33 offset:216 ; 4-byte Folded Spill
.LBB6_26334:                            ;   in Loop: Header=BB6_25823 Depth=3
	s_or_b64 exec, exec, s[28:29]
                                        ; implicit-def: $vgpr3
                                        ; implicit-def: $vgpr1_vgpr2
.LBB6_26335:                            ;   in Loop: Header=BB6_25823 Depth=3
	s_andn2_saveexec_b64 s[28:29], s[34:35]
	s_cbranch_execz .LBB6_26341
; %bb.26336:                            ;   in Loop: Header=BB6_25823 Depth=3
	v_cmp_ne_u64_e32 vcc, 0, v[1:2]
                                        ; implicit-def: $vgpr1
	buffer_store_dword v1, off, s[0:3], s33 offset:212 ; 4-byte Folded Spill
	s_nop 0
	buffer_store_dword v2, off, s[0:3], s33 offset:216 ; 4-byte Folded Spill
	s_and_saveexec_b64 s[62:63], vcc
	s_xor_b64 vcc, exec, s[62:63]
	s_cbranch_execz .LBB6_26338
; %bb.26337:                            ;   in Loop: Header=BB6_25823 Depth=3
	v_or_b32_sdwa v1, v3, s44 dst_sel:DWORD dst_unused:UNUSED_PAD src0_sel:BYTE_3 src1_sel:DWORD
	buffer_store_dword v1, off, s[0:3], s33 offset:212 ; 4-byte Folded Spill
	s_nop 0
	buffer_store_dword v2, off, s[0:3], s33 offset:216 ; 4-byte Folded Spill
                                        ; implicit-def: $vgpr3
.LBB6_26338:                            ;   in Loop: Header=BB6_25823 Depth=3
	s_andn2_saveexec_b64 s[34:35], vcc
	s_cbranch_execz .LBB6_26340
; %bb.26339:                            ;   in Loop: Header=BB6_25823 Depth=3
	v_cmp_lt_i32_e32 vcc, -1, v3
	v_mov_b32_e32 v1, 0x7c
	v_cndmask_b32_e32 v1, -4, v1, vcc
	buffer_store_dword v1, off, s[0:3], s33 offset:212 ; 4-byte Folded Spill
	s_nop 0
	buffer_store_dword v2, off, s[0:3], s33 offset:216 ; 4-byte Folded Spill
.LBB6_26340:                            ;   in Loop: Header=BB6_25823 Depth=3
	s_or_b64 exec, exec, s[34:35]
.LBB6_26341:                            ;   in Loop: Header=BB6_25823 Depth=3
	s_or_b64 exec, exec, s[28:29]
	flat_load_sbyte v1, v[8:9] offset:1024 glc slc
	v_mov_b32_e32 v2, 0
	s_waitcnt vmcnt(0) lgkmcnt(0)
	v_cmp_ne_u16_e32 vcc, 0, v1
	s_and_saveexec_b64 s[28:29], vcc
	s_cbranch_execz .LBB6_26349
; %bb.26342:                            ;   in Loop: Header=BB6_25823 Depth=3
	v_cmp_ne_u16_e32 vcc, s46, v1
	v_bfrev_b32_e32 v2, 1
	s_and_saveexec_b64 s[34:35], vcc
	s_cbranch_execz .LBB6_26348
; %bb.26343:                            ;   in Loop: Header=BB6_25823 Depth=3
	v_and_b32_e32 v2, 0x7c, v1
	v_and_b32_e32 v3, 3, v1
	v_cmp_ne_u32_e32 vcc, s86, v2
                                        ; implicit-def: $vgpr2
	s_and_saveexec_b64 s[62:63], vcc
	s_xor_b64 s[36:37], exec, s[62:63]
	s_cbranch_execz .LBB6_26345
; %bb.26344:                            ;   in Loop: Header=BB6_25823 Depth=3
	v_and_b32_e32 v5, 0xff, v1
	v_bfe_u32 v7, v5, 2, 5
	v_ffbh_u32_e32 v5, v3
	v_min_u32_e32 v14, 32, v5
	v_mov_b32_e32 v2, v33
	v_subrev_u32_e32 v5, 29, v14
	v_lshlrev_b64 v[5:6], v5, v[1:2]
	v_sub_u32_e32 v2, 30, v14
	v_cmp_eq_u32_e32 vcc, 0, v7
	v_and_b32_e32 v5, 3, v5
	v_cndmask_b32_e32 v2, v7, v2, vcc
	v_and_b32_sdwa v1, sext(v1), s87 dst_sel:DWORD dst_unused:UNUSED_PAD src0_sel:WORD_0 src1_sel:DWORD
	v_cndmask_b32_e32 v3, v3, v5, vcc
	v_lshl_add_u32 v1, v2, 23, v1
	v_lshl_or_b32 v1, v3, 21, v1
	v_add_u32_e32 v2, 0x38000000, v1
                                        ; implicit-def: $vgpr3
                                        ; implicit-def: $vgpr1
.LBB6_26345:                            ;   in Loop: Header=BB6_25823 Depth=3
	s_andn2_saveexec_b64 s[36:37], s[36:37]
; %bb.26346:                            ;   in Loop: Header=BB6_25823 Depth=3
	v_cmp_lt_i16_e32 vcc, -1, v1
	v_mov_b32_e32 v1, 0xff800000
	v_mov_b32_e32 v2, 0x7f800000
	v_cndmask_b32_e32 v1, v1, v2, vcc
	v_cmp_eq_u32_e32 vcc, 0, v3
	v_mov_b32_e32 v2, 0x7f800001
	v_cndmask_b32_e32 v2, v2, v1, vcc
; %bb.26347:                            ;   in Loop: Header=BB6_25823 Depth=3
	s_or_b64 exec, exec, s[36:37]
.LBB6_26348:                            ;   in Loop: Header=BB6_25823 Depth=3
	s_or_b64 exec, exec, s[34:35]
.LBB6_26349:                            ;   in Loop: Header=BB6_25823 Depth=3
	s_or_b64 exec, exec, s[28:29]
	v_mul_f32_e32 v3, v4, v2
	v_and_b32_e32 v5, 0x7f800000, v3
	v_mov_b32_e32 v6, v33
	v_cmp_ne_u64_e32 vcc, s[76:77], v[5:6]
	v_and_b32_e32 v1, 0x7fffff, v3
	v_mov_b32_e32 v2, v33
                                        ; implicit-def: $vgpr5
	buffer_store_dword v5, off, s[0:3], s33 offset:204 ; 4-byte Folded Spill
	s_nop 0
	buffer_store_dword v6, off, s[0:3], s33 offset:208 ; 4-byte Folded Spill
	s_and_saveexec_b64 s[28:29], vcc
	s_xor_b64 s[34:35], exec, s[28:29]
	s_cbranch_execz .LBB6_26367
; %bb.26350:                            ;   in Loop: Header=BB6_25823 Depth=3
	v_and_b32_e32 v5, 0x7fffffff, v3
	v_mov_b32_e32 v6, v33
	v_cmp_gt_u64_e32 vcc, s[78:79], v[5:6]
	v_and_b32_sdwa v5, v3, s97 dst_sel:DWORD dst_unused:UNUSED_PAD src0_sel:BYTE_3 src1_sel:DWORD
                                        ; implicit-def: $vgpr6
	buffer_store_dword v6, off, s[0:3], s33 offset:204 ; 4-byte Folded Spill
	s_nop 0
	buffer_store_dword v7, off, s[0:3], s33 offset:208 ; 4-byte Folded Spill
	s_and_saveexec_b64 s[28:29], vcc
	s_xor_b64 s[36:37], exec, s[28:29]
	s_cbranch_execz .LBB6_26364
; %bb.26351:                            ;   in Loop: Header=BB6_25823 Depth=3
	v_cmp_ne_u32_e32 vcc, 0, v3
	v_mov_b32_e32 v6, 0
	buffer_store_dword v6, off, s[0:3], s33 offset:204 ; 4-byte Folded Spill
	s_nop 0
	buffer_store_dword v7, off, s[0:3], s33 offset:208 ; 4-byte Folded Spill
	s_and_saveexec_b64 s[38:39], vcc
	s_cbranch_execz .LBB6_26363
; %bb.26352:                            ;   in Loop: Header=BB6_25823 Depth=3
	v_bfe_u32 v6, v3, 23, 8
	v_cmp_gt_u32_e64 s[28:29], s47, v6
	v_sub_u32_e32 v3, 0x71, v6
	v_cmp_eq_u32_e32 vcc, 0, v6
	v_cndmask_b32_e64 v3, 0, v3, s[28:29]
	v_mov_b32_e32 v7, 0x70
	v_cndmask_b32_e32 v7, v3, v7, vcc
	v_or_b32_e32 v14, 0x800000, v1
	v_add_u32_e32 v3, 21, v7
	v_cndmask_b32_e32 v1, v14, v1, vcc
	v_lshlrev_b64 v[14:15], v3, -1
	v_add_u32_e32 v3, 20, v7
	v_bfi_b32 v14, v14, 0, v1
	v_lshlrev_b64 v[17:18], v3, 1
	v_lshrrev_b64 v[1:2], v7, v[1:2]
	v_bfi_b32 v15, v15, 0, 0
	v_cmp_eq_u64_e64 s[28:29], v[14:15], v[17:18]
	v_mov_b32_e32 v3, v2
	v_mov_b32_e32 v2, v1
	s_and_saveexec_b64 s[48:49], s[28:29]
; %bb.26353:                            ;   in Loop: Header=BB6_25823 Depth=3
	v_bfe_u32 v2, v1, 21, 1
	v_add_co_u32_e64 v2, s[28:29], v1, v2
	v_add_co_u32_e64 v2, s[28:29], -1, v2
; %bb.26354:                            ;   in Loop: Header=BB6_25823 Depth=3
	s_or_b64 exec, exec, s[48:49]
	v_add_u32_e32 v3, 0xffffff81, v6
	v_mov_b32_e32 v6, 0xffffff82
	v_cndmask_b32_e32 v3, v3, v6, vcc
	v_lshrrev_b32_e32 v6, 23, v1
	v_add3_u32 v7, v7, v3, v6
	v_add_u32_e32 v6, 14, v7
	v_and_b32_e32 v2, 0x1fffff, v2
	v_add_u32_e32 v1, v2, v1
	v_mov_b32_e32 v2, v33
	v_cmp_ne_u32_e32 vcc, 0, v6
                                        ; implicit-def: $vgpr3
	s_and_saveexec_b64 s[28:29], vcc
	s_xor_b64 s[28:29], exec, s[28:29]
; %bb.26355:                            ;   in Loop: Header=BB6_25823 Depth=3
	v_cmp_lt_u64_e32 vcc, s[88:89], v[1:2]
	v_add_u32_e32 v3, 15, v7
	v_cndmask_b32_e32 v3, v6, v3, vcc
	v_cndmask_b32_e64 v6, 0, 1, vcc
	v_lshrrev_b64 v[1:2], v6, v[1:2]
; %bb.26356:                            ;   in Loop: Header=BB6_25823 Depth=3
	s_andn2_saveexec_b64 s[28:29], s[28:29]
; %bb.26357:                            ;   in Loop: Header=BB6_25823 Depth=3
	v_bfe_u32 v3, v1, 23, 1
; %bb.26358:                            ;   in Loop: Header=BB6_25823 Depth=3
	s_or_b64 exec, exec, s[28:29]
	v_lshrrev_b64 v[1:2], 21, v[1:2]
	v_cmp_gt_i32_e32 vcc, 32, v3
	v_cndmask_b32_e32 v2, 0, v2, vcc
	v_cndmask_b32_e32 v1, 3, v1, vcc
	v_cmp_ne_u64_e32 vcc, 0, v[1:2]
	v_cmp_ne_u32_e64 s[28:29], 0, v3
	s_or_b64 s[28:29], s[28:29], vcc
                                        ; implicit-def: $vgpr2
	buffer_store_dword v2, off, s[0:3], s33 offset:204 ; 4-byte Folded Spill
	s_nop 0
	buffer_store_dword v3, off, s[0:3], s33 offset:208 ; 4-byte Folded Spill
	s_and_saveexec_b64 s[62:63], s[28:29]
	s_xor_b64 s[28:29], exec, s[62:63]
	s_cbranch_execz .LBB6_26360
; %bb.26359:                            ;   in Loop: Header=BB6_25823 Depth=3
	v_min_i32_e32 v2, 31, v3
	v_lshl_or_b32 v2, v2, 2, v5
	v_and_or_b32 v1, v1, 3, v2
	buffer_store_dword v1, off, s[0:3], s33 offset:204 ; 4-byte Folded Spill
	s_nop 0
	buffer_store_dword v2, off, s[0:3], s33 offset:208 ; 4-byte Folded Spill
                                        ; implicit-def: $vgpr5
.LBB6_26360:                            ;   in Loop: Header=BB6_25823 Depth=3
	s_andn2_saveexec_b64 s[28:29], s[28:29]
	s_cbranch_execz .LBB6_26362
; %bb.26361:                            ;   in Loop: Header=BB6_25823 Depth=3
	v_mov_b32_e32 v1, v5
	buffer_store_dword v1, off, s[0:3], s33 offset:204 ; 4-byte Folded Spill
	s_nop 0
	buffer_store_dword v2, off, s[0:3], s33 offset:208 ; 4-byte Folded Spill
.LBB6_26362:                            ;   in Loop: Header=BB6_25823 Depth=3
	s_or_b64 exec, exec, s[28:29]
.LBB6_26363:                            ;   in Loop: Header=BB6_25823 Depth=3
	s_or_b64 exec, exec, s[38:39]
                                        ; implicit-def: $vgpr5
.LBB6_26364:                            ;   in Loop: Header=BB6_25823 Depth=3
	s_andn2_saveexec_b64 s[28:29], s[36:37]
	s_cbranch_execz .LBB6_26366
; %bb.26365:                            ;   in Loop: Header=BB6_25823 Depth=3
	v_or_b32_e32 v1, 0x7b, v5
	buffer_store_dword v1, off, s[0:3], s33 offset:204 ; 4-byte Folded Spill
	s_nop 0
	buffer_store_dword v2, off, s[0:3], s33 offset:208 ; 4-byte Folded Spill
.LBB6_26366:                            ;   in Loop: Header=BB6_25823 Depth=3
	s_or_b64 exec, exec, s[28:29]
                                        ; implicit-def: $vgpr3
                                        ; implicit-def: $vgpr1_vgpr2
.LBB6_26367:                            ;   in Loop: Header=BB6_25823 Depth=3
	s_andn2_saveexec_b64 s[28:29], s[34:35]
	s_cbranch_execz .LBB6_26373
; %bb.26368:                            ;   in Loop: Header=BB6_25823 Depth=3
	v_cmp_ne_u64_e32 vcc, 0, v[1:2]
                                        ; implicit-def: $vgpr1
	buffer_store_dword v1, off, s[0:3], s33 offset:204 ; 4-byte Folded Spill
	s_nop 0
	buffer_store_dword v2, off, s[0:3], s33 offset:208 ; 4-byte Folded Spill
	s_and_saveexec_b64 s[62:63], vcc
	s_xor_b64 vcc, exec, s[62:63]
	s_cbranch_execz .LBB6_26370
; %bb.26369:                            ;   in Loop: Header=BB6_25823 Depth=3
	v_or_b32_sdwa v1, v3, s44 dst_sel:DWORD dst_unused:UNUSED_PAD src0_sel:BYTE_3 src1_sel:DWORD
	buffer_store_dword v1, off, s[0:3], s33 offset:204 ; 4-byte Folded Spill
	s_nop 0
	buffer_store_dword v2, off, s[0:3], s33 offset:208 ; 4-byte Folded Spill
                                        ; implicit-def: $vgpr3
.LBB6_26370:                            ;   in Loop: Header=BB6_25823 Depth=3
	s_andn2_saveexec_b64 s[34:35], vcc
	s_cbranch_execz .LBB6_26372
; %bb.26371:                            ;   in Loop: Header=BB6_25823 Depth=3
	v_cmp_lt_i32_e32 vcc, -1, v3
	v_mov_b32_e32 v1, 0x7c
	v_cndmask_b32_e32 v1, -4, v1, vcc
	buffer_store_dword v1, off, s[0:3], s33 offset:204 ; 4-byte Folded Spill
	s_nop 0
	buffer_store_dword v2, off, s[0:3], s33 offset:208 ; 4-byte Folded Spill
.LBB6_26372:                            ;   in Loop: Header=BB6_25823 Depth=3
	s_or_b64 exec, exec, s[34:35]
.LBB6_26373:                            ;   in Loop: Header=BB6_25823 Depth=3
	s_or_b64 exec, exec, s[28:29]
	flat_load_sbyte v1, v[8:9] offset:1088 glc slc
	v_mov_b32_e32 v2, 0
	s_waitcnt vmcnt(0) lgkmcnt(0)
	v_cmp_ne_u16_e32 vcc, 0, v1
	s_and_saveexec_b64 s[28:29], vcc
	s_cbranch_execz .LBB6_26381
; %bb.26374:                            ;   in Loop: Header=BB6_25823 Depth=3
	v_cmp_ne_u16_e32 vcc, s46, v1
	v_bfrev_b32_e32 v2, 1
	s_and_saveexec_b64 s[34:35], vcc
	s_cbranch_execz .LBB6_26380
; %bb.26375:                            ;   in Loop: Header=BB6_25823 Depth=3
	v_and_b32_e32 v2, 0x7c, v1
	v_and_b32_e32 v3, 3, v1
	v_cmp_ne_u32_e32 vcc, s86, v2
                                        ; implicit-def: $vgpr2
	s_and_saveexec_b64 s[62:63], vcc
	s_xor_b64 s[36:37], exec, s[62:63]
	s_cbranch_execz .LBB6_26377
; %bb.26376:                            ;   in Loop: Header=BB6_25823 Depth=3
	v_and_b32_e32 v5, 0xff, v1
	v_bfe_u32 v7, v5, 2, 5
	v_ffbh_u32_e32 v5, v3
	v_min_u32_e32 v14, 32, v5
	v_mov_b32_e32 v2, v33
	v_subrev_u32_e32 v5, 29, v14
	v_lshlrev_b64 v[5:6], v5, v[1:2]
	v_sub_u32_e32 v2, 30, v14
	v_cmp_eq_u32_e32 vcc, 0, v7
	v_and_b32_e32 v5, 3, v5
	v_cndmask_b32_e32 v2, v7, v2, vcc
	v_and_b32_sdwa v1, sext(v1), s87 dst_sel:DWORD dst_unused:UNUSED_PAD src0_sel:WORD_0 src1_sel:DWORD
	v_cndmask_b32_e32 v3, v3, v5, vcc
	v_lshl_add_u32 v1, v2, 23, v1
	v_lshl_or_b32 v1, v3, 21, v1
	v_add_u32_e32 v2, 0x38000000, v1
                                        ; implicit-def: $vgpr3
                                        ; implicit-def: $vgpr1
.LBB6_26377:                            ;   in Loop: Header=BB6_25823 Depth=3
	s_andn2_saveexec_b64 s[36:37], s[36:37]
; %bb.26378:                            ;   in Loop: Header=BB6_25823 Depth=3
	v_cmp_lt_i16_e32 vcc, -1, v1
	v_mov_b32_e32 v1, 0xff800000
	v_mov_b32_e32 v2, 0x7f800000
	v_cndmask_b32_e32 v1, v1, v2, vcc
	v_cmp_eq_u32_e32 vcc, 0, v3
	v_mov_b32_e32 v2, 0x7f800001
	v_cndmask_b32_e32 v2, v2, v1, vcc
; %bb.26379:                            ;   in Loop: Header=BB6_25823 Depth=3
	s_or_b64 exec, exec, s[36:37]
.LBB6_26380:                            ;   in Loop: Header=BB6_25823 Depth=3
	s_or_b64 exec, exec, s[34:35]
.LBB6_26381:                            ;   in Loop: Header=BB6_25823 Depth=3
	s_or_b64 exec, exec, s[28:29]
	v_mul_f32_e32 v3, v4, v2
	v_and_b32_e32 v5, 0x7f800000, v3
	v_mov_b32_e32 v6, v33
	v_cmp_ne_u64_e32 vcc, s[76:77], v[5:6]
	v_and_b32_e32 v1, 0x7fffff, v3
	v_mov_b32_e32 v2, v33
                                        ; implicit-def: $vgpr5
	buffer_store_dword v5, off, s[0:3], s33 offset:196 ; 4-byte Folded Spill
	s_nop 0
	buffer_store_dword v6, off, s[0:3], s33 offset:200 ; 4-byte Folded Spill
	s_and_saveexec_b64 s[28:29], vcc
	s_xor_b64 s[34:35], exec, s[28:29]
	s_cbranch_execz .LBB6_26399
; %bb.26382:                            ;   in Loop: Header=BB6_25823 Depth=3
	v_and_b32_e32 v5, 0x7fffffff, v3
	v_mov_b32_e32 v6, v33
	v_cmp_gt_u64_e32 vcc, s[78:79], v[5:6]
	v_and_b32_sdwa v5, v3, s97 dst_sel:DWORD dst_unused:UNUSED_PAD src0_sel:BYTE_3 src1_sel:DWORD
                                        ; implicit-def: $vgpr6
	buffer_store_dword v6, off, s[0:3], s33 offset:196 ; 4-byte Folded Spill
	s_nop 0
	buffer_store_dword v7, off, s[0:3], s33 offset:200 ; 4-byte Folded Spill
	s_and_saveexec_b64 s[28:29], vcc
	s_xor_b64 s[36:37], exec, s[28:29]
	s_cbranch_execz .LBB6_26396
; %bb.26383:                            ;   in Loop: Header=BB6_25823 Depth=3
	v_cmp_ne_u32_e32 vcc, 0, v3
	v_mov_b32_e32 v6, 0
	buffer_store_dword v6, off, s[0:3], s33 offset:196 ; 4-byte Folded Spill
	s_nop 0
	buffer_store_dword v7, off, s[0:3], s33 offset:200 ; 4-byte Folded Spill
	s_and_saveexec_b64 s[38:39], vcc
	s_cbranch_execz .LBB6_26395
; %bb.26384:                            ;   in Loop: Header=BB6_25823 Depth=3
	v_bfe_u32 v6, v3, 23, 8
	v_cmp_gt_u32_e64 s[28:29], s47, v6
	v_sub_u32_e32 v3, 0x71, v6
	v_cmp_eq_u32_e32 vcc, 0, v6
	v_cndmask_b32_e64 v3, 0, v3, s[28:29]
	v_mov_b32_e32 v7, 0x70
	v_cndmask_b32_e32 v7, v3, v7, vcc
	v_or_b32_e32 v14, 0x800000, v1
	v_add_u32_e32 v3, 21, v7
	v_cndmask_b32_e32 v1, v14, v1, vcc
	v_lshlrev_b64 v[14:15], v3, -1
	v_add_u32_e32 v3, 20, v7
	v_bfi_b32 v14, v14, 0, v1
	v_lshlrev_b64 v[17:18], v3, 1
	v_lshrrev_b64 v[1:2], v7, v[1:2]
	v_bfi_b32 v15, v15, 0, 0
	v_cmp_eq_u64_e64 s[28:29], v[14:15], v[17:18]
	v_mov_b32_e32 v3, v2
	v_mov_b32_e32 v2, v1
	s_and_saveexec_b64 s[48:49], s[28:29]
; %bb.26385:                            ;   in Loop: Header=BB6_25823 Depth=3
	v_bfe_u32 v2, v1, 21, 1
	v_add_co_u32_e64 v2, s[28:29], v1, v2
	v_add_co_u32_e64 v2, s[28:29], -1, v2
; %bb.26386:                            ;   in Loop: Header=BB6_25823 Depth=3
	s_or_b64 exec, exec, s[48:49]
	v_add_u32_e32 v3, 0xffffff81, v6
	v_mov_b32_e32 v6, 0xffffff82
	v_cndmask_b32_e32 v3, v3, v6, vcc
	v_lshrrev_b32_e32 v6, 23, v1
	v_add3_u32 v7, v7, v3, v6
	v_add_u32_e32 v6, 14, v7
	v_and_b32_e32 v2, 0x1fffff, v2
	v_add_u32_e32 v1, v2, v1
	v_mov_b32_e32 v2, v33
	v_cmp_ne_u32_e32 vcc, 0, v6
                                        ; implicit-def: $vgpr3
	s_and_saveexec_b64 s[28:29], vcc
	s_xor_b64 s[28:29], exec, s[28:29]
; %bb.26387:                            ;   in Loop: Header=BB6_25823 Depth=3
	v_cmp_lt_u64_e32 vcc, s[88:89], v[1:2]
	v_add_u32_e32 v3, 15, v7
	v_cndmask_b32_e32 v3, v6, v3, vcc
	v_cndmask_b32_e64 v6, 0, 1, vcc
	v_lshrrev_b64 v[1:2], v6, v[1:2]
; %bb.26388:                            ;   in Loop: Header=BB6_25823 Depth=3
	s_andn2_saveexec_b64 s[28:29], s[28:29]
; %bb.26389:                            ;   in Loop: Header=BB6_25823 Depth=3
	v_bfe_u32 v3, v1, 23, 1
; %bb.26390:                            ;   in Loop: Header=BB6_25823 Depth=3
	s_or_b64 exec, exec, s[28:29]
	v_lshrrev_b64 v[1:2], 21, v[1:2]
	v_cmp_gt_i32_e32 vcc, 32, v3
	v_cndmask_b32_e32 v2, 0, v2, vcc
	v_cndmask_b32_e32 v1, 3, v1, vcc
	v_cmp_ne_u64_e32 vcc, 0, v[1:2]
	v_cmp_ne_u32_e64 s[28:29], 0, v3
	s_or_b64 s[28:29], s[28:29], vcc
                                        ; implicit-def: $vgpr2
	buffer_store_dword v2, off, s[0:3], s33 offset:196 ; 4-byte Folded Spill
	s_nop 0
	buffer_store_dword v3, off, s[0:3], s33 offset:200 ; 4-byte Folded Spill
	s_and_saveexec_b64 s[62:63], s[28:29]
	s_xor_b64 s[28:29], exec, s[62:63]
	s_cbranch_execz .LBB6_26392
; %bb.26391:                            ;   in Loop: Header=BB6_25823 Depth=3
	v_min_i32_e32 v2, 31, v3
	v_lshl_or_b32 v2, v2, 2, v5
	v_and_or_b32 v1, v1, 3, v2
	buffer_store_dword v1, off, s[0:3], s33 offset:196 ; 4-byte Folded Spill
	s_nop 0
	buffer_store_dword v2, off, s[0:3], s33 offset:200 ; 4-byte Folded Spill
                                        ; implicit-def: $vgpr5
.LBB6_26392:                            ;   in Loop: Header=BB6_25823 Depth=3
	s_andn2_saveexec_b64 s[28:29], s[28:29]
	s_cbranch_execz .LBB6_26394
; %bb.26393:                            ;   in Loop: Header=BB6_25823 Depth=3
	v_mov_b32_e32 v1, v5
	buffer_store_dword v1, off, s[0:3], s33 offset:196 ; 4-byte Folded Spill
	s_nop 0
	buffer_store_dword v2, off, s[0:3], s33 offset:200 ; 4-byte Folded Spill
.LBB6_26394:                            ;   in Loop: Header=BB6_25823 Depth=3
	s_or_b64 exec, exec, s[28:29]
.LBB6_26395:                            ;   in Loop: Header=BB6_25823 Depth=3
	s_or_b64 exec, exec, s[38:39]
                                        ; implicit-def: $vgpr5
.LBB6_26396:                            ;   in Loop: Header=BB6_25823 Depth=3
	s_andn2_saveexec_b64 s[28:29], s[36:37]
	s_cbranch_execz .LBB6_26398
; %bb.26397:                            ;   in Loop: Header=BB6_25823 Depth=3
	v_or_b32_e32 v1, 0x7b, v5
	buffer_store_dword v1, off, s[0:3], s33 offset:196 ; 4-byte Folded Spill
	s_nop 0
	buffer_store_dword v2, off, s[0:3], s33 offset:200 ; 4-byte Folded Spill
.LBB6_26398:                            ;   in Loop: Header=BB6_25823 Depth=3
	s_or_b64 exec, exec, s[28:29]
                                        ; implicit-def: $vgpr3
                                        ; implicit-def: $vgpr1_vgpr2
.LBB6_26399:                            ;   in Loop: Header=BB6_25823 Depth=3
	s_andn2_saveexec_b64 s[28:29], s[34:35]
	s_cbranch_execz .LBB6_26405
; %bb.26400:                            ;   in Loop: Header=BB6_25823 Depth=3
	v_cmp_ne_u64_e32 vcc, 0, v[1:2]
                                        ; implicit-def: $vgpr1
	buffer_store_dword v1, off, s[0:3], s33 offset:196 ; 4-byte Folded Spill
	s_nop 0
	buffer_store_dword v2, off, s[0:3], s33 offset:200 ; 4-byte Folded Spill
	s_and_saveexec_b64 s[62:63], vcc
	s_xor_b64 vcc, exec, s[62:63]
	s_cbranch_execz .LBB6_26402
; %bb.26401:                            ;   in Loop: Header=BB6_25823 Depth=3
	v_or_b32_sdwa v1, v3, s44 dst_sel:DWORD dst_unused:UNUSED_PAD src0_sel:BYTE_3 src1_sel:DWORD
	buffer_store_dword v1, off, s[0:3], s33 offset:196 ; 4-byte Folded Spill
	s_nop 0
	buffer_store_dword v2, off, s[0:3], s33 offset:200 ; 4-byte Folded Spill
                                        ; implicit-def: $vgpr3
.LBB6_26402:                            ;   in Loop: Header=BB6_25823 Depth=3
	s_andn2_saveexec_b64 s[34:35], vcc
	s_cbranch_execz .LBB6_26404
; %bb.26403:                            ;   in Loop: Header=BB6_25823 Depth=3
	v_cmp_lt_i32_e32 vcc, -1, v3
	v_mov_b32_e32 v1, 0x7c
	v_cndmask_b32_e32 v1, -4, v1, vcc
	buffer_store_dword v1, off, s[0:3], s33 offset:196 ; 4-byte Folded Spill
	s_nop 0
	buffer_store_dword v2, off, s[0:3], s33 offset:200 ; 4-byte Folded Spill
.LBB6_26404:                            ;   in Loop: Header=BB6_25823 Depth=3
	s_or_b64 exec, exec, s[34:35]
.LBB6_26405:                            ;   in Loop: Header=BB6_25823 Depth=3
	s_or_b64 exec, exec, s[28:29]
	flat_load_sbyte v1, v[8:9] offset:1152 glc slc
	v_mov_b32_e32 v2, 0
	s_waitcnt vmcnt(0) lgkmcnt(0)
	v_cmp_ne_u16_e32 vcc, 0, v1
	s_and_saveexec_b64 s[28:29], vcc
	s_cbranch_execz .LBB6_26413
; %bb.26406:                            ;   in Loop: Header=BB6_25823 Depth=3
	v_cmp_ne_u16_e32 vcc, s46, v1
	v_bfrev_b32_e32 v2, 1
	s_and_saveexec_b64 s[34:35], vcc
	s_cbranch_execz .LBB6_26412
; %bb.26407:                            ;   in Loop: Header=BB6_25823 Depth=3
	v_and_b32_e32 v2, 0x7c, v1
	v_and_b32_e32 v3, 3, v1
	v_cmp_ne_u32_e32 vcc, s86, v2
                                        ; implicit-def: $vgpr2
	s_and_saveexec_b64 s[62:63], vcc
	s_xor_b64 s[36:37], exec, s[62:63]
	s_cbranch_execz .LBB6_26409
; %bb.26408:                            ;   in Loop: Header=BB6_25823 Depth=3
	v_and_b32_e32 v5, 0xff, v1
	v_bfe_u32 v7, v5, 2, 5
	v_ffbh_u32_e32 v5, v3
	v_min_u32_e32 v14, 32, v5
	v_mov_b32_e32 v2, v33
	v_subrev_u32_e32 v5, 29, v14
	v_lshlrev_b64 v[5:6], v5, v[1:2]
	v_sub_u32_e32 v2, 30, v14
	v_cmp_eq_u32_e32 vcc, 0, v7
	v_and_b32_e32 v5, 3, v5
	v_cndmask_b32_e32 v2, v7, v2, vcc
	v_and_b32_sdwa v1, sext(v1), s87 dst_sel:DWORD dst_unused:UNUSED_PAD src0_sel:WORD_0 src1_sel:DWORD
	v_cndmask_b32_e32 v3, v3, v5, vcc
	v_lshl_add_u32 v1, v2, 23, v1
	v_lshl_or_b32 v1, v3, 21, v1
	v_add_u32_e32 v2, 0x38000000, v1
                                        ; implicit-def: $vgpr3
                                        ; implicit-def: $vgpr1
.LBB6_26409:                            ;   in Loop: Header=BB6_25823 Depth=3
	s_andn2_saveexec_b64 s[36:37], s[36:37]
; %bb.26410:                            ;   in Loop: Header=BB6_25823 Depth=3
	v_cmp_lt_i16_e32 vcc, -1, v1
	v_mov_b32_e32 v1, 0xff800000
	v_mov_b32_e32 v2, 0x7f800000
	v_cndmask_b32_e32 v1, v1, v2, vcc
	v_cmp_eq_u32_e32 vcc, 0, v3
	v_mov_b32_e32 v2, 0x7f800001
	v_cndmask_b32_e32 v2, v2, v1, vcc
; %bb.26411:                            ;   in Loop: Header=BB6_25823 Depth=3
	s_or_b64 exec, exec, s[36:37]
.LBB6_26412:                            ;   in Loop: Header=BB6_25823 Depth=3
	s_or_b64 exec, exec, s[34:35]
.LBB6_26413:                            ;   in Loop: Header=BB6_25823 Depth=3
	s_or_b64 exec, exec, s[28:29]
	v_mul_f32_e32 v3, v4, v2
	v_and_b32_e32 v5, 0x7f800000, v3
	v_mov_b32_e32 v6, v33
	v_cmp_ne_u64_e32 vcc, s[76:77], v[5:6]
	v_and_b32_e32 v1, 0x7fffff, v3
	v_mov_b32_e32 v2, v33
                                        ; implicit-def: $vgpr5
	buffer_store_dword v5, off, s[0:3], s33 offset:188 ; 4-byte Folded Spill
	s_nop 0
	buffer_store_dword v6, off, s[0:3], s33 offset:192 ; 4-byte Folded Spill
	s_and_saveexec_b64 s[28:29], vcc
	s_xor_b64 s[34:35], exec, s[28:29]
	s_cbranch_execz .LBB6_26431
; %bb.26414:                            ;   in Loop: Header=BB6_25823 Depth=3
	v_and_b32_e32 v5, 0x7fffffff, v3
	v_mov_b32_e32 v6, v33
	v_cmp_gt_u64_e32 vcc, s[78:79], v[5:6]
	v_and_b32_sdwa v5, v3, s97 dst_sel:DWORD dst_unused:UNUSED_PAD src0_sel:BYTE_3 src1_sel:DWORD
                                        ; implicit-def: $vgpr6
	buffer_store_dword v6, off, s[0:3], s33 offset:188 ; 4-byte Folded Spill
	s_nop 0
	buffer_store_dword v7, off, s[0:3], s33 offset:192 ; 4-byte Folded Spill
	s_and_saveexec_b64 s[28:29], vcc
	s_xor_b64 s[36:37], exec, s[28:29]
	s_cbranch_execz .LBB6_26428
; %bb.26415:                            ;   in Loop: Header=BB6_25823 Depth=3
	v_cmp_ne_u32_e32 vcc, 0, v3
	v_mov_b32_e32 v6, 0
	buffer_store_dword v6, off, s[0:3], s33 offset:188 ; 4-byte Folded Spill
	s_nop 0
	buffer_store_dword v7, off, s[0:3], s33 offset:192 ; 4-byte Folded Spill
	s_and_saveexec_b64 s[38:39], vcc
	s_cbranch_execz .LBB6_26427
; %bb.26416:                            ;   in Loop: Header=BB6_25823 Depth=3
	v_bfe_u32 v6, v3, 23, 8
	v_cmp_gt_u32_e64 s[28:29], s47, v6
	v_sub_u32_e32 v3, 0x71, v6
	v_cmp_eq_u32_e32 vcc, 0, v6
	v_cndmask_b32_e64 v3, 0, v3, s[28:29]
	v_mov_b32_e32 v7, 0x70
	v_cndmask_b32_e32 v7, v3, v7, vcc
	v_or_b32_e32 v14, 0x800000, v1
	v_add_u32_e32 v3, 21, v7
	v_cndmask_b32_e32 v1, v14, v1, vcc
	v_lshlrev_b64 v[14:15], v3, -1
	v_add_u32_e32 v3, 20, v7
	v_bfi_b32 v14, v14, 0, v1
	v_lshlrev_b64 v[17:18], v3, 1
	v_lshrrev_b64 v[1:2], v7, v[1:2]
	v_bfi_b32 v15, v15, 0, 0
	v_cmp_eq_u64_e64 s[28:29], v[14:15], v[17:18]
	v_mov_b32_e32 v3, v2
	v_mov_b32_e32 v2, v1
	s_and_saveexec_b64 s[48:49], s[28:29]
; %bb.26417:                            ;   in Loop: Header=BB6_25823 Depth=3
	v_bfe_u32 v2, v1, 21, 1
	v_add_co_u32_e64 v2, s[28:29], v1, v2
	v_add_co_u32_e64 v2, s[28:29], -1, v2
; %bb.26418:                            ;   in Loop: Header=BB6_25823 Depth=3
	s_or_b64 exec, exec, s[48:49]
	v_add_u32_e32 v3, 0xffffff81, v6
	v_mov_b32_e32 v6, 0xffffff82
	v_cndmask_b32_e32 v3, v3, v6, vcc
	v_lshrrev_b32_e32 v6, 23, v1
	v_add3_u32 v7, v7, v3, v6
	v_add_u32_e32 v6, 14, v7
	v_and_b32_e32 v2, 0x1fffff, v2
	v_add_u32_e32 v1, v2, v1
	v_mov_b32_e32 v2, v33
	v_cmp_ne_u32_e32 vcc, 0, v6
                                        ; implicit-def: $vgpr3
	s_and_saveexec_b64 s[28:29], vcc
	s_xor_b64 s[28:29], exec, s[28:29]
; %bb.26419:                            ;   in Loop: Header=BB6_25823 Depth=3
	v_cmp_lt_u64_e32 vcc, s[88:89], v[1:2]
	v_add_u32_e32 v3, 15, v7
	v_cndmask_b32_e32 v3, v6, v3, vcc
	v_cndmask_b32_e64 v6, 0, 1, vcc
	v_lshrrev_b64 v[1:2], v6, v[1:2]
; %bb.26420:                            ;   in Loop: Header=BB6_25823 Depth=3
	s_andn2_saveexec_b64 s[28:29], s[28:29]
; %bb.26421:                            ;   in Loop: Header=BB6_25823 Depth=3
	v_bfe_u32 v3, v1, 23, 1
; %bb.26422:                            ;   in Loop: Header=BB6_25823 Depth=3
	s_or_b64 exec, exec, s[28:29]
	v_lshrrev_b64 v[1:2], 21, v[1:2]
	v_cmp_gt_i32_e32 vcc, 32, v3
	v_cndmask_b32_e32 v2, 0, v2, vcc
	v_cndmask_b32_e32 v1, 3, v1, vcc
	v_cmp_ne_u64_e32 vcc, 0, v[1:2]
	v_cmp_ne_u32_e64 s[28:29], 0, v3
	s_or_b64 s[28:29], s[28:29], vcc
                                        ; implicit-def: $vgpr2
	buffer_store_dword v2, off, s[0:3], s33 offset:188 ; 4-byte Folded Spill
	s_nop 0
	buffer_store_dword v3, off, s[0:3], s33 offset:192 ; 4-byte Folded Spill
	s_and_saveexec_b64 s[62:63], s[28:29]
	s_xor_b64 s[28:29], exec, s[62:63]
	s_cbranch_execz .LBB6_26424
; %bb.26423:                            ;   in Loop: Header=BB6_25823 Depth=3
	v_min_i32_e32 v2, 31, v3
	v_lshl_or_b32 v2, v2, 2, v5
	v_and_or_b32 v1, v1, 3, v2
	buffer_store_dword v1, off, s[0:3], s33 offset:188 ; 4-byte Folded Spill
	s_nop 0
	buffer_store_dword v2, off, s[0:3], s33 offset:192 ; 4-byte Folded Spill
                                        ; implicit-def: $vgpr5
.LBB6_26424:                            ;   in Loop: Header=BB6_25823 Depth=3
	s_andn2_saveexec_b64 s[28:29], s[28:29]
	s_cbranch_execz .LBB6_26426
; %bb.26425:                            ;   in Loop: Header=BB6_25823 Depth=3
	v_mov_b32_e32 v1, v5
	buffer_store_dword v1, off, s[0:3], s33 offset:188 ; 4-byte Folded Spill
	s_nop 0
	buffer_store_dword v2, off, s[0:3], s33 offset:192 ; 4-byte Folded Spill
.LBB6_26426:                            ;   in Loop: Header=BB6_25823 Depth=3
	s_or_b64 exec, exec, s[28:29]
.LBB6_26427:                            ;   in Loop: Header=BB6_25823 Depth=3
	s_or_b64 exec, exec, s[38:39]
                                        ; implicit-def: $vgpr5
.LBB6_26428:                            ;   in Loop: Header=BB6_25823 Depth=3
	s_andn2_saveexec_b64 s[28:29], s[36:37]
	s_cbranch_execz .LBB6_26430
; %bb.26429:                            ;   in Loop: Header=BB6_25823 Depth=3
	v_or_b32_e32 v1, 0x7b, v5
	buffer_store_dword v1, off, s[0:3], s33 offset:188 ; 4-byte Folded Spill
	s_nop 0
	buffer_store_dword v2, off, s[0:3], s33 offset:192 ; 4-byte Folded Spill
.LBB6_26430:                            ;   in Loop: Header=BB6_25823 Depth=3
	s_or_b64 exec, exec, s[28:29]
                                        ; implicit-def: $vgpr3
                                        ; implicit-def: $vgpr1_vgpr2
.LBB6_26431:                            ;   in Loop: Header=BB6_25823 Depth=3
	s_andn2_saveexec_b64 s[28:29], s[34:35]
	s_cbranch_execz .LBB6_26437
; %bb.26432:                            ;   in Loop: Header=BB6_25823 Depth=3
	v_cmp_ne_u64_e32 vcc, 0, v[1:2]
                                        ; implicit-def: $vgpr1
	buffer_store_dword v1, off, s[0:3], s33 offset:188 ; 4-byte Folded Spill
	s_nop 0
	buffer_store_dword v2, off, s[0:3], s33 offset:192 ; 4-byte Folded Spill
	s_and_saveexec_b64 s[62:63], vcc
	s_xor_b64 vcc, exec, s[62:63]
	s_cbranch_execz .LBB6_26434
; %bb.26433:                            ;   in Loop: Header=BB6_25823 Depth=3
	v_or_b32_sdwa v1, v3, s44 dst_sel:DWORD dst_unused:UNUSED_PAD src0_sel:BYTE_3 src1_sel:DWORD
	buffer_store_dword v1, off, s[0:3], s33 offset:188 ; 4-byte Folded Spill
	s_nop 0
	buffer_store_dword v2, off, s[0:3], s33 offset:192 ; 4-byte Folded Spill
                                        ; implicit-def: $vgpr3
.LBB6_26434:                            ;   in Loop: Header=BB6_25823 Depth=3
	s_andn2_saveexec_b64 s[34:35], vcc
	s_cbranch_execz .LBB6_26436
; %bb.26435:                            ;   in Loop: Header=BB6_25823 Depth=3
	v_cmp_lt_i32_e32 vcc, -1, v3
	v_mov_b32_e32 v1, 0x7c
	v_cndmask_b32_e32 v1, -4, v1, vcc
	buffer_store_dword v1, off, s[0:3], s33 offset:188 ; 4-byte Folded Spill
	s_nop 0
	buffer_store_dword v2, off, s[0:3], s33 offset:192 ; 4-byte Folded Spill
.LBB6_26436:                            ;   in Loop: Header=BB6_25823 Depth=3
	s_or_b64 exec, exec, s[34:35]
.LBB6_26437:                            ;   in Loop: Header=BB6_25823 Depth=3
	s_or_b64 exec, exec, s[28:29]
	flat_load_sbyte v1, v[8:9] offset:1216 glc slc
	v_mov_b32_e32 v2, 0
	s_waitcnt vmcnt(0) lgkmcnt(0)
	v_cmp_ne_u16_e32 vcc, 0, v1
	s_and_saveexec_b64 s[28:29], vcc
	s_cbranch_execz .LBB6_26445
; %bb.26438:                            ;   in Loop: Header=BB6_25823 Depth=3
	v_cmp_ne_u16_e32 vcc, s46, v1
	v_bfrev_b32_e32 v2, 1
	s_and_saveexec_b64 s[34:35], vcc
	s_cbranch_execz .LBB6_26444
; %bb.26439:                            ;   in Loop: Header=BB6_25823 Depth=3
	v_and_b32_e32 v2, 0x7c, v1
	v_and_b32_e32 v3, 3, v1
	v_cmp_ne_u32_e32 vcc, s86, v2
                                        ; implicit-def: $vgpr2
	s_and_saveexec_b64 s[62:63], vcc
	s_xor_b64 s[36:37], exec, s[62:63]
	s_cbranch_execz .LBB6_26441
; %bb.26440:                            ;   in Loop: Header=BB6_25823 Depth=3
	v_and_b32_e32 v5, 0xff, v1
	v_bfe_u32 v7, v5, 2, 5
	v_ffbh_u32_e32 v5, v3
	v_min_u32_e32 v14, 32, v5
	v_mov_b32_e32 v2, v33
	v_subrev_u32_e32 v5, 29, v14
	v_lshlrev_b64 v[5:6], v5, v[1:2]
	v_sub_u32_e32 v2, 30, v14
	v_cmp_eq_u32_e32 vcc, 0, v7
	v_and_b32_e32 v5, 3, v5
	v_cndmask_b32_e32 v2, v7, v2, vcc
	v_and_b32_sdwa v1, sext(v1), s87 dst_sel:DWORD dst_unused:UNUSED_PAD src0_sel:WORD_0 src1_sel:DWORD
	v_cndmask_b32_e32 v3, v3, v5, vcc
	v_lshl_add_u32 v1, v2, 23, v1
	v_lshl_or_b32 v1, v3, 21, v1
	v_add_u32_e32 v2, 0x38000000, v1
                                        ; implicit-def: $vgpr3
                                        ; implicit-def: $vgpr1
.LBB6_26441:                            ;   in Loop: Header=BB6_25823 Depth=3
	s_andn2_saveexec_b64 s[36:37], s[36:37]
; %bb.26442:                            ;   in Loop: Header=BB6_25823 Depth=3
	v_cmp_lt_i16_e32 vcc, -1, v1
	v_mov_b32_e32 v1, 0xff800000
	v_mov_b32_e32 v2, 0x7f800000
	v_cndmask_b32_e32 v1, v1, v2, vcc
	v_cmp_eq_u32_e32 vcc, 0, v3
	v_mov_b32_e32 v2, 0x7f800001
	v_cndmask_b32_e32 v2, v2, v1, vcc
; %bb.26443:                            ;   in Loop: Header=BB6_25823 Depth=3
	s_or_b64 exec, exec, s[36:37]
.LBB6_26444:                            ;   in Loop: Header=BB6_25823 Depth=3
	s_or_b64 exec, exec, s[34:35]
.LBB6_26445:                            ;   in Loop: Header=BB6_25823 Depth=3
	s_or_b64 exec, exec, s[28:29]
	v_mul_f32_e32 v3, v4, v2
	v_and_b32_e32 v5, 0x7f800000, v3
	v_mov_b32_e32 v6, v33
	v_cmp_ne_u64_e32 vcc, s[76:77], v[5:6]
	v_and_b32_e32 v1, 0x7fffff, v3
	v_mov_b32_e32 v2, v33
                                        ; implicit-def: $vgpr5
	buffer_store_dword v5, off, s[0:3], s33 offset:180 ; 4-byte Folded Spill
	s_nop 0
	buffer_store_dword v6, off, s[0:3], s33 offset:184 ; 4-byte Folded Spill
	s_and_saveexec_b64 s[28:29], vcc
	s_xor_b64 s[34:35], exec, s[28:29]
	s_cbranch_execz .LBB6_26463
; %bb.26446:                            ;   in Loop: Header=BB6_25823 Depth=3
	v_and_b32_e32 v5, 0x7fffffff, v3
	v_mov_b32_e32 v6, v33
	v_cmp_gt_u64_e32 vcc, s[78:79], v[5:6]
	v_and_b32_sdwa v5, v3, s97 dst_sel:DWORD dst_unused:UNUSED_PAD src0_sel:BYTE_3 src1_sel:DWORD
                                        ; implicit-def: $vgpr6
	buffer_store_dword v6, off, s[0:3], s33 offset:180 ; 4-byte Folded Spill
	s_nop 0
	buffer_store_dword v7, off, s[0:3], s33 offset:184 ; 4-byte Folded Spill
	s_and_saveexec_b64 s[28:29], vcc
	s_xor_b64 s[36:37], exec, s[28:29]
	s_cbranch_execz .LBB6_26460
; %bb.26447:                            ;   in Loop: Header=BB6_25823 Depth=3
	v_cmp_ne_u32_e32 vcc, 0, v3
	v_mov_b32_e32 v6, 0
	buffer_store_dword v6, off, s[0:3], s33 offset:180 ; 4-byte Folded Spill
	s_nop 0
	buffer_store_dword v7, off, s[0:3], s33 offset:184 ; 4-byte Folded Spill
	s_and_saveexec_b64 s[38:39], vcc
	s_cbranch_execz .LBB6_26459
; %bb.26448:                            ;   in Loop: Header=BB6_25823 Depth=3
	v_bfe_u32 v6, v3, 23, 8
	v_cmp_gt_u32_e64 s[28:29], s47, v6
	v_sub_u32_e32 v3, 0x71, v6
	v_cmp_eq_u32_e32 vcc, 0, v6
	v_cndmask_b32_e64 v3, 0, v3, s[28:29]
	v_mov_b32_e32 v7, 0x70
	v_cndmask_b32_e32 v7, v3, v7, vcc
	v_or_b32_e32 v14, 0x800000, v1
	v_add_u32_e32 v3, 21, v7
	v_cndmask_b32_e32 v1, v14, v1, vcc
	v_lshlrev_b64 v[14:15], v3, -1
	v_add_u32_e32 v3, 20, v7
	v_bfi_b32 v14, v14, 0, v1
	v_lshlrev_b64 v[17:18], v3, 1
	v_lshrrev_b64 v[1:2], v7, v[1:2]
	v_bfi_b32 v15, v15, 0, 0
	v_cmp_eq_u64_e64 s[28:29], v[14:15], v[17:18]
	v_mov_b32_e32 v3, v2
	v_mov_b32_e32 v2, v1
	s_and_saveexec_b64 s[48:49], s[28:29]
; %bb.26449:                            ;   in Loop: Header=BB6_25823 Depth=3
	v_bfe_u32 v2, v1, 21, 1
	v_add_co_u32_e64 v2, s[28:29], v1, v2
	v_add_co_u32_e64 v2, s[28:29], -1, v2
; %bb.26450:                            ;   in Loop: Header=BB6_25823 Depth=3
	s_or_b64 exec, exec, s[48:49]
	v_add_u32_e32 v3, 0xffffff81, v6
	v_mov_b32_e32 v6, 0xffffff82
	v_cndmask_b32_e32 v3, v3, v6, vcc
	v_lshrrev_b32_e32 v6, 23, v1
	v_add3_u32 v7, v7, v3, v6
	v_add_u32_e32 v6, 14, v7
	v_and_b32_e32 v2, 0x1fffff, v2
	v_add_u32_e32 v1, v2, v1
	v_mov_b32_e32 v2, v33
	v_cmp_ne_u32_e32 vcc, 0, v6
                                        ; implicit-def: $vgpr3
	s_and_saveexec_b64 s[28:29], vcc
	s_xor_b64 s[28:29], exec, s[28:29]
; %bb.26451:                            ;   in Loop: Header=BB6_25823 Depth=3
	v_cmp_lt_u64_e32 vcc, s[88:89], v[1:2]
	v_add_u32_e32 v3, 15, v7
	v_cndmask_b32_e32 v3, v6, v3, vcc
	v_cndmask_b32_e64 v6, 0, 1, vcc
	v_lshrrev_b64 v[1:2], v6, v[1:2]
; %bb.26452:                            ;   in Loop: Header=BB6_25823 Depth=3
	s_andn2_saveexec_b64 s[28:29], s[28:29]
; %bb.26453:                            ;   in Loop: Header=BB6_25823 Depth=3
	v_bfe_u32 v3, v1, 23, 1
; %bb.26454:                            ;   in Loop: Header=BB6_25823 Depth=3
	s_or_b64 exec, exec, s[28:29]
	v_lshrrev_b64 v[1:2], 21, v[1:2]
	v_cmp_gt_i32_e32 vcc, 32, v3
	v_cndmask_b32_e32 v2, 0, v2, vcc
	v_cndmask_b32_e32 v1, 3, v1, vcc
	v_cmp_ne_u64_e32 vcc, 0, v[1:2]
	v_cmp_ne_u32_e64 s[28:29], 0, v3
	s_or_b64 s[28:29], s[28:29], vcc
                                        ; implicit-def: $vgpr2
	buffer_store_dword v2, off, s[0:3], s33 offset:180 ; 4-byte Folded Spill
	s_nop 0
	buffer_store_dword v3, off, s[0:3], s33 offset:184 ; 4-byte Folded Spill
	s_and_saveexec_b64 s[62:63], s[28:29]
	s_xor_b64 s[28:29], exec, s[62:63]
	s_cbranch_execz .LBB6_26456
; %bb.26455:                            ;   in Loop: Header=BB6_25823 Depth=3
	v_min_i32_e32 v2, 31, v3
	v_lshl_or_b32 v2, v2, 2, v5
	v_and_or_b32 v1, v1, 3, v2
	buffer_store_dword v1, off, s[0:3], s33 offset:180 ; 4-byte Folded Spill
	s_nop 0
	buffer_store_dword v2, off, s[0:3], s33 offset:184 ; 4-byte Folded Spill
                                        ; implicit-def: $vgpr5
.LBB6_26456:                            ;   in Loop: Header=BB6_25823 Depth=3
	s_andn2_saveexec_b64 s[28:29], s[28:29]
	s_cbranch_execz .LBB6_26458
; %bb.26457:                            ;   in Loop: Header=BB6_25823 Depth=3
	v_mov_b32_e32 v1, v5
	buffer_store_dword v1, off, s[0:3], s33 offset:180 ; 4-byte Folded Spill
	s_nop 0
	buffer_store_dword v2, off, s[0:3], s33 offset:184 ; 4-byte Folded Spill
.LBB6_26458:                            ;   in Loop: Header=BB6_25823 Depth=3
	s_or_b64 exec, exec, s[28:29]
.LBB6_26459:                            ;   in Loop: Header=BB6_25823 Depth=3
	s_or_b64 exec, exec, s[38:39]
                                        ; implicit-def: $vgpr5
.LBB6_26460:                            ;   in Loop: Header=BB6_25823 Depth=3
	s_andn2_saveexec_b64 s[28:29], s[36:37]
	s_cbranch_execz .LBB6_26462
; %bb.26461:                            ;   in Loop: Header=BB6_25823 Depth=3
	v_or_b32_e32 v1, 0x7b, v5
	buffer_store_dword v1, off, s[0:3], s33 offset:180 ; 4-byte Folded Spill
	s_nop 0
	buffer_store_dword v2, off, s[0:3], s33 offset:184 ; 4-byte Folded Spill
.LBB6_26462:                            ;   in Loop: Header=BB6_25823 Depth=3
	s_or_b64 exec, exec, s[28:29]
                                        ; implicit-def: $vgpr3
                                        ; implicit-def: $vgpr1_vgpr2
.LBB6_26463:                            ;   in Loop: Header=BB6_25823 Depth=3
	s_andn2_saveexec_b64 s[28:29], s[34:35]
	s_cbranch_execz .LBB6_26469
; %bb.26464:                            ;   in Loop: Header=BB6_25823 Depth=3
	v_cmp_ne_u64_e32 vcc, 0, v[1:2]
                                        ; implicit-def: $vgpr1
	buffer_store_dword v1, off, s[0:3], s33 offset:180 ; 4-byte Folded Spill
	s_nop 0
	buffer_store_dword v2, off, s[0:3], s33 offset:184 ; 4-byte Folded Spill
	s_and_saveexec_b64 s[62:63], vcc
	s_xor_b64 vcc, exec, s[62:63]
	s_cbranch_execz .LBB6_26466
; %bb.26465:                            ;   in Loop: Header=BB6_25823 Depth=3
	v_or_b32_sdwa v1, v3, s44 dst_sel:DWORD dst_unused:UNUSED_PAD src0_sel:BYTE_3 src1_sel:DWORD
	buffer_store_dword v1, off, s[0:3], s33 offset:180 ; 4-byte Folded Spill
	s_nop 0
	buffer_store_dword v2, off, s[0:3], s33 offset:184 ; 4-byte Folded Spill
                                        ; implicit-def: $vgpr3
.LBB6_26466:                            ;   in Loop: Header=BB6_25823 Depth=3
	s_andn2_saveexec_b64 s[34:35], vcc
	s_cbranch_execz .LBB6_26468
; %bb.26467:                            ;   in Loop: Header=BB6_25823 Depth=3
	v_cmp_lt_i32_e32 vcc, -1, v3
	v_mov_b32_e32 v1, 0x7c
	v_cndmask_b32_e32 v1, -4, v1, vcc
	buffer_store_dword v1, off, s[0:3], s33 offset:180 ; 4-byte Folded Spill
	s_nop 0
	buffer_store_dword v2, off, s[0:3], s33 offset:184 ; 4-byte Folded Spill
.LBB6_26468:                            ;   in Loop: Header=BB6_25823 Depth=3
	s_or_b64 exec, exec, s[34:35]
.LBB6_26469:                            ;   in Loop: Header=BB6_25823 Depth=3
	s_or_b64 exec, exec, s[28:29]
	flat_load_sbyte v1, v[8:9] offset:1280 glc slc
	v_mov_b32_e32 v2, 0
	s_waitcnt vmcnt(0) lgkmcnt(0)
	v_cmp_ne_u16_e32 vcc, 0, v1
	s_and_saveexec_b64 s[28:29], vcc
	s_cbranch_execz .LBB6_26477
; %bb.26470:                            ;   in Loop: Header=BB6_25823 Depth=3
	v_cmp_ne_u16_e32 vcc, s46, v1
	v_bfrev_b32_e32 v2, 1
	s_and_saveexec_b64 s[34:35], vcc
	s_cbranch_execz .LBB6_26476
; %bb.26471:                            ;   in Loop: Header=BB6_25823 Depth=3
	v_and_b32_e32 v2, 0x7c, v1
	v_and_b32_e32 v3, 3, v1
	v_cmp_ne_u32_e32 vcc, s86, v2
                                        ; implicit-def: $vgpr2
	s_and_saveexec_b64 s[62:63], vcc
	s_xor_b64 s[36:37], exec, s[62:63]
	s_cbranch_execz .LBB6_26473
; %bb.26472:                            ;   in Loop: Header=BB6_25823 Depth=3
	v_and_b32_e32 v5, 0xff, v1
	v_bfe_u32 v7, v5, 2, 5
	v_ffbh_u32_e32 v5, v3
	v_min_u32_e32 v14, 32, v5
	v_mov_b32_e32 v2, v33
	v_subrev_u32_e32 v5, 29, v14
	v_lshlrev_b64 v[5:6], v5, v[1:2]
	v_sub_u32_e32 v2, 30, v14
	v_cmp_eq_u32_e32 vcc, 0, v7
	v_and_b32_e32 v5, 3, v5
	v_cndmask_b32_e32 v2, v7, v2, vcc
	v_and_b32_sdwa v1, sext(v1), s87 dst_sel:DWORD dst_unused:UNUSED_PAD src0_sel:WORD_0 src1_sel:DWORD
	v_cndmask_b32_e32 v3, v3, v5, vcc
	v_lshl_add_u32 v1, v2, 23, v1
	v_lshl_or_b32 v1, v3, 21, v1
	v_add_u32_e32 v2, 0x38000000, v1
                                        ; implicit-def: $vgpr3
                                        ; implicit-def: $vgpr1
.LBB6_26473:                            ;   in Loop: Header=BB6_25823 Depth=3
	s_andn2_saveexec_b64 s[36:37], s[36:37]
; %bb.26474:                            ;   in Loop: Header=BB6_25823 Depth=3
	v_cmp_lt_i16_e32 vcc, -1, v1
	v_mov_b32_e32 v1, 0xff800000
	v_mov_b32_e32 v2, 0x7f800000
	v_cndmask_b32_e32 v1, v1, v2, vcc
	v_cmp_eq_u32_e32 vcc, 0, v3
	v_mov_b32_e32 v2, 0x7f800001
	v_cndmask_b32_e32 v2, v2, v1, vcc
; %bb.26475:                            ;   in Loop: Header=BB6_25823 Depth=3
	s_or_b64 exec, exec, s[36:37]
.LBB6_26476:                            ;   in Loop: Header=BB6_25823 Depth=3
	s_or_b64 exec, exec, s[34:35]
.LBB6_26477:                            ;   in Loop: Header=BB6_25823 Depth=3
	s_or_b64 exec, exec, s[28:29]
	v_mul_f32_e32 v3, v4, v2
	v_and_b32_e32 v5, 0x7f800000, v3
	v_mov_b32_e32 v6, v33
	v_cmp_ne_u64_e32 vcc, s[76:77], v[5:6]
	v_and_b32_e32 v1, 0x7fffff, v3
	v_mov_b32_e32 v2, v33
                                        ; implicit-def: $vgpr5
	buffer_store_dword v5, off, s[0:3], s33 offset:172 ; 4-byte Folded Spill
	s_nop 0
	buffer_store_dword v6, off, s[0:3], s33 offset:176 ; 4-byte Folded Spill
	s_and_saveexec_b64 s[28:29], vcc
	s_xor_b64 s[34:35], exec, s[28:29]
	s_cbranch_execz .LBB6_26495
; %bb.26478:                            ;   in Loop: Header=BB6_25823 Depth=3
	v_and_b32_e32 v5, 0x7fffffff, v3
	v_mov_b32_e32 v6, v33
	v_cmp_gt_u64_e32 vcc, s[78:79], v[5:6]
	v_and_b32_sdwa v5, v3, s97 dst_sel:DWORD dst_unused:UNUSED_PAD src0_sel:BYTE_3 src1_sel:DWORD
                                        ; implicit-def: $vgpr6
	buffer_store_dword v6, off, s[0:3], s33 offset:172 ; 4-byte Folded Spill
	s_nop 0
	buffer_store_dword v7, off, s[0:3], s33 offset:176 ; 4-byte Folded Spill
	s_and_saveexec_b64 s[28:29], vcc
	s_xor_b64 s[36:37], exec, s[28:29]
	s_cbranch_execz .LBB6_26492
; %bb.26479:                            ;   in Loop: Header=BB6_25823 Depth=3
	v_cmp_ne_u32_e32 vcc, 0, v3
	v_mov_b32_e32 v6, 0
	buffer_store_dword v6, off, s[0:3], s33 offset:172 ; 4-byte Folded Spill
	s_nop 0
	buffer_store_dword v7, off, s[0:3], s33 offset:176 ; 4-byte Folded Spill
	s_and_saveexec_b64 s[38:39], vcc
	s_cbranch_execz .LBB6_26491
; %bb.26480:                            ;   in Loop: Header=BB6_25823 Depth=3
	v_bfe_u32 v6, v3, 23, 8
	v_cmp_gt_u32_e64 s[28:29], s47, v6
	v_sub_u32_e32 v3, 0x71, v6
	v_cmp_eq_u32_e32 vcc, 0, v6
	v_cndmask_b32_e64 v3, 0, v3, s[28:29]
	v_mov_b32_e32 v7, 0x70
	v_cndmask_b32_e32 v7, v3, v7, vcc
	v_or_b32_e32 v14, 0x800000, v1
	v_add_u32_e32 v3, 21, v7
	v_cndmask_b32_e32 v1, v14, v1, vcc
	v_lshlrev_b64 v[14:15], v3, -1
	v_add_u32_e32 v3, 20, v7
	v_bfi_b32 v14, v14, 0, v1
	v_lshlrev_b64 v[17:18], v3, 1
	v_lshrrev_b64 v[1:2], v7, v[1:2]
	v_bfi_b32 v15, v15, 0, 0
	v_cmp_eq_u64_e64 s[28:29], v[14:15], v[17:18]
	v_mov_b32_e32 v3, v2
	v_mov_b32_e32 v2, v1
	s_and_saveexec_b64 s[48:49], s[28:29]
; %bb.26481:                            ;   in Loop: Header=BB6_25823 Depth=3
	v_bfe_u32 v2, v1, 21, 1
	v_add_co_u32_e64 v2, s[28:29], v1, v2
	v_add_co_u32_e64 v2, s[28:29], -1, v2
; %bb.26482:                            ;   in Loop: Header=BB6_25823 Depth=3
	s_or_b64 exec, exec, s[48:49]
	v_add_u32_e32 v3, 0xffffff81, v6
	v_mov_b32_e32 v6, 0xffffff82
	v_cndmask_b32_e32 v3, v3, v6, vcc
	v_lshrrev_b32_e32 v6, 23, v1
	v_add3_u32 v7, v7, v3, v6
	v_add_u32_e32 v6, 14, v7
	v_and_b32_e32 v2, 0x1fffff, v2
	v_add_u32_e32 v1, v2, v1
	v_mov_b32_e32 v2, v33
	v_cmp_ne_u32_e32 vcc, 0, v6
                                        ; implicit-def: $vgpr3
	s_and_saveexec_b64 s[28:29], vcc
	s_xor_b64 s[28:29], exec, s[28:29]
; %bb.26483:                            ;   in Loop: Header=BB6_25823 Depth=3
	v_cmp_lt_u64_e32 vcc, s[88:89], v[1:2]
	v_add_u32_e32 v3, 15, v7
	v_cndmask_b32_e32 v3, v6, v3, vcc
	v_cndmask_b32_e64 v6, 0, 1, vcc
	v_lshrrev_b64 v[1:2], v6, v[1:2]
; %bb.26484:                            ;   in Loop: Header=BB6_25823 Depth=3
	s_andn2_saveexec_b64 s[28:29], s[28:29]
; %bb.26485:                            ;   in Loop: Header=BB6_25823 Depth=3
	v_bfe_u32 v3, v1, 23, 1
; %bb.26486:                            ;   in Loop: Header=BB6_25823 Depth=3
	s_or_b64 exec, exec, s[28:29]
	v_lshrrev_b64 v[1:2], 21, v[1:2]
	v_cmp_gt_i32_e32 vcc, 32, v3
	v_cndmask_b32_e32 v2, 0, v2, vcc
	v_cndmask_b32_e32 v1, 3, v1, vcc
	v_cmp_ne_u64_e32 vcc, 0, v[1:2]
	v_cmp_ne_u32_e64 s[28:29], 0, v3
	s_or_b64 s[28:29], s[28:29], vcc
                                        ; implicit-def: $vgpr2
	buffer_store_dword v2, off, s[0:3], s33 offset:172 ; 4-byte Folded Spill
	s_nop 0
	buffer_store_dword v3, off, s[0:3], s33 offset:176 ; 4-byte Folded Spill
	s_and_saveexec_b64 s[62:63], s[28:29]
	s_xor_b64 s[28:29], exec, s[62:63]
	s_cbranch_execz .LBB6_26488
; %bb.26487:                            ;   in Loop: Header=BB6_25823 Depth=3
	v_min_i32_e32 v2, 31, v3
	v_lshl_or_b32 v2, v2, 2, v5
	v_and_or_b32 v1, v1, 3, v2
	buffer_store_dword v1, off, s[0:3], s33 offset:172 ; 4-byte Folded Spill
	s_nop 0
	buffer_store_dword v2, off, s[0:3], s33 offset:176 ; 4-byte Folded Spill
                                        ; implicit-def: $vgpr5
.LBB6_26488:                            ;   in Loop: Header=BB6_25823 Depth=3
	s_andn2_saveexec_b64 s[28:29], s[28:29]
	s_cbranch_execz .LBB6_26490
; %bb.26489:                            ;   in Loop: Header=BB6_25823 Depth=3
	v_mov_b32_e32 v1, v5
	buffer_store_dword v1, off, s[0:3], s33 offset:172 ; 4-byte Folded Spill
	s_nop 0
	buffer_store_dword v2, off, s[0:3], s33 offset:176 ; 4-byte Folded Spill
.LBB6_26490:                            ;   in Loop: Header=BB6_25823 Depth=3
	s_or_b64 exec, exec, s[28:29]
.LBB6_26491:                            ;   in Loop: Header=BB6_25823 Depth=3
	s_or_b64 exec, exec, s[38:39]
                                        ; implicit-def: $vgpr5
.LBB6_26492:                            ;   in Loop: Header=BB6_25823 Depth=3
	s_andn2_saveexec_b64 s[28:29], s[36:37]
	s_cbranch_execz .LBB6_26494
; %bb.26493:                            ;   in Loop: Header=BB6_25823 Depth=3
	v_or_b32_e32 v1, 0x7b, v5
	buffer_store_dword v1, off, s[0:3], s33 offset:172 ; 4-byte Folded Spill
	s_nop 0
	buffer_store_dword v2, off, s[0:3], s33 offset:176 ; 4-byte Folded Spill
.LBB6_26494:                            ;   in Loop: Header=BB6_25823 Depth=3
	s_or_b64 exec, exec, s[28:29]
                                        ; implicit-def: $vgpr3
                                        ; implicit-def: $vgpr1_vgpr2
.LBB6_26495:                            ;   in Loop: Header=BB6_25823 Depth=3
	s_andn2_saveexec_b64 s[28:29], s[34:35]
	s_cbranch_execz .LBB6_26501
; %bb.26496:                            ;   in Loop: Header=BB6_25823 Depth=3
	v_cmp_ne_u64_e32 vcc, 0, v[1:2]
                                        ; implicit-def: $vgpr1
	buffer_store_dword v1, off, s[0:3], s33 offset:172 ; 4-byte Folded Spill
	s_nop 0
	buffer_store_dword v2, off, s[0:3], s33 offset:176 ; 4-byte Folded Spill
	s_and_saveexec_b64 s[62:63], vcc
	s_xor_b64 vcc, exec, s[62:63]
	s_cbranch_execz .LBB6_26498
; %bb.26497:                            ;   in Loop: Header=BB6_25823 Depth=3
	v_or_b32_sdwa v1, v3, s44 dst_sel:DWORD dst_unused:UNUSED_PAD src0_sel:BYTE_3 src1_sel:DWORD
	buffer_store_dword v1, off, s[0:3], s33 offset:172 ; 4-byte Folded Spill
	s_nop 0
	buffer_store_dword v2, off, s[0:3], s33 offset:176 ; 4-byte Folded Spill
                                        ; implicit-def: $vgpr3
.LBB6_26498:                            ;   in Loop: Header=BB6_25823 Depth=3
	s_andn2_saveexec_b64 s[34:35], vcc
	s_cbranch_execz .LBB6_26500
; %bb.26499:                            ;   in Loop: Header=BB6_25823 Depth=3
	v_cmp_lt_i32_e32 vcc, -1, v3
	v_mov_b32_e32 v1, 0x7c
	v_cndmask_b32_e32 v1, -4, v1, vcc
	buffer_store_dword v1, off, s[0:3], s33 offset:172 ; 4-byte Folded Spill
	s_nop 0
	buffer_store_dword v2, off, s[0:3], s33 offset:176 ; 4-byte Folded Spill
.LBB6_26500:                            ;   in Loop: Header=BB6_25823 Depth=3
	s_or_b64 exec, exec, s[34:35]
.LBB6_26501:                            ;   in Loop: Header=BB6_25823 Depth=3
	s_or_b64 exec, exec, s[28:29]
	flat_load_sbyte v1, v[8:9] offset:1344 glc slc
	v_mov_b32_e32 v2, 0
	s_waitcnt vmcnt(0) lgkmcnt(0)
	v_cmp_ne_u16_e32 vcc, 0, v1
	s_and_saveexec_b64 s[28:29], vcc
	s_cbranch_execz .LBB6_26509
; %bb.26502:                            ;   in Loop: Header=BB6_25823 Depth=3
	v_cmp_ne_u16_e32 vcc, s46, v1
	v_bfrev_b32_e32 v2, 1
	s_and_saveexec_b64 s[34:35], vcc
	s_cbranch_execz .LBB6_26508
; %bb.26503:                            ;   in Loop: Header=BB6_25823 Depth=3
	v_and_b32_e32 v2, 0x7c, v1
	v_and_b32_e32 v3, 3, v1
	v_cmp_ne_u32_e32 vcc, s86, v2
                                        ; implicit-def: $vgpr2
	s_and_saveexec_b64 s[62:63], vcc
	s_xor_b64 s[36:37], exec, s[62:63]
	s_cbranch_execz .LBB6_26505
; %bb.26504:                            ;   in Loop: Header=BB6_25823 Depth=3
	v_and_b32_e32 v5, 0xff, v1
	v_bfe_u32 v7, v5, 2, 5
	v_ffbh_u32_e32 v5, v3
	v_min_u32_e32 v14, 32, v5
	v_mov_b32_e32 v2, v33
	v_subrev_u32_e32 v5, 29, v14
	v_lshlrev_b64 v[5:6], v5, v[1:2]
	v_sub_u32_e32 v2, 30, v14
	v_cmp_eq_u32_e32 vcc, 0, v7
	v_and_b32_e32 v5, 3, v5
	v_cndmask_b32_e32 v2, v7, v2, vcc
	v_and_b32_sdwa v1, sext(v1), s87 dst_sel:DWORD dst_unused:UNUSED_PAD src0_sel:WORD_0 src1_sel:DWORD
	v_cndmask_b32_e32 v3, v3, v5, vcc
	v_lshl_add_u32 v1, v2, 23, v1
	v_lshl_or_b32 v1, v3, 21, v1
	v_add_u32_e32 v2, 0x38000000, v1
                                        ; implicit-def: $vgpr3
                                        ; implicit-def: $vgpr1
.LBB6_26505:                            ;   in Loop: Header=BB6_25823 Depth=3
	s_andn2_saveexec_b64 s[36:37], s[36:37]
; %bb.26506:                            ;   in Loop: Header=BB6_25823 Depth=3
	v_cmp_lt_i16_e32 vcc, -1, v1
	v_mov_b32_e32 v1, 0xff800000
	v_mov_b32_e32 v2, 0x7f800000
	v_cndmask_b32_e32 v1, v1, v2, vcc
	v_cmp_eq_u32_e32 vcc, 0, v3
	v_mov_b32_e32 v2, 0x7f800001
	v_cndmask_b32_e32 v2, v2, v1, vcc
; %bb.26507:                            ;   in Loop: Header=BB6_25823 Depth=3
	s_or_b64 exec, exec, s[36:37]
.LBB6_26508:                            ;   in Loop: Header=BB6_25823 Depth=3
	s_or_b64 exec, exec, s[34:35]
.LBB6_26509:                            ;   in Loop: Header=BB6_25823 Depth=3
	s_or_b64 exec, exec, s[28:29]
	v_mul_f32_e32 v3, v4, v2
	v_and_b32_e32 v5, 0x7f800000, v3
	v_mov_b32_e32 v6, v33
	v_cmp_ne_u64_e32 vcc, s[76:77], v[5:6]
	v_and_b32_e32 v1, 0x7fffff, v3
	v_mov_b32_e32 v2, v33
                                        ; implicit-def: $vgpr5
	buffer_store_dword v5, off, s[0:3], s33 offset:164 ; 4-byte Folded Spill
	s_nop 0
	buffer_store_dword v6, off, s[0:3], s33 offset:168 ; 4-byte Folded Spill
	s_and_saveexec_b64 s[28:29], vcc
	s_xor_b64 s[34:35], exec, s[28:29]
	s_cbranch_execz .LBB6_26527
; %bb.26510:                            ;   in Loop: Header=BB6_25823 Depth=3
	v_and_b32_e32 v5, 0x7fffffff, v3
	v_mov_b32_e32 v6, v33
	v_cmp_gt_u64_e32 vcc, s[78:79], v[5:6]
	v_and_b32_sdwa v5, v3, s97 dst_sel:DWORD dst_unused:UNUSED_PAD src0_sel:BYTE_3 src1_sel:DWORD
                                        ; implicit-def: $vgpr6
	buffer_store_dword v6, off, s[0:3], s33 offset:164 ; 4-byte Folded Spill
	s_nop 0
	buffer_store_dword v7, off, s[0:3], s33 offset:168 ; 4-byte Folded Spill
	s_and_saveexec_b64 s[28:29], vcc
	s_xor_b64 s[36:37], exec, s[28:29]
	s_cbranch_execz .LBB6_26524
; %bb.26511:                            ;   in Loop: Header=BB6_25823 Depth=3
	v_cmp_ne_u32_e32 vcc, 0, v3
	v_mov_b32_e32 v6, 0
	buffer_store_dword v6, off, s[0:3], s33 offset:164 ; 4-byte Folded Spill
	s_nop 0
	buffer_store_dword v7, off, s[0:3], s33 offset:168 ; 4-byte Folded Spill
	s_and_saveexec_b64 s[38:39], vcc
	s_cbranch_execz .LBB6_26523
; %bb.26512:                            ;   in Loop: Header=BB6_25823 Depth=3
	v_bfe_u32 v6, v3, 23, 8
	v_cmp_gt_u32_e64 s[28:29], s47, v6
	v_sub_u32_e32 v3, 0x71, v6
	v_cmp_eq_u32_e32 vcc, 0, v6
	v_cndmask_b32_e64 v3, 0, v3, s[28:29]
	v_mov_b32_e32 v7, 0x70
	v_cndmask_b32_e32 v7, v3, v7, vcc
	v_or_b32_e32 v14, 0x800000, v1
	v_add_u32_e32 v3, 21, v7
	v_cndmask_b32_e32 v1, v14, v1, vcc
	v_lshlrev_b64 v[14:15], v3, -1
	v_add_u32_e32 v3, 20, v7
	v_bfi_b32 v14, v14, 0, v1
	v_lshlrev_b64 v[17:18], v3, 1
	v_lshrrev_b64 v[1:2], v7, v[1:2]
	v_bfi_b32 v15, v15, 0, 0
	v_cmp_eq_u64_e64 s[28:29], v[14:15], v[17:18]
	v_mov_b32_e32 v3, v2
	v_mov_b32_e32 v2, v1
	s_and_saveexec_b64 s[48:49], s[28:29]
; %bb.26513:                            ;   in Loop: Header=BB6_25823 Depth=3
	v_bfe_u32 v2, v1, 21, 1
	v_add_co_u32_e64 v2, s[28:29], v1, v2
	v_add_co_u32_e64 v2, s[28:29], -1, v2
; %bb.26514:                            ;   in Loop: Header=BB6_25823 Depth=3
	s_or_b64 exec, exec, s[48:49]
	v_add_u32_e32 v3, 0xffffff81, v6
	v_mov_b32_e32 v6, 0xffffff82
	v_cndmask_b32_e32 v3, v3, v6, vcc
	v_lshrrev_b32_e32 v6, 23, v1
	v_add3_u32 v7, v7, v3, v6
	v_add_u32_e32 v6, 14, v7
	v_and_b32_e32 v2, 0x1fffff, v2
	v_add_u32_e32 v1, v2, v1
	v_mov_b32_e32 v2, v33
	v_cmp_ne_u32_e32 vcc, 0, v6
                                        ; implicit-def: $vgpr3
	s_and_saveexec_b64 s[28:29], vcc
	s_xor_b64 s[28:29], exec, s[28:29]
; %bb.26515:                            ;   in Loop: Header=BB6_25823 Depth=3
	v_cmp_lt_u64_e32 vcc, s[88:89], v[1:2]
	v_add_u32_e32 v3, 15, v7
	v_cndmask_b32_e32 v3, v6, v3, vcc
	v_cndmask_b32_e64 v6, 0, 1, vcc
	v_lshrrev_b64 v[1:2], v6, v[1:2]
; %bb.26516:                            ;   in Loop: Header=BB6_25823 Depth=3
	s_andn2_saveexec_b64 s[28:29], s[28:29]
; %bb.26517:                            ;   in Loop: Header=BB6_25823 Depth=3
	v_bfe_u32 v3, v1, 23, 1
; %bb.26518:                            ;   in Loop: Header=BB6_25823 Depth=3
	s_or_b64 exec, exec, s[28:29]
	v_lshrrev_b64 v[1:2], 21, v[1:2]
	v_cmp_gt_i32_e32 vcc, 32, v3
	v_cndmask_b32_e32 v2, 0, v2, vcc
	v_cndmask_b32_e32 v1, 3, v1, vcc
	v_cmp_ne_u64_e32 vcc, 0, v[1:2]
	v_cmp_ne_u32_e64 s[28:29], 0, v3
	s_or_b64 s[28:29], s[28:29], vcc
                                        ; implicit-def: $vgpr2
	buffer_store_dword v2, off, s[0:3], s33 offset:164 ; 4-byte Folded Spill
	s_nop 0
	buffer_store_dword v3, off, s[0:3], s33 offset:168 ; 4-byte Folded Spill
	s_and_saveexec_b64 s[62:63], s[28:29]
	s_xor_b64 s[28:29], exec, s[62:63]
	s_cbranch_execz .LBB6_26520
; %bb.26519:                            ;   in Loop: Header=BB6_25823 Depth=3
	v_min_i32_e32 v2, 31, v3
	v_lshl_or_b32 v2, v2, 2, v5
	v_and_or_b32 v1, v1, 3, v2
	buffer_store_dword v1, off, s[0:3], s33 offset:164 ; 4-byte Folded Spill
	s_nop 0
	buffer_store_dword v2, off, s[0:3], s33 offset:168 ; 4-byte Folded Spill
                                        ; implicit-def: $vgpr5
.LBB6_26520:                            ;   in Loop: Header=BB6_25823 Depth=3
	s_andn2_saveexec_b64 s[28:29], s[28:29]
	s_cbranch_execz .LBB6_26522
; %bb.26521:                            ;   in Loop: Header=BB6_25823 Depth=3
	v_mov_b32_e32 v1, v5
	buffer_store_dword v1, off, s[0:3], s33 offset:164 ; 4-byte Folded Spill
	s_nop 0
	buffer_store_dword v2, off, s[0:3], s33 offset:168 ; 4-byte Folded Spill
.LBB6_26522:                            ;   in Loop: Header=BB6_25823 Depth=3
	s_or_b64 exec, exec, s[28:29]
.LBB6_26523:                            ;   in Loop: Header=BB6_25823 Depth=3
	s_or_b64 exec, exec, s[38:39]
                                        ; implicit-def: $vgpr5
.LBB6_26524:                            ;   in Loop: Header=BB6_25823 Depth=3
	s_andn2_saveexec_b64 s[28:29], s[36:37]
	s_cbranch_execz .LBB6_26526
; %bb.26525:                            ;   in Loop: Header=BB6_25823 Depth=3
	v_or_b32_e32 v1, 0x7b, v5
	buffer_store_dword v1, off, s[0:3], s33 offset:164 ; 4-byte Folded Spill
	s_nop 0
	buffer_store_dword v2, off, s[0:3], s33 offset:168 ; 4-byte Folded Spill
.LBB6_26526:                            ;   in Loop: Header=BB6_25823 Depth=3
	s_or_b64 exec, exec, s[28:29]
                                        ; implicit-def: $vgpr3
                                        ; implicit-def: $vgpr1_vgpr2
.LBB6_26527:                            ;   in Loop: Header=BB6_25823 Depth=3
	s_andn2_saveexec_b64 s[28:29], s[34:35]
	s_cbranch_execz .LBB6_26533
; %bb.26528:                            ;   in Loop: Header=BB6_25823 Depth=3
	v_cmp_ne_u64_e32 vcc, 0, v[1:2]
                                        ; implicit-def: $vgpr1
	buffer_store_dword v1, off, s[0:3], s33 offset:164 ; 4-byte Folded Spill
	s_nop 0
	buffer_store_dword v2, off, s[0:3], s33 offset:168 ; 4-byte Folded Spill
	s_and_saveexec_b64 s[62:63], vcc
	s_xor_b64 vcc, exec, s[62:63]
	s_cbranch_execz .LBB6_26530
; %bb.26529:                            ;   in Loop: Header=BB6_25823 Depth=3
	v_or_b32_sdwa v1, v3, s44 dst_sel:DWORD dst_unused:UNUSED_PAD src0_sel:BYTE_3 src1_sel:DWORD
	buffer_store_dword v1, off, s[0:3], s33 offset:164 ; 4-byte Folded Spill
	s_nop 0
	buffer_store_dword v2, off, s[0:3], s33 offset:168 ; 4-byte Folded Spill
                                        ; implicit-def: $vgpr3
.LBB6_26530:                            ;   in Loop: Header=BB6_25823 Depth=3
	s_andn2_saveexec_b64 s[34:35], vcc
	s_cbranch_execz .LBB6_26532
; %bb.26531:                            ;   in Loop: Header=BB6_25823 Depth=3
	v_cmp_lt_i32_e32 vcc, -1, v3
	v_mov_b32_e32 v1, 0x7c
	v_cndmask_b32_e32 v1, -4, v1, vcc
	buffer_store_dword v1, off, s[0:3], s33 offset:164 ; 4-byte Folded Spill
	s_nop 0
	buffer_store_dword v2, off, s[0:3], s33 offset:168 ; 4-byte Folded Spill
.LBB6_26532:                            ;   in Loop: Header=BB6_25823 Depth=3
	s_or_b64 exec, exec, s[34:35]
.LBB6_26533:                            ;   in Loop: Header=BB6_25823 Depth=3
	s_or_b64 exec, exec, s[28:29]
	flat_load_sbyte v1, v[8:9] offset:1408 glc slc
	v_mov_b32_e32 v2, 0
	s_waitcnt vmcnt(0) lgkmcnt(0)
	v_cmp_ne_u16_e32 vcc, 0, v1
	s_and_saveexec_b64 s[28:29], vcc
	s_cbranch_execz .LBB6_26541
; %bb.26534:                            ;   in Loop: Header=BB6_25823 Depth=3
	v_cmp_ne_u16_e32 vcc, s46, v1
	v_bfrev_b32_e32 v2, 1
	s_and_saveexec_b64 s[34:35], vcc
	s_cbranch_execz .LBB6_26540
; %bb.26535:                            ;   in Loop: Header=BB6_25823 Depth=3
	v_and_b32_e32 v2, 0x7c, v1
	v_and_b32_e32 v3, 3, v1
	v_cmp_ne_u32_e32 vcc, s86, v2
                                        ; implicit-def: $vgpr2
	s_and_saveexec_b64 s[62:63], vcc
	s_xor_b64 s[36:37], exec, s[62:63]
	s_cbranch_execz .LBB6_26537
; %bb.26536:                            ;   in Loop: Header=BB6_25823 Depth=3
	v_and_b32_e32 v5, 0xff, v1
	v_bfe_u32 v7, v5, 2, 5
	v_ffbh_u32_e32 v5, v3
	v_min_u32_e32 v14, 32, v5
	v_mov_b32_e32 v2, v33
	v_subrev_u32_e32 v5, 29, v14
	v_lshlrev_b64 v[5:6], v5, v[1:2]
	v_sub_u32_e32 v2, 30, v14
	v_cmp_eq_u32_e32 vcc, 0, v7
	v_and_b32_e32 v5, 3, v5
	v_cndmask_b32_e32 v2, v7, v2, vcc
	v_and_b32_sdwa v1, sext(v1), s87 dst_sel:DWORD dst_unused:UNUSED_PAD src0_sel:WORD_0 src1_sel:DWORD
	v_cndmask_b32_e32 v3, v3, v5, vcc
	v_lshl_add_u32 v1, v2, 23, v1
	v_lshl_or_b32 v1, v3, 21, v1
	v_add_u32_e32 v2, 0x38000000, v1
                                        ; implicit-def: $vgpr3
                                        ; implicit-def: $vgpr1
.LBB6_26537:                            ;   in Loop: Header=BB6_25823 Depth=3
	s_andn2_saveexec_b64 s[36:37], s[36:37]
; %bb.26538:                            ;   in Loop: Header=BB6_25823 Depth=3
	v_cmp_lt_i16_e32 vcc, -1, v1
	v_mov_b32_e32 v1, 0xff800000
	v_mov_b32_e32 v2, 0x7f800000
	v_cndmask_b32_e32 v1, v1, v2, vcc
	v_cmp_eq_u32_e32 vcc, 0, v3
	v_mov_b32_e32 v2, 0x7f800001
	v_cndmask_b32_e32 v2, v2, v1, vcc
; %bb.26539:                            ;   in Loop: Header=BB6_25823 Depth=3
	s_or_b64 exec, exec, s[36:37]
.LBB6_26540:                            ;   in Loop: Header=BB6_25823 Depth=3
	s_or_b64 exec, exec, s[34:35]
.LBB6_26541:                            ;   in Loop: Header=BB6_25823 Depth=3
	s_or_b64 exec, exec, s[28:29]
	v_mul_f32_e32 v3, v4, v2
	v_and_b32_e32 v5, 0x7f800000, v3
	v_mov_b32_e32 v6, v33
	v_cmp_ne_u64_e32 vcc, s[76:77], v[5:6]
	v_and_b32_e32 v1, 0x7fffff, v3
	v_mov_b32_e32 v2, v33
                                        ; implicit-def: $vgpr5
	buffer_store_dword v5, off, s[0:3], s33 offset:156 ; 4-byte Folded Spill
	s_nop 0
	buffer_store_dword v6, off, s[0:3], s33 offset:160 ; 4-byte Folded Spill
	s_and_saveexec_b64 s[28:29], vcc
	s_xor_b64 s[34:35], exec, s[28:29]
	s_cbranch_execz .LBB6_26559
; %bb.26542:                            ;   in Loop: Header=BB6_25823 Depth=3
	v_and_b32_e32 v5, 0x7fffffff, v3
	v_mov_b32_e32 v6, v33
	v_cmp_gt_u64_e32 vcc, s[78:79], v[5:6]
	v_and_b32_sdwa v5, v3, s97 dst_sel:DWORD dst_unused:UNUSED_PAD src0_sel:BYTE_3 src1_sel:DWORD
                                        ; implicit-def: $vgpr6
	buffer_store_dword v6, off, s[0:3], s33 offset:156 ; 4-byte Folded Spill
	s_nop 0
	buffer_store_dword v7, off, s[0:3], s33 offset:160 ; 4-byte Folded Spill
	s_and_saveexec_b64 s[28:29], vcc
	s_xor_b64 s[36:37], exec, s[28:29]
	s_cbranch_execz .LBB6_26556
; %bb.26543:                            ;   in Loop: Header=BB6_25823 Depth=3
	v_cmp_ne_u32_e32 vcc, 0, v3
	v_mov_b32_e32 v6, 0
	buffer_store_dword v6, off, s[0:3], s33 offset:156 ; 4-byte Folded Spill
	s_nop 0
	buffer_store_dword v7, off, s[0:3], s33 offset:160 ; 4-byte Folded Spill
	s_and_saveexec_b64 s[38:39], vcc
	s_cbranch_execz .LBB6_26555
; %bb.26544:                            ;   in Loop: Header=BB6_25823 Depth=3
	v_bfe_u32 v6, v3, 23, 8
	v_cmp_gt_u32_e64 s[28:29], s47, v6
	v_sub_u32_e32 v3, 0x71, v6
	v_cmp_eq_u32_e32 vcc, 0, v6
	v_cndmask_b32_e64 v3, 0, v3, s[28:29]
	v_mov_b32_e32 v7, 0x70
	v_cndmask_b32_e32 v7, v3, v7, vcc
	v_or_b32_e32 v14, 0x800000, v1
	v_add_u32_e32 v3, 21, v7
	v_cndmask_b32_e32 v1, v14, v1, vcc
	v_lshlrev_b64 v[14:15], v3, -1
	v_add_u32_e32 v3, 20, v7
	v_bfi_b32 v14, v14, 0, v1
	v_lshlrev_b64 v[17:18], v3, 1
	v_lshrrev_b64 v[1:2], v7, v[1:2]
	v_bfi_b32 v15, v15, 0, 0
	v_cmp_eq_u64_e64 s[28:29], v[14:15], v[17:18]
	v_mov_b32_e32 v3, v2
	v_mov_b32_e32 v2, v1
	s_and_saveexec_b64 s[48:49], s[28:29]
; %bb.26545:                            ;   in Loop: Header=BB6_25823 Depth=3
	v_bfe_u32 v2, v1, 21, 1
	v_add_co_u32_e64 v2, s[28:29], v1, v2
	v_add_co_u32_e64 v2, s[28:29], -1, v2
; %bb.26546:                            ;   in Loop: Header=BB6_25823 Depth=3
	s_or_b64 exec, exec, s[48:49]
	v_add_u32_e32 v3, 0xffffff81, v6
	v_mov_b32_e32 v6, 0xffffff82
	v_cndmask_b32_e32 v3, v3, v6, vcc
	v_lshrrev_b32_e32 v6, 23, v1
	v_add3_u32 v7, v7, v3, v6
	v_add_u32_e32 v6, 14, v7
	v_and_b32_e32 v2, 0x1fffff, v2
	v_add_u32_e32 v1, v2, v1
	v_mov_b32_e32 v2, v33
	v_cmp_ne_u32_e32 vcc, 0, v6
                                        ; implicit-def: $vgpr3
	s_and_saveexec_b64 s[28:29], vcc
	s_xor_b64 s[28:29], exec, s[28:29]
; %bb.26547:                            ;   in Loop: Header=BB6_25823 Depth=3
	v_cmp_lt_u64_e32 vcc, s[88:89], v[1:2]
	v_add_u32_e32 v3, 15, v7
	v_cndmask_b32_e32 v3, v6, v3, vcc
	v_cndmask_b32_e64 v6, 0, 1, vcc
	v_lshrrev_b64 v[1:2], v6, v[1:2]
; %bb.26548:                            ;   in Loop: Header=BB6_25823 Depth=3
	s_andn2_saveexec_b64 s[28:29], s[28:29]
; %bb.26549:                            ;   in Loop: Header=BB6_25823 Depth=3
	v_bfe_u32 v3, v1, 23, 1
; %bb.26550:                            ;   in Loop: Header=BB6_25823 Depth=3
	s_or_b64 exec, exec, s[28:29]
	v_lshrrev_b64 v[1:2], 21, v[1:2]
	v_cmp_gt_i32_e32 vcc, 32, v3
	v_cndmask_b32_e32 v2, 0, v2, vcc
	v_cndmask_b32_e32 v1, 3, v1, vcc
	v_cmp_ne_u64_e32 vcc, 0, v[1:2]
	v_cmp_ne_u32_e64 s[28:29], 0, v3
	s_or_b64 s[28:29], s[28:29], vcc
                                        ; implicit-def: $vgpr2
	buffer_store_dword v2, off, s[0:3], s33 offset:156 ; 4-byte Folded Spill
	s_nop 0
	buffer_store_dword v3, off, s[0:3], s33 offset:160 ; 4-byte Folded Spill
	s_and_saveexec_b64 s[62:63], s[28:29]
	s_xor_b64 s[28:29], exec, s[62:63]
	s_cbranch_execz .LBB6_26552
; %bb.26551:                            ;   in Loop: Header=BB6_25823 Depth=3
	v_min_i32_e32 v2, 31, v3
	v_lshl_or_b32 v2, v2, 2, v5
	v_and_or_b32 v1, v1, 3, v2
	buffer_store_dword v1, off, s[0:3], s33 offset:156 ; 4-byte Folded Spill
	s_nop 0
	buffer_store_dword v2, off, s[0:3], s33 offset:160 ; 4-byte Folded Spill
                                        ; implicit-def: $vgpr5
.LBB6_26552:                            ;   in Loop: Header=BB6_25823 Depth=3
	s_andn2_saveexec_b64 s[28:29], s[28:29]
	s_cbranch_execz .LBB6_26554
; %bb.26553:                            ;   in Loop: Header=BB6_25823 Depth=3
	v_mov_b32_e32 v1, v5
	buffer_store_dword v1, off, s[0:3], s33 offset:156 ; 4-byte Folded Spill
	s_nop 0
	buffer_store_dword v2, off, s[0:3], s33 offset:160 ; 4-byte Folded Spill
.LBB6_26554:                            ;   in Loop: Header=BB6_25823 Depth=3
	s_or_b64 exec, exec, s[28:29]
.LBB6_26555:                            ;   in Loop: Header=BB6_25823 Depth=3
	s_or_b64 exec, exec, s[38:39]
                                        ; implicit-def: $vgpr5
.LBB6_26556:                            ;   in Loop: Header=BB6_25823 Depth=3
	s_andn2_saveexec_b64 s[28:29], s[36:37]
	s_cbranch_execz .LBB6_26558
; %bb.26557:                            ;   in Loop: Header=BB6_25823 Depth=3
	v_or_b32_e32 v1, 0x7b, v5
	buffer_store_dword v1, off, s[0:3], s33 offset:156 ; 4-byte Folded Spill
	s_nop 0
	buffer_store_dword v2, off, s[0:3], s33 offset:160 ; 4-byte Folded Spill
.LBB6_26558:                            ;   in Loop: Header=BB6_25823 Depth=3
	s_or_b64 exec, exec, s[28:29]
                                        ; implicit-def: $vgpr3
                                        ; implicit-def: $vgpr1_vgpr2
.LBB6_26559:                            ;   in Loop: Header=BB6_25823 Depth=3
	s_andn2_saveexec_b64 s[28:29], s[34:35]
	s_cbranch_execz .LBB6_26565
; %bb.26560:                            ;   in Loop: Header=BB6_25823 Depth=3
	v_cmp_ne_u64_e32 vcc, 0, v[1:2]
                                        ; implicit-def: $vgpr1
	buffer_store_dword v1, off, s[0:3], s33 offset:156 ; 4-byte Folded Spill
	s_nop 0
	buffer_store_dword v2, off, s[0:3], s33 offset:160 ; 4-byte Folded Spill
	s_and_saveexec_b64 s[62:63], vcc
	s_xor_b64 vcc, exec, s[62:63]
	s_cbranch_execz .LBB6_26562
; %bb.26561:                            ;   in Loop: Header=BB6_25823 Depth=3
	v_or_b32_sdwa v1, v3, s44 dst_sel:DWORD dst_unused:UNUSED_PAD src0_sel:BYTE_3 src1_sel:DWORD
	buffer_store_dword v1, off, s[0:3], s33 offset:156 ; 4-byte Folded Spill
	s_nop 0
	buffer_store_dword v2, off, s[0:3], s33 offset:160 ; 4-byte Folded Spill
                                        ; implicit-def: $vgpr3
.LBB6_26562:                            ;   in Loop: Header=BB6_25823 Depth=3
	s_andn2_saveexec_b64 s[34:35], vcc
	s_cbranch_execz .LBB6_26564
; %bb.26563:                            ;   in Loop: Header=BB6_25823 Depth=3
	v_cmp_lt_i32_e32 vcc, -1, v3
	v_mov_b32_e32 v1, 0x7c
	v_cndmask_b32_e32 v1, -4, v1, vcc
	buffer_store_dword v1, off, s[0:3], s33 offset:156 ; 4-byte Folded Spill
	s_nop 0
	buffer_store_dword v2, off, s[0:3], s33 offset:160 ; 4-byte Folded Spill
.LBB6_26564:                            ;   in Loop: Header=BB6_25823 Depth=3
	s_or_b64 exec, exec, s[34:35]
.LBB6_26565:                            ;   in Loop: Header=BB6_25823 Depth=3
	s_or_b64 exec, exec, s[28:29]
	flat_load_sbyte v1, v[8:9] offset:1472 glc slc
	v_mov_b32_e32 v2, 0
	s_waitcnt vmcnt(0) lgkmcnt(0)
	v_cmp_ne_u16_e32 vcc, 0, v1
	s_and_saveexec_b64 s[28:29], vcc
	s_cbranch_execz .LBB6_26573
; %bb.26566:                            ;   in Loop: Header=BB6_25823 Depth=3
	v_cmp_ne_u16_e32 vcc, s46, v1
	v_bfrev_b32_e32 v2, 1
	s_and_saveexec_b64 s[34:35], vcc
	s_cbranch_execz .LBB6_26572
; %bb.26567:                            ;   in Loop: Header=BB6_25823 Depth=3
	v_and_b32_e32 v2, 0x7c, v1
	v_and_b32_e32 v3, 3, v1
	v_cmp_ne_u32_e32 vcc, s86, v2
                                        ; implicit-def: $vgpr2
	s_and_saveexec_b64 s[62:63], vcc
	s_xor_b64 s[36:37], exec, s[62:63]
	s_cbranch_execz .LBB6_26569
; %bb.26568:                            ;   in Loop: Header=BB6_25823 Depth=3
	v_and_b32_e32 v5, 0xff, v1
	v_bfe_u32 v7, v5, 2, 5
	v_ffbh_u32_e32 v5, v3
	v_min_u32_e32 v14, 32, v5
	v_mov_b32_e32 v2, v33
	v_subrev_u32_e32 v5, 29, v14
	v_lshlrev_b64 v[5:6], v5, v[1:2]
	v_sub_u32_e32 v2, 30, v14
	v_cmp_eq_u32_e32 vcc, 0, v7
	v_and_b32_e32 v5, 3, v5
	v_cndmask_b32_e32 v2, v7, v2, vcc
	v_and_b32_sdwa v1, sext(v1), s87 dst_sel:DWORD dst_unused:UNUSED_PAD src0_sel:WORD_0 src1_sel:DWORD
	v_cndmask_b32_e32 v3, v3, v5, vcc
	v_lshl_add_u32 v1, v2, 23, v1
	v_lshl_or_b32 v1, v3, 21, v1
	v_add_u32_e32 v2, 0x38000000, v1
                                        ; implicit-def: $vgpr3
                                        ; implicit-def: $vgpr1
.LBB6_26569:                            ;   in Loop: Header=BB6_25823 Depth=3
	s_andn2_saveexec_b64 s[36:37], s[36:37]
; %bb.26570:                            ;   in Loop: Header=BB6_25823 Depth=3
	v_cmp_lt_i16_e32 vcc, -1, v1
	v_mov_b32_e32 v1, 0xff800000
	v_mov_b32_e32 v2, 0x7f800000
	v_cndmask_b32_e32 v1, v1, v2, vcc
	v_cmp_eq_u32_e32 vcc, 0, v3
	v_mov_b32_e32 v2, 0x7f800001
	v_cndmask_b32_e32 v2, v2, v1, vcc
; %bb.26571:                            ;   in Loop: Header=BB6_25823 Depth=3
	s_or_b64 exec, exec, s[36:37]
.LBB6_26572:                            ;   in Loop: Header=BB6_25823 Depth=3
	s_or_b64 exec, exec, s[34:35]
.LBB6_26573:                            ;   in Loop: Header=BB6_25823 Depth=3
	s_or_b64 exec, exec, s[28:29]
	v_mul_f32_e32 v3, v4, v2
	v_and_b32_e32 v5, 0x7f800000, v3
	v_mov_b32_e32 v6, v33
	v_cmp_ne_u64_e32 vcc, s[76:77], v[5:6]
	v_and_b32_e32 v1, 0x7fffff, v3
	v_mov_b32_e32 v2, v33
                                        ; implicit-def: $vgpr5
	buffer_store_dword v5, off, s[0:3], s33 offset:148 ; 4-byte Folded Spill
	s_nop 0
	buffer_store_dword v6, off, s[0:3], s33 offset:152 ; 4-byte Folded Spill
	s_and_saveexec_b64 s[28:29], vcc
	s_xor_b64 s[34:35], exec, s[28:29]
	s_cbranch_execz .LBB6_26591
; %bb.26574:                            ;   in Loop: Header=BB6_25823 Depth=3
	v_and_b32_e32 v5, 0x7fffffff, v3
	v_mov_b32_e32 v6, v33
	v_cmp_gt_u64_e32 vcc, s[78:79], v[5:6]
	v_and_b32_sdwa v5, v3, s97 dst_sel:DWORD dst_unused:UNUSED_PAD src0_sel:BYTE_3 src1_sel:DWORD
                                        ; implicit-def: $vgpr6
	buffer_store_dword v6, off, s[0:3], s33 offset:148 ; 4-byte Folded Spill
	s_nop 0
	buffer_store_dword v7, off, s[0:3], s33 offset:152 ; 4-byte Folded Spill
	s_and_saveexec_b64 s[28:29], vcc
	s_xor_b64 s[36:37], exec, s[28:29]
	s_cbranch_execz .LBB6_26588
; %bb.26575:                            ;   in Loop: Header=BB6_25823 Depth=3
	v_cmp_ne_u32_e32 vcc, 0, v3
	v_mov_b32_e32 v6, 0
	buffer_store_dword v6, off, s[0:3], s33 offset:148 ; 4-byte Folded Spill
	s_nop 0
	buffer_store_dword v7, off, s[0:3], s33 offset:152 ; 4-byte Folded Spill
	s_and_saveexec_b64 s[38:39], vcc
	s_cbranch_execz .LBB6_26587
; %bb.26576:                            ;   in Loop: Header=BB6_25823 Depth=3
	v_bfe_u32 v6, v3, 23, 8
	v_cmp_gt_u32_e64 s[28:29], s47, v6
	v_sub_u32_e32 v3, 0x71, v6
	v_cmp_eq_u32_e32 vcc, 0, v6
	v_cndmask_b32_e64 v3, 0, v3, s[28:29]
	v_mov_b32_e32 v7, 0x70
	v_cndmask_b32_e32 v7, v3, v7, vcc
	v_or_b32_e32 v14, 0x800000, v1
	v_add_u32_e32 v3, 21, v7
	v_cndmask_b32_e32 v1, v14, v1, vcc
	v_lshlrev_b64 v[14:15], v3, -1
	v_add_u32_e32 v3, 20, v7
	v_bfi_b32 v14, v14, 0, v1
	v_lshlrev_b64 v[17:18], v3, 1
	v_lshrrev_b64 v[1:2], v7, v[1:2]
	v_bfi_b32 v15, v15, 0, 0
	v_cmp_eq_u64_e64 s[28:29], v[14:15], v[17:18]
	v_mov_b32_e32 v3, v2
	v_mov_b32_e32 v2, v1
	s_and_saveexec_b64 s[48:49], s[28:29]
; %bb.26577:                            ;   in Loop: Header=BB6_25823 Depth=3
	v_bfe_u32 v2, v1, 21, 1
	v_add_co_u32_e64 v2, s[28:29], v1, v2
	v_add_co_u32_e64 v2, s[28:29], -1, v2
; %bb.26578:                            ;   in Loop: Header=BB6_25823 Depth=3
	s_or_b64 exec, exec, s[48:49]
	v_add_u32_e32 v3, 0xffffff81, v6
	v_mov_b32_e32 v6, 0xffffff82
	v_cndmask_b32_e32 v3, v3, v6, vcc
	v_lshrrev_b32_e32 v6, 23, v1
	v_add3_u32 v7, v7, v3, v6
	v_add_u32_e32 v6, 14, v7
	v_and_b32_e32 v2, 0x1fffff, v2
	v_add_u32_e32 v1, v2, v1
	v_mov_b32_e32 v2, v33
	v_cmp_ne_u32_e32 vcc, 0, v6
                                        ; implicit-def: $vgpr3
	s_and_saveexec_b64 s[28:29], vcc
	s_xor_b64 s[28:29], exec, s[28:29]
; %bb.26579:                            ;   in Loop: Header=BB6_25823 Depth=3
	v_cmp_lt_u64_e32 vcc, s[88:89], v[1:2]
	v_add_u32_e32 v3, 15, v7
	v_cndmask_b32_e32 v3, v6, v3, vcc
	v_cndmask_b32_e64 v6, 0, 1, vcc
	v_lshrrev_b64 v[1:2], v6, v[1:2]
; %bb.26580:                            ;   in Loop: Header=BB6_25823 Depth=3
	s_andn2_saveexec_b64 s[28:29], s[28:29]
; %bb.26581:                            ;   in Loop: Header=BB6_25823 Depth=3
	v_bfe_u32 v3, v1, 23, 1
; %bb.26582:                            ;   in Loop: Header=BB6_25823 Depth=3
	s_or_b64 exec, exec, s[28:29]
	v_lshrrev_b64 v[1:2], 21, v[1:2]
	v_cmp_gt_i32_e32 vcc, 32, v3
	v_cndmask_b32_e32 v2, 0, v2, vcc
	v_cndmask_b32_e32 v1, 3, v1, vcc
	v_cmp_ne_u64_e32 vcc, 0, v[1:2]
	v_cmp_ne_u32_e64 s[28:29], 0, v3
	s_or_b64 s[28:29], s[28:29], vcc
                                        ; implicit-def: $vgpr2
	buffer_store_dword v2, off, s[0:3], s33 offset:148 ; 4-byte Folded Spill
	s_nop 0
	buffer_store_dword v3, off, s[0:3], s33 offset:152 ; 4-byte Folded Spill
	s_and_saveexec_b64 s[62:63], s[28:29]
	s_xor_b64 s[28:29], exec, s[62:63]
	s_cbranch_execz .LBB6_26584
; %bb.26583:                            ;   in Loop: Header=BB6_25823 Depth=3
	v_min_i32_e32 v2, 31, v3
	v_lshl_or_b32 v2, v2, 2, v5
	v_and_or_b32 v1, v1, 3, v2
	buffer_store_dword v1, off, s[0:3], s33 offset:148 ; 4-byte Folded Spill
	s_nop 0
	buffer_store_dword v2, off, s[0:3], s33 offset:152 ; 4-byte Folded Spill
                                        ; implicit-def: $vgpr5
.LBB6_26584:                            ;   in Loop: Header=BB6_25823 Depth=3
	s_andn2_saveexec_b64 s[28:29], s[28:29]
	s_cbranch_execz .LBB6_26586
; %bb.26585:                            ;   in Loop: Header=BB6_25823 Depth=3
	v_mov_b32_e32 v1, v5
	buffer_store_dword v1, off, s[0:3], s33 offset:148 ; 4-byte Folded Spill
	s_nop 0
	buffer_store_dword v2, off, s[0:3], s33 offset:152 ; 4-byte Folded Spill
.LBB6_26586:                            ;   in Loop: Header=BB6_25823 Depth=3
	s_or_b64 exec, exec, s[28:29]
.LBB6_26587:                            ;   in Loop: Header=BB6_25823 Depth=3
	s_or_b64 exec, exec, s[38:39]
                                        ; implicit-def: $vgpr5
.LBB6_26588:                            ;   in Loop: Header=BB6_25823 Depth=3
	s_andn2_saveexec_b64 s[28:29], s[36:37]
	s_cbranch_execz .LBB6_26590
; %bb.26589:                            ;   in Loop: Header=BB6_25823 Depth=3
	v_or_b32_e32 v1, 0x7b, v5
	buffer_store_dword v1, off, s[0:3], s33 offset:148 ; 4-byte Folded Spill
	s_nop 0
	buffer_store_dword v2, off, s[0:3], s33 offset:152 ; 4-byte Folded Spill
.LBB6_26590:                            ;   in Loop: Header=BB6_25823 Depth=3
	s_or_b64 exec, exec, s[28:29]
                                        ; implicit-def: $vgpr3
                                        ; implicit-def: $vgpr1_vgpr2
.LBB6_26591:                            ;   in Loop: Header=BB6_25823 Depth=3
	s_andn2_saveexec_b64 s[28:29], s[34:35]
	s_cbranch_execz .LBB6_26597
; %bb.26592:                            ;   in Loop: Header=BB6_25823 Depth=3
	v_cmp_ne_u64_e32 vcc, 0, v[1:2]
                                        ; implicit-def: $vgpr1
	buffer_store_dword v1, off, s[0:3], s33 offset:148 ; 4-byte Folded Spill
	s_nop 0
	buffer_store_dword v2, off, s[0:3], s33 offset:152 ; 4-byte Folded Spill
	s_and_saveexec_b64 s[62:63], vcc
	s_xor_b64 vcc, exec, s[62:63]
	s_cbranch_execz .LBB6_26594
; %bb.26593:                            ;   in Loop: Header=BB6_25823 Depth=3
	v_or_b32_sdwa v1, v3, s44 dst_sel:DWORD dst_unused:UNUSED_PAD src0_sel:BYTE_3 src1_sel:DWORD
	buffer_store_dword v1, off, s[0:3], s33 offset:148 ; 4-byte Folded Spill
	s_nop 0
	buffer_store_dword v2, off, s[0:3], s33 offset:152 ; 4-byte Folded Spill
                                        ; implicit-def: $vgpr3
.LBB6_26594:                            ;   in Loop: Header=BB6_25823 Depth=3
	s_andn2_saveexec_b64 s[34:35], vcc
	s_cbranch_execz .LBB6_26596
; %bb.26595:                            ;   in Loop: Header=BB6_25823 Depth=3
	v_cmp_lt_i32_e32 vcc, -1, v3
	v_mov_b32_e32 v1, 0x7c
	v_cndmask_b32_e32 v1, -4, v1, vcc
	buffer_store_dword v1, off, s[0:3], s33 offset:148 ; 4-byte Folded Spill
	s_nop 0
	buffer_store_dword v2, off, s[0:3], s33 offset:152 ; 4-byte Folded Spill
.LBB6_26596:                            ;   in Loop: Header=BB6_25823 Depth=3
	s_or_b64 exec, exec, s[34:35]
.LBB6_26597:                            ;   in Loop: Header=BB6_25823 Depth=3
	s_or_b64 exec, exec, s[28:29]
	flat_load_sbyte v1, v[8:9] offset:1536 glc slc
	v_mov_b32_e32 v2, 0
	s_waitcnt vmcnt(0) lgkmcnt(0)
	v_cmp_ne_u16_e32 vcc, 0, v1
	s_and_saveexec_b64 s[28:29], vcc
	s_cbranch_execz .LBB6_26605
; %bb.26598:                            ;   in Loop: Header=BB6_25823 Depth=3
	v_cmp_ne_u16_e32 vcc, s46, v1
	v_bfrev_b32_e32 v2, 1
	s_and_saveexec_b64 s[34:35], vcc
	s_cbranch_execz .LBB6_26604
; %bb.26599:                            ;   in Loop: Header=BB6_25823 Depth=3
	v_and_b32_e32 v2, 0x7c, v1
	v_and_b32_e32 v3, 3, v1
	v_cmp_ne_u32_e32 vcc, s86, v2
                                        ; implicit-def: $vgpr2
	s_and_saveexec_b64 s[62:63], vcc
	s_xor_b64 s[36:37], exec, s[62:63]
	s_cbranch_execz .LBB6_26601
; %bb.26600:                            ;   in Loop: Header=BB6_25823 Depth=3
	v_and_b32_e32 v5, 0xff, v1
	v_bfe_u32 v7, v5, 2, 5
	v_ffbh_u32_e32 v5, v3
	v_min_u32_e32 v14, 32, v5
	v_mov_b32_e32 v2, v33
	v_subrev_u32_e32 v5, 29, v14
	v_lshlrev_b64 v[5:6], v5, v[1:2]
	v_sub_u32_e32 v2, 30, v14
	v_cmp_eq_u32_e32 vcc, 0, v7
	v_and_b32_e32 v5, 3, v5
	v_cndmask_b32_e32 v2, v7, v2, vcc
	v_and_b32_sdwa v1, sext(v1), s87 dst_sel:DWORD dst_unused:UNUSED_PAD src0_sel:WORD_0 src1_sel:DWORD
	v_cndmask_b32_e32 v3, v3, v5, vcc
	v_lshl_add_u32 v1, v2, 23, v1
	v_lshl_or_b32 v1, v3, 21, v1
	v_add_u32_e32 v2, 0x38000000, v1
                                        ; implicit-def: $vgpr3
                                        ; implicit-def: $vgpr1
.LBB6_26601:                            ;   in Loop: Header=BB6_25823 Depth=3
	s_andn2_saveexec_b64 s[36:37], s[36:37]
; %bb.26602:                            ;   in Loop: Header=BB6_25823 Depth=3
	v_cmp_lt_i16_e32 vcc, -1, v1
	v_mov_b32_e32 v1, 0xff800000
	v_mov_b32_e32 v2, 0x7f800000
	v_cndmask_b32_e32 v1, v1, v2, vcc
	v_cmp_eq_u32_e32 vcc, 0, v3
	v_mov_b32_e32 v2, 0x7f800001
	v_cndmask_b32_e32 v2, v2, v1, vcc
; %bb.26603:                            ;   in Loop: Header=BB6_25823 Depth=3
	s_or_b64 exec, exec, s[36:37]
.LBB6_26604:                            ;   in Loop: Header=BB6_25823 Depth=3
	s_or_b64 exec, exec, s[34:35]
.LBB6_26605:                            ;   in Loop: Header=BB6_25823 Depth=3
	s_or_b64 exec, exec, s[28:29]
	v_mul_f32_e32 v3, v4, v2
	v_and_b32_e32 v5, 0x7f800000, v3
	v_mov_b32_e32 v6, v33
	v_cmp_ne_u64_e32 vcc, s[76:77], v[5:6]
	v_and_b32_e32 v1, 0x7fffff, v3
	v_mov_b32_e32 v2, v33
                                        ; implicit-def: $vgpr5
	buffer_store_dword v5, off, s[0:3], s33 offset:140 ; 4-byte Folded Spill
	s_nop 0
	buffer_store_dword v6, off, s[0:3], s33 offset:144 ; 4-byte Folded Spill
	s_and_saveexec_b64 s[28:29], vcc
	s_xor_b64 s[34:35], exec, s[28:29]
	s_cbranch_execz .LBB6_26623
; %bb.26606:                            ;   in Loop: Header=BB6_25823 Depth=3
	v_and_b32_e32 v5, 0x7fffffff, v3
	v_mov_b32_e32 v6, v33
	v_cmp_gt_u64_e32 vcc, s[78:79], v[5:6]
	v_and_b32_sdwa v5, v3, s97 dst_sel:DWORD dst_unused:UNUSED_PAD src0_sel:BYTE_3 src1_sel:DWORD
                                        ; implicit-def: $vgpr6
	buffer_store_dword v6, off, s[0:3], s33 offset:140 ; 4-byte Folded Spill
	s_nop 0
	buffer_store_dword v7, off, s[0:3], s33 offset:144 ; 4-byte Folded Spill
	s_and_saveexec_b64 s[28:29], vcc
	s_xor_b64 s[36:37], exec, s[28:29]
	s_cbranch_execz .LBB6_26620
; %bb.26607:                            ;   in Loop: Header=BB6_25823 Depth=3
	v_cmp_ne_u32_e32 vcc, 0, v3
	v_mov_b32_e32 v6, 0
	buffer_store_dword v6, off, s[0:3], s33 offset:140 ; 4-byte Folded Spill
	s_nop 0
	buffer_store_dword v7, off, s[0:3], s33 offset:144 ; 4-byte Folded Spill
	s_and_saveexec_b64 s[38:39], vcc
	s_cbranch_execz .LBB6_26619
; %bb.26608:                            ;   in Loop: Header=BB6_25823 Depth=3
	v_bfe_u32 v6, v3, 23, 8
	v_cmp_gt_u32_e64 s[28:29], s47, v6
	v_sub_u32_e32 v3, 0x71, v6
	v_cmp_eq_u32_e32 vcc, 0, v6
	v_cndmask_b32_e64 v3, 0, v3, s[28:29]
	v_mov_b32_e32 v7, 0x70
	v_cndmask_b32_e32 v7, v3, v7, vcc
	v_or_b32_e32 v14, 0x800000, v1
	v_add_u32_e32 v3, 21, v7
	v_cndmask_b32_e32 v1, v14, v1, vcc
	v_lshlrev_b64 v[14:15], v3, -1
	v_add_u32_e32 v3, 20, v7
	v_bfi_b32 v14, v14, 0, v1
	v_lshlrev_b64 v[17:18], v3, 1
	v_lshrrev_b64 v[1:2], v7, v[1:2]
	v_bfi_b32 v15, v15, 0, 0
	v_cmp_eq_u64_e64 s[28:29], v[14:15], v[17:18]
	v_mov_b32_e32 v3, v2
	v_mov_b32_e32 v2, v1
	s_and_saveexec_b64 s[48:49], s[28:29]
; %bb.26609:                            ;   in Loop: Header=BB6_25823 Depth=3
	v_bfe_u32 v2, v1, 21, 1
	v_add_co_u32_e64 v2, s[28:29], v1, v2
	v_add_co_u32_e64 v2, s[28:29], -1, v2
; %bb.26610:                            ;   in Loop: Header=BB6_25823 Depth=3
	s_or_b64 exec, exec, s[48:49]
	v_add_u32_e32 v3, 0xffffff81, v6
	v_mov_b32_e32 v6, 0xffffff82
	v_cndmask_b32_e32 v3, v3, v6, vcc
	v_lshrrev_b32_e32 v6, 23, v1
	v_add3_u32 v7, v7, v3, v6
	v_add_u32_e32 v6, 14, v7
	v_and_b32_e32 v2, 0x1fffff, v2
	v_add_u32_e32 v1, v2, v1
	v_mov_b32_e32 v2, v33
	v_cmp_ne_u32_e32 vcc, 0, v6
                                        ; implicit-def: $vgpr3
	s_and_saveexec_b64 s[28:29], vcc
	s_xor_b64 s[28:29], exec, s[28:29]
; %bb.26611:                            ;   in Loop: Header=BB6_25823 Depth=3
	v_cmp_lt_u64_e32 vcc, s[88:89], v[1:2]
	v_add_u32_e32 v3, 15, v7
	v_cndmask_b32_e32 v3, v6, v3, vcc
	v_cndmask_b32_e64 v6, 0, 1, vcc
	v_lshrrev_b64 v[1:2], v6, v[1:2]
; %bb.26612:                            ;   in Loop: Header=BB6_25823 Depth=3
	s_andn2_saveexec_b64 s[28:29], s[28:29]
; %bb.26613:                            ;   in Loop: Header=BB6_25823 Depth=3
	v_bfe_u32 v3, v1, 23, 1
; %bb.26614:                            ;   in Loop: Header=BB6_25823 Depth=3
	s_or_b64 exec, exec, s[28:29]
	v_lshrrev_b64 v[1:2], 21, v[1:2]
	v_cmp_gt_i32_e32 vcc, 32, v3
	v_cndmask_b32_e32 v2, 0, v2, vcc
	v_cndmask_b32_e32 v1, 3, v1, vcc
	v_cmp_ne_u64_e32 vcc, 0, v[1:2]
	v_cmp_ne_u32_e64 s[28:29], 0, v3
	s_or_b64 s[28:29], s[28:29], vcc
                                        ; implicit-def: $vgpr2
	buffer_store_dword v2, off, s[0:3], s33 offset:140 ; 4-byte Folded Spill
	s_nop 0
	buffer_store_dword v3, off, s[0:3], s33 offset:144 ; 4-byte Folded Spill
	s_and_saveexec_b64 s[62:63], s[28:29]
	s_xor_b64 s[28:29], exec, s[62:63]
	s_cbranch_execz .LBB6_26616
; %bb.26615:                            ;   in Loop: Header=BB6_25823 Depth=3
	v_min_i32_e32 v2, 31, v3
	v_lshl_or_b32 v2, v2, 2, v5
	v_and_or_b32 v1, v1, 3, v2
	buffer_store_dword v1, off, s[0:3], s33 offset:140 ; 4-byte Folded Spill
	s_nop 0
	buffer_store_dword v2, off, s[0:3], s33 offset:144 ; 4-byte Folded Spill
                                        ; implicit-def: $vgpr5
.LBB6_26616:                            ;   in Loop: Header=BB6_25823 Depth=3
	s_andn2_saveexec_b64 s[28:29], s[28:29]
	s_cbranch_execz .LBB6_26618
; %bb.26617:                            ;   in Loop: Header=BB6_25823 Depth=3
	v_mov_b32_e32 v1, v5
	buffer_store_dword v1, off, s[0:3], s33 offset:140 ; 4-byte Folded Spill
	s_nop 0
	buffer_store_dword v2, off, s[0:3], s33 offset:144 ; 4-byte Folded Spill
.LBB6_26618:                            ;   in Loop: Header=BB6_25823 Depth=3
	s_or_b64 exec, exec, s[28:29]
.LBB6_26619:                            ;   in Loop: Header=BB6_25823 Depth=3
	s_or_b64 exec, exec, s[38:39]
                                        ; implicit-def: $vgpr5
.LBB6_26620:                            ;   in Loop: Header=BB6_25823 Depth=3
	s_andn2_saveexec_b64 s[28:29], s[36:37]
	s_cbranch_execz .LBB6_26622
; %bb.26621:                            ;   in Loop: Header=BB6_25823 Depth=3
	v_or_b32_e32 v1, 0x7b, v5
	buffer_store_dword v1, off, s[0:3], s33 offset:140 ; 4-byte Folded Spill
	s_nop 0
	buffer_store_dword v2, off, s[0:3], s33 offset:144 ; 4-byte Folded Spill
.LBB6_26622:                            ;   in Loop: Header=BB6_25823 Depth=3
	s_or_b64 exec, exec, s[28:29]
                                        ; implicit-def: $vgpr3
                                        ; implicit-def: $vgpr1_vgpr2
.LBB6_26623:                            ;   in Loop: Header=BB6_25823 Depth=3
	s_andn2_saveexec_b64 s[28:29], s[34:35]
	s_cbranch_execz .LBB6_26629
; %bb.26624:                            ;   in Loop: Header=BB6_25823 Depth=3
	v_cmp_ne_u64_e32 vcc, 0, v[1:2]
                                        ; implicit-def: $vgpr1
	buffer_store_dword v1, off, s[0:3], s33 offset:140 ; 4-byte Folded Spill
	s_nop 0
	buffer_store_dword v2, off, s[0:3], s33 offset:144 ; 4-byte Folded Spill
	s_and_saveexec_b64 s[62:63], vcc
	s_xor_b64 vcc, exec, s[62:63]
	s_cbranch_execz .LBB6_26626
; %bb.26625:                            ;   in Loop: Header=BB6_25823 Depth=3
	v_or_b32_sdwa v1, v3, s44 dst_sel:DWORD dst_unused:UNUSED_PAD src0_sel:BYTE_3 src1_sel:DWORD
	buffer_store_dword v1, off, s[0:3], s33 offset:140 ; 4-byte Folded Spill
	s_nop 0
	buffer_store_dword v2, off, s[0:3], s33 offset:144 ; 4-byte Folded Spill
                                        ; implicit-def: $vgpr3
.LBB6_26626:                            ;   in Loop: Header=BB6_25823 Depth=3
	s_andn2_saveexec_b64 s[34:35], vcc
	s_cbranch_execz .LBB6_26628
; %bb.26627:                            ;   in Loop: Header=BB6_25823 Depth=3
	v_cmp_lt_i32_e32 vcc, -1, v3
	v_mov_b32_e32 v1, 0x7c
	v_cndmask_b32_e32 v1, -4, v1, vcc
	buffer_store_dword v1, off, s[0:3], s33 offset:140 ; 4-byte Folded Spill
	s_nop 0
	buffer_store_dword v2, off, s[0:3], s33 offset:144 ; 4-byte Folded Spill
.LBB6_26628:                            ;   in Loop: Header=BB6_25823 Depth=3
	s_or_b64 exec, exec, s[34:35]
.LBB6_26629:                            ;   in Loop: Header=BB6_25823 Depth=3
	s_or_b64 exec, exec, s[28:29]
	flat_load_sbyte v1, v[8:9] offset:1600 glc slc
	v_mov_b32_e32 v2, 0
	s_waitcnt vmcnt(0) lgkmcnt(0)
	v_cmp_ne_u16_e32 vcc, 0, v1
	s_and_saveexec_b64 s[28:29], vcc
	s_cbranch_execz .LBB6_26637
; %bb.26630:                            ;   in Loop: Header=BB6_25823 Depth=3
	v_cmp_ne_u16_e32 vcc, s46, v1
	v_bfrev_b32_e32 v2, 1
	s_and_saveexec_b64 s[34:35], vcc
	s_cbranch_execz .LBB6_26636
; %bb.26631:                            ;   in Loop: Header=BB6_25823 Depth=3
	v_and_b32_e32 v2, 0x7c, v1
	v_and_b32_e32 v3, 3, v1
	v_cmp_ne_u32_e32 vcc, s86, v2
                                        ; implicit-def: $vgpr2
	s_and_saveexec_b64 s[62:63], vcc
	s_xor_b64 s[36:37], exec, s[62:63]
	s_cbranch_execz .LBB6_26633
; %bb.26632:                            ;   in Loop: Header=BB6_25823 Depth=3
	v_and_b32_e32 v5, 0xff, v1
	v_bfe_u32 v7, v5, 2, 5
	v_ffbh_u32_e32 v5, v3
	v_min_u32_e32 v14, 32, v5
	v_mov_b32_e32 v2, v33
	v_subrev_u32_e32 v5, 29, v14
	v_lshlrev_b64 v[5:6], v5, v[1:2]
	v_sub_u32_e32 v2, 30, v14
	v_cmp_eq_u32_e32 vcc, 0, v7
	v_and_b32_e32 v5, 3, v5
	v_cndmask_b32_e32 v2, v7, v2, vcc
	v_and_b32_sdwa v1, sext(v1), s87 dst_sel:DWORD dst_unused:UNUSED_PAD src0_sel:WORD_0 src1_sel:DWORD
	v_cndmask_b32_e32 v3, v3, v5, vcc
	v_lshl_add_u32 v1, v2, 23, v1
	v_lshl_or_b32 v1, v3, 21, v1
	v_add_u32_e32 v2, 0x38000000, v1
                                        ; implicit-def: $vgpr3
                                        ; implicit-def: $vgpr1
.LBB6_26633:                            ;   in Loop: Header=BB6_25823 Depth=3
	s_andn2_saveexec_b64 s[36:37], s[36:37]
; %bb.26634:                            ;   in Loop: Header=BB6_25823 Depth=3
	v_cmp_lt_i16_e32 vcc, -1, v1
	v_mov_b32_e32 v1, 0xff800000
	v_mov_b32_e32 v2, 0x7f800000
	v_cndmask_b32_e32 v1, v1, v2, vcc
	v_cmp_eq_u32_e32 vcc, 0, v3
	v_mov_b32_e32 v2, 0x7f800001
	v_cndmask_b32_e32 v2, v2, v1, vcc
; %bb.26635:                            ;   in Loop: Header=BB6_25823 Depth=3
	s_or_b64 exec, exec, s[36:37]
.LBB6_26636:                            ;   in Loop: Header=BB6_25823 Depth=3
	s_or_b64 exec, exec, s[34:35]
.LBB6_26637:                            ;   in Loop: Header=BB6_25823 Depth=3
	s_or_b64 exec, exec, s[28:29]
	v_mul_f32_e32 v3, v4, v2
	v_and_b32_e32 v5, 0x7f800000, v3
	v_mov_b32_e32 v6, v33
	v_cmp_ne_u64_e32 vcc, s[76:77], v[5:6]
	v_and_b32_e32 v1, 0x7fffff, v3
	v_mov_b32_e32 v2, v33
                                        ; implicit-def: $vgpr5
	buffer_store_dword v5, off, s[0:3], s33 offset:132 ; 4-byte Folded Spill
	s_nop 0
	buffer_store_dword v6, off, s[0:3], s33 offset:136 ; 4-byte Folded Spill
	s_and_saveexec_b64 s[28:29], vcc
	s_xor_b64 s[34:35], exec, s[28:29]
	s_cbranch_execz .LBB6_26655
; %bb.26638:                            ;   in Loop: Header=BB6_25823 Depth=3
	v_and_b32_e32 v5, 0x7fffffff, v3
	v_mov_b32_e32 v6, v33
	v_cmp_gt_u64_e32 vcc, s[78:79], v[5:6]
	v_and_b32_sdwa v5, v3, s97 dst_sel:DWORD dst_unused:UNUSED_PAD src0_sel:BYTE_3 src1_sel:DWORD
                                        ; implicit-def: $vgpr6
	buffer_store_dword v6, off, s[0:3], s33 offset:132 ; 4-byte Folded Spill
	s_nop 0
	buffer_store_dword v7, off, s[0:3], s33 offset:136 ; 4-byte Folded Spill
	s_and_saveexec_b64 s[28:29], vcc
	s_xor_b64 s[36:37], exec, s[28:29]
	s_cbranch_execz .LBB6_26652
; %bb.26639:                            ;   in Loop: Header=BB6_25823 Depth=3
	v_cmp_ne_u32_e32 vcc, 0, v3
	v_mov_b32_e32 v6, 0
	buffer_store_dword v6, off, s[0:3], s33 offset:132 ; 4-byte Folded Spill
	s_nop 0
	buffer_store_dword v7, off, s[0:3], s33 offset:136 ; 4-byte Folded Spill
	s_and_saveexec_b64 s[38:39], vcc
	s_cbranch_execz .LBB6_26651
; %bb.26640:                            ;   in Loop: Header=BB6_25823 Depth=3
	v_bfe_u32 v6, v3, 23, 8
	v_cmp_gt_u32_e64 s[28:29], s47, v6
	v_sub_u32_e32 v3, 0x71, v6
	v_cmp_eq_u32_e32 vcc, 0, v6
	v_cndmask_b32_e64 v3, 0, v3, s[28:29]
	v_mov_b32_e32 v7, 0x70
	v_cndmask_b32_e32 v7, v3, v7, vcc
	v_or_b32_e32 v14, 0x800000, v1
	v_add_u32_e32 v3, 21, v7
	v_cndmask_b32_e32 v1, v14, v1, vcc
	v_lshlrev_b64 v[14:15], v3, -1
	v_add_u32_e32 v3, 20, v7
	v_bfi_b32 v14, v14, 0, v1
	v_lshlrev_b64 v[17:18], v3, 1
	v_lshrrev_b64 v[1:2], v7, v[1:2]
	v_bfi_b32 v15, v15, 0, 0
	v_cmp_eq_u64_e64 s[28:29], v[14:15], v[17:18]
	v_mov_b32_e32 v3, v2
	v_mov_b32_e32 v2, v1
	s_and_saveexec_b64 s[48:49], s[28:29]
; %bb.26641:                            ;   in Loop: Header=BB6_25823 Depth=3
	v_bfe_u32 v2, v1, 21, 1
	v_add_co_u32_e64 v2, s[28:29], v1, v2
	v_add_co_u32_e64 v2, s[28:29], -1, v2
; %bb.26642:                            ;   in Loop: Header=BB6_25823 Depth=3
	s_or_b64 exec, exec, s[48:49]
	v_add_u32_e32 v3, 0xffffff81, v6
	v_mov_b32_e32 v6, 0xffffff82
	v_cndmask_b32_e32 v3, v3, v6, vcc
	v_lshrrev_b32_e32 v6, 23, v1
	v_add3_u32 v7, v7, v3, v6
	v_add_u32_e32 v6, 14, v7
	v_and_b32_e32 v2, 0x1fffff, v2
	v_add_u32_e32 v1, v2, v1
	v_mov_b32_e32 v2, v33
	v_cmp_ne_u32_e32 vcc, 0, v6
                                        ; implicit-def: $vgpr3
	s_and_saveexec_b64 s[28:29], vcc
	s_xor_b64 s[28:29], exec, s[28:29]
; %bb.26643:                            ;   in Loop: Header=BB6_25823 Depth=3
	v_cmp_lt_u64_e32 vcc, s[88:89], v[1:2]
	v_add_u32_e32 v3, 15, v7
	v_cndmask_b32_e32 v3, v6, v3, vcc
	v_cndmask_b32_e64 v6, 0, 1, vcc
	v_lshrrev_b64 v[1:2], v6, v[1:2]
; %bb.26644:                            ;   in Loop: Header=BB6_25823 Depth=3
	s_andn2_saveexec_b64 s[28:29], s[28:29]
; %bb.26645:                            ;   in Loop: Header=BB6_25823 Depth=3
	v_bfe_u32 v3, v1, 23, 1
; %bb.26646:                            ;   in Loop: Header=BB6_25823 Depth=3
	s_or_b64 exec, exec, s[28:29]
	v_lshrrev_b64 v[1:2], 21, v[1:2]
	v_cmp_gt_i32_e32 vcc, 32, v3
	v_cndmask_b32_e32 v2, 0, v2, vcc
	v_cndmask_b32_e32 v1, 3, v1, vcc
	v_cmp_ne_u64_e32 vcc, 0, v[1:2]
	v_cmp_ne_u32_e64 s[28:29], 0, v3
	s_or_b64 s[28:29], s[28:29], vcc
                                        ; implicit-def: $vgpr2
	buffer_store_dword v2, off, s[0:3], s33 offset:132 ; 4-byte Folded Spill
	s_nop 0
	buffer_store_dword v3, off, s[0:3], s33 offset:136 ; 4-byte Folded Spill
	s_and_saveexec_b64 s[62:63], s[28:29]
	s_xor_b64 s[28:29], exec, s[62:63]
	s_cbranch_execz .LBB6_26648
; %bb.26647:                            ;   in Loop: Header=BB6_25823 Depth=3
	v_min_i32_e32 v2, 31, v3
	v_lshl_or_b32 v2, v2, 2, v5
	v_and_or_b32 v1, v1, 3, v2
	buffer_store_dword v1, off, s[0:3], s33 offset:132 ; 4-byte Folded Spill
	s_nop 0
	buffer_store_dword v2, off, s[0:3], s33 offset:136 ; 4-byte Folded Spill
                                        ; implicit-def: $vgpr5
.LBB6_26648:                            ;   in Loop: Header=BB6_25823 Depth=3
	s_andn2_saveexec_b64 s[28:29], s[28:29]
	s_cbranch_execz .LBB6_26650
; %bb.26649:                            ;   in Loop: Header=BB6_25823 Depth=3
	v_mov_b32_e32 v1, v5
	buffer_store_dword v1, off, s[0:3], s33 offset:132 ; 4-byte Folded Spill
	s_nop 0
	buffer_store_dword v2, off, s[0:3], s33 offset:136 ; 4-byte Folded Spill
.LBB6_26650:                            ;   in Loop: Header=BB6_25823 Depth=3
	s_or_b64 exec, exec, s[28:29]
.LBB6_26651:                            ;   in Loop: Header=BB6_25823 Depth=3
	s_or_b64 exec, exec, s[38:39]
                                        ; implicit-def: $vgpr5
.LBB6_26652:                            ;   in Loop: Header=BB6_25823 Depth=3
	s_andn2_saveexec_b64 s[28:29], s[36:37]
	s_cbranch_execz .LBB6_26654
; %bb.26653:                            ;   in Loop: Header=BB6_25823 Depth=3
	v_or_b32_e32 v1, 0x7b, v5
	buffer_store_dword v1, off, s[0:3], s33 offset:132 ; 4-byte Folded Spill
	s_nop 0
	buffer_store_dword v2, off, s[0:3], s33 offset:136 ; 4-byte Folded Spill
.LBB6_26654:                            ;   in Loop: Header=BB6_25823 Depth=3
	s_or_b64 exec, exec, s[28:29]
                                        ; implicit-def: $vgpr3
                                        ; implicit-def: $vgpr1_vgpr2
.LBB6_26655:                            ;   in Loop: Header=BB6_25823 Depth=3
	s_andn2_saveexec_b64 s[28:29], s[34:35]
	s_cbranch_execz .LBB6_26661
; %bb.26656:                            ;   in Loop: Header=BB6_25823 Depth=3
	v_cmp_ne_u64_e32 vcc, 0, v[1:2]
                                        ; implicit-def: $vgpr1
	buffer_store_dword v1, off, s[0:3], s33 offset:132 ; 4-byte Folded Spill
	s_nop 0
	buffer_store_dword v2, off, s[0:3], s33 offset:136 ; 4-byte Folded Spill
	s_and_saveexec_b64 s[62:63], vcc
	s_xor_b64 vcc, exec, s[62:63]
	s_cbranch_execz .LBB6_26658
; %bb.26657:                            ;   in Loop: Header=BB6_25823 Depth=3
	v_or_b32_sdwa v1, v3, s44 dst_sel:DWORD dst_unused:UNUSED_PAD src0_sel:BYTE_3 src1_sel:DWORD
	buffer_store_dword v1, off, s[0:3], s33 offset:132 ; 4-byte Folded Spill
	s_nop 0
	buffer_store_dword v2, off, s[0:3], s33 offset:136 ; 4-byte Folded Spill
                                        ; implicit-def: $vgpr3
.LBB6_26658:                            ;   in Loop: Header=BB6_25823 Depth=3
	s_andn2_saveexec_b64 s[34:35], vcc
	s_cbranch_execz .LBB6_26660
; %bb.26659:                            ;   in Loop: Header=BB6_25823 Depth=3
	v_cmp_lt_i32_e32 vcc, -1, v3
	v_mov_b32_e32 v1, 0x7c
	v_cndmask_b32_e32 v1, -4, v1, vcc
	buffer_store_dword v1, off, s[0:3], s33 offset:132 ; 4-byte Folded Spill
	s_nop 0
	buffer_store_dword v2, off, s[0:3], s33 offset:136 ; 4-byte Folded Spill
.LBB6_26660:                            ;   in Loop: Header=BB6_25823 Depth=3
	s_or_b64 exec, exec, s[34:35]
.LBB6_26661:                            ;   in Loop: Header=BB6_25823 Depth=3
	s_or_b64 exec, exec, s[28:29]
	flat_load_sbyte v1, v[8:9] offset:1664 glc slc
	v_mov_b32_e32 v2, 0
	s_waitcnt vmcnt(0) lgkmcnt(0)
	v_cmp_ne_u16_e32 vcc, 0, v1
	s_and_saveexec_b64 s[28:29], vcc
	s_cbranch_execz .LBB6_26669
; %bb.26662:                            ;   in Loop: Header=BB6_25823 Depth=3
	v_cmp_ne_u16_e32 vcc, s46, v1
	v_bfrev_b32_e32 v2, 1
	s_and_saveexec_b64 s[34:35], vcc
	s_cbranch_execz .LBB6_26668
; %bb.26663:                            ;   in Loop: Header=BB6_25823 Depth=3
	v_and_b32_e32 v2, 0x7c, v1
	v_and_b32_e32 v3, 3, v1
	v_cmp_ne_u32_e32 vcc, s86, v2
                                        ; implicit-def: $vgpr2
	s_and_saveexec_b64 s[62:63], vcc
	s_xor_b64 s[36:37], exec, s[62:63]
	s_cbranch_execz .LBB6_26665
; %bb.26664:                            ;   in Loop: Header=BB6_25823 Depth=3
	v_and_b32_e32 v5, 0xff, v1
	v_bfe_u32 v7, v5, 2, 5
	v_ffbh_u32_e32 v5, v3
	v_min_u32_e32 v14, 32, v5
	v_mov_b32_e32 v2, v33
	v_subrev_u32_e32 v5, 29, v14
	v_lshlrev_b64 v[5:6], v5, v[1:2]
	v_sub_u32_e32 v2, 30, v14
	v_cmp_eq_u32_e32 vcc, 0, v7
	v_and_b32_e32 v5, 3, v5
	v_cndmask_b32_e32 v2, v7, v2, vcc
	v_and_b32_sdwa v1, sext(v1), s87 dst_sel:DWORD dst_unused:UNUSED_PAD src0_sel:WORD_0 src1_sel:DWORD
	v_cndmask_b32_e32 v3, v3, v5, vcc
	v_lshl_add_u32 v1, v2, 23, v1
	v_lshl_or_b32 v1, v3, 21, v1
	v_add_u32_e32 v2, 0x38000000, v1
                                        ; implicit-def: $vgpr3
                                        ; implicit-def: $vgpr1
.LBB6_26665:                            ;   in Loop: Header=BB6_25823 Depth=3
	s_andn2_saveexec_b64 s[36:37], s[36:37]
; %bb.26666:                            ;   in Loop: Header=BB6_25823 Depth=3
	v_cmp_lt_i16_e32 vcc, -1, v1
	v_mov_b32_e32 v1, 0xff800000
	v_mov_b32_e32 v2, 0x7f800000
	v_cndmask_b32_e32 v1, v1, v2, vcc
	v_cmp_eq_u32_e32 vcc, 0, v3
	v_mov_b32_e32 v2, 0x7f800001
	v_cndmask_b32_e32 v2, v2, v1, vcc
; %bb.26667:                            ;   in Loop: Header=BB6_25823 Depth=3
	s_or_b64 exec, exec, s[36:37]
.LBB6_26668:                            ;   in Loop: Header=BB6_25823 Depth=3
	s_or_b64 exec, exec, s[34:35]
.LBB6_26669:                            ;   in Loop: Header=BB6_25823 Depth=3
	s_or_b64 exec, exec, s[28:29]
	v_mul_f32_e32 v3, v4, v2
	v_and_b32_e32 v5, 0x7f800000, v3
	v_mov_b32_e32 v6, v33
	v_cmp_ne_u64_e32 vcc, s[76:77], v[5:6]
	v_and_b32_e32 v1, 0x7fffff, v3
	v_mov_b32_e32 v2, v33
                                        ; implicit-def: $vgpr5
	buffer_store_dword v5, off, s[0:3], s33 offset:124 ; 4-byte Folded Spill
	s_nop 0
	buffer_store_dword v6, off, s[0:3], s33 offset:128 ; 4-byte Folded Spill
	s_and_saveexec_b64 s[28:29], vcc
	s_xor_b64 s[34:35], exec, s[28:29]
	s_cbranch_execz .LBB6_26687
; %bb.26670:                            ;   in Loop: Header=BB6_25823 Depth=3
	v_and_b32_e32 v5, 0x7fffffff, v3
	v_mov_b32_e32 v6, v33
	v_cmp_gt_u64_e32 vcc, s[78:79], v[5:6]
	v_and_b32_sdwa v5, v3, s97 dst_sel:DWORD dst_unused:UNUSED_PAD src0_sel:BYTE_3 src1_sel:DWORD
                                        ; implicit-def: $vgpr6
	buffer_store_dword v6, off, s[0:3], s33 offset:124 ; 4-byte Folded Spill
	s_nop 0
	buffer_store_dword v7, off, s[0:3], s33 offset:128 ; 4-byte Folded Spill
	s_and_saveexec_b64 s[28:29], vcc
	s_xor_b64 s[36:37], exec, s[28:29]
	s_cbranch_execz .LBB6_26684
; %bb.26671:                            ;   in Loop: Header=BB6_25823 Depth=3
	v_cmp_ne_u32_e32 vcc, 0, v3
	v_mov_b32_e32 v6, 0
	buffer_store_dword v6, off, s[0:3], s33 offset:124 ; 4-byte Folded Spill
	s_nop 0
	buffer_store_dword v7, off, s[0:3], s33 offset:128 ; 4-byte Folded Spill
	s_and_saveexec_b64 s[38:39], vcc
	s_cbranch_execz .LBB6_26683
; %bb.26672:                            ;   in Loop: Header=BB6_25823 Depth=3
	v_bfe_u32 v6, v3, 23, 8
	v_cmp_gt_u32_e64 s[28:29], s47, v6
	v_sub_u32_e32 v3, 0x71, v6
	v_cmp_eq_u32_e32 vcc, 0, v6
	v_cndmask_b32_e64 v3, 0, v3, s[28:29]
	v_mov_b32_e32 v7, 0x70
	v_cndmask_b32_e32 v7, v3, v7, vcc
	v_or_b32_e32 v14, 0x800000, v1
	v_add_u32_e32 v3, 21, v7
	v_cndmask_b32_e32 v1, v14, v1, vcc
	v_lshlrev_b64 v[14:15], v3, -1
	v_add_u32_e32 v3, 20, v7
	v_bfi_b32 v14, v14, 0, v1
	v_lshlrev_b64 v[17:18], v3, 1
	v_lshrrev_b64 v[1:2], v7, v[1:2]
	v_bfi_b32 v15, v15, 0, 0
	v_cmp_eq_u64_e64 s[28:29], v[14:15], v[17:18]
	v_mov_b32_e32 v3, v2
	v_mov_b32_e32 v2, v1
	s_and_saveexec_b64 s[48:49], s[28:29]
; %bb.26673:                            ;   in Loop: Header=BB6_25823 Depth=3
	v_bfe_u32 v2, v1, 21, 1
	v_add_co_u32_e64 v2, s[28:29], v1, v2
	v_add_co_u32_e64 v2, s[28:29], -1, v2
; %bb.26674:                            ;   in Loop: Header=BB6_25823 Depth=3
	s_or_b64 exec, exec, s[48:49]
	v_add_u32_e32 v3, 0xffffff81, v6
	v_mov_b32_e32 v6, 0xffffff82
	v_cndmask_b32_e32 v3, v3, v6, vcc
	v_lshrrev_b32_e32 v6, 23, v1
	v_add3_u32 v7, v7, v3, v6
	v_add_u32_e32 v6, 14, v7
	v_and_b32_e32 v2, 0x1fffff, v2
	v_add_u32_e32 v1, v2, v1
	v_mov_b32_e32 v2, v33
	v_cmp_ne_u32_e32 vcc, 0, v6
                                        ; implicit-def: $vgpr3
	s_and_saveexec_b64 s[28:29], vcc
	s_xor_b64 s[28:29], exec, s[28:29]
; %bb.26675:                            ;   in Loop: Header=BB6_25823 Depth=3
	v_cmp_lt_u64_e32 vcc, s[88:89], v[1:2]
	v_add_u32_e32 v3, 15, v7
	v_cndmask_b32_e32 v3, v6, v3, vcc
	v_cndmask_b32_e64 v6, 0, 1, vcc
	v_lshrrev_b64 v[1:2], v6, v[1:2]
; %bb.26676:                            ;   in Loop: Header=BB6_25823 Depth=3
	s_andn2_saveexec_b64 s[28:29], s[28:29]
; %bb.26677:                            ;   in Loop: Header=BB6_25823 Depth=3
	v_bfe_u32 v3, v1, 23, 1
; %bb.26678:                            ;   in Loop: Header=BB6_25823 Depth=3
	s_or_b64 exec, exec, s[28:29]
	v_lshrrev_b64 v[1:2], 21, v[1:2]
	v_cmp_gt_i32_e32 vcc, 32, v3
	v_cndmask_b32_e32 v2, 0, v2, vcc
	v_cndmask_b32_e32 v1, 3, v1, vcc
	v_cmp_ne_u64_e32 vcc, 0, v[1:2]
	v_cmp_ne_u32_e64 s[28:29], 0, v3
	s_or_b64 s[28:29], s[28:29], vcc
                                        ; implicit-def: $vgpr2
	buffer_store_dword v2, off, s[0:3], s33 offset:124 ; 4-byte Folded Spill
	s_nop 0
	buffer_store_dword v3, off, s[0:3], s33 offset:128 ; 4-byte Folded Spill
	s_and_saveexec_b64 s[62:63], s[28:29]
	s_xor_b64 s[28:29], exec, s[62:63]
	s_cbranch_execz .LBB6_26680
; %bb.26679:                            ;   in Loop: Header=BB6_25823 Depth=3
	v_min_i32_e32 v2, 31, v3
	v_lshl_or_b32 v2, v2, 2, v5
	v_and_or_b32 v1, v1, 3, v2
	buffer_store_dword v1, off, s[0:3], s33 offset:124 ; 4-byte Folded Spill
	s_nop 0
	buffer_store_dword v2, off, s[0:3], s33 offset:128 ; 4-byte Folded Spill
                                        ; implicit-def: $vgpr5
.LBB6_26680:                            ;   in Loop: Header=BB6_25823 Depth=3
	s_andn2_saveexec_b64 s[28:29], s[28:29]
	s_cbranch_execz .LBB6_26682
; %bb.26681:                            ;   in Loop: Header=BB6_25823 Depth=3
	v_mov_b32_e32 v1, v5
	buffer_store_dword v1, off, s[0:3], s33 offset:124 ; 4-byte Folded Spill
	s_nop 0
	buffer_store_dword v2, off, s[0:3], s33 offset:128 ; 4-byte Folded Spill
.LBB6_26682:                            ;   in Loop: Header=BB6_25823 Depth=3
	s_or_b64 exec, exec, s[28:29]
.LBB6_26683:                            ;   in Loop: Header=BB6_25823 Depth=3
	s_or_b64 exec, exec, s[38:39]
                                        ; implicit-def: $vgpr5
.LBB6_26684:                            ;   in Loop: Header=BB6_25823 Depth=3
	s_andn2_saveexec_b64 s[28:29], s[36:37]
	s_cbranch_execz .LBB6_26686
; %bb.26685:                            ;   in Loop: Header=BB6_25823 Depth=3
	v_or_b32_e32 v1, 0x7b, v5
	buffer_store_dword v1, off, s[0:3], s33 offset:124 ; 4-byte Folded Spill
	s_nop 0
	buffer_store_dword v2, off, s[0:3], s33 offset:128 ; 4-byte Folded Spill
.LBB6_26686:                            ;   in Loop: Header=BB6_25823 Depth=3
	s_or_b64 exec, exec, s[28:29]
                                        ; implicit-def: $vgpr3
                                        ; implicit-def: $vgpr1_vgpr2
.LBB6_26687:                            ;   in Loop: Header=BB6_25823 Depth=3
	s_andn2_saveexec_b64 s[28:29], s[34:35]
	s_cbranch_execz .LBB6_26693
; %bb.26688:                            ;   in Loop: Header=BB6_25823 Depth=3
	v_cmp_ne_u64_e32 vcc, 0, v[1:2]
                                        ; implicit-def: $vgpr1
	buffer_store_dword v1, off, s[0:3], s33 offset:124 ; 4-byte Folded Spill
	s_nop 0
	buffer_store_dword v2, off, s[0:3], s33 offset:128 ; 4-byte Folded Spill
	s_and_saveexec_b64 s[62:63], vcc
	s_xor_b64 vcc, exec, s[62:63]
	s_cbranch_execz .LBB6_26690
; %bb.26689:                            ;   in Loop: Header=BB6_25823 Depth=3
	v_or_b32_sdwa v1, v3, s44 dst_sel:DWORD dst_unused:UNUSED_PAD src0_sel:BYTE_3 src1_sel:DWORD
	buffer_store_dword v1, off, s[0:3], s33 offset:124 ; 4-byte Folded Spill
	s_nop 0
	buffer_store_dword v2, off, s[0:3], s33 offset:128 ; 4-byte Folded Spill
                                        ; implicit-def: $vgpr3
.LBB6_26690:                            ;   in Loop: Header=BB6_25823 Depth=3
	s_andn2_saveexec_b64 s[34:35], vcc
	s_cbranch_execz .LBB6_26692
; %bb.26691:                            ;   in Loop: Header=BB6_25823 Depth=3
	v_cmp_lt_i32_e32 vcc, -1, v3
	v_mov_b32_e32 v1, 0x7c
	v_cndmask_b32_e32 v1, -4, v1, vcc
	buffer_store_dword v1, off, s[0:3], s33 offset:124 ; 4-byte Folded Spill
	s_nop 0
	buffer_store_dword v2, off, s[0:3], s33 offset:128 ; 4-byte Folded Spill
.LBB6_26692:                            ;   in Loop: Header=BB6_25823 Depth=3
	s_or_b64 exec, exec, s[34:35]
.LBB6_26693:                            ;   in Loop: Header=BB6_25823 Depth=3
	s_or_b64 exec, exec, s[28:29]
	flat_load_sbyte v1, v[8:9] offset:1728 glc slc
	v_mov_b32_e32 v2, 0
	s_waitcnt vmcnt(0) lgkmcnt(0)
	v_cmp_ne_u16_e32 vcc, 0, v1
	s_and_saveexec_b64 s[28:29], vcc
	s_cbranch_execz .LBB6_26701
; %bb.26694:                            ;   in Loop: Header=BB6_25823 Depth=3
	v_cmp_ne_u16_e32 vcc, s46, v1
	v_bfrev_b32_e32 v2, 1
	s_and_saveexec_b64 s[34:35], vcc
	s_cbranch_execz .LBB6_26700
; %bb.26695:                            ;   in Loop: Header=BB6_25823 Depth=3
	v_and_b32_e32 v2, 0x7c, v1
	v_and_b32_e32 v3, 3, v1
	v_cmp_ne_u32_e32 vcc, s86, v2
                                        ; implicit-def: $vgpr2
	s_and_saveexec_b64 s[62:63], vcc
	s_xor_b64 s[36:37], exec, s[62:63]
	s_cbranch_execz .LBB6_26697
; %bb.26696:                            ;   in Loop: Header=BB6_25823 Depth=3
	v_and_b32_e32 v5, 0xff, v1
	v_bfe_u32 v7, v5, 2, 5
	v_ffbh_u32_e32 v5, v3
	v_min_u32_e32 v14, 32, v5
	v_mov_b32_e32 v2, v33
	v_subrev_u32_e32 v5, 29, v14
	v_lshlrev_b64 v[5:6], v5, v[1:2]
	v_sub_u32_e32 v2, 30, v14
	v_cmp_eq_u32_e32 vcc, 0, v7
	v_and_b32_e32 v5, 3, v5
	v_cndmask_b32_e32 v2, v7, v2, vcc
	v_and_b32_sdwa v1, sext(v1), s87 dst_sel:DWORD dst_unused:UNUSED_PAD src0_sel:WORD_0 src1_sel:DWORD
	v_cndmask_b32_e32 v3, v3, v5, vcc
	v_lshl_add_u32 v1, v2, 23, v1
	v_lshl_or_b32 v1, v3, 21, v1
	v_add_u32_e32 v2, 0x38000000, v1
                                        ; implicit-def: $vgpr3
                                        ; implicit-def: $vgpr1
.LBB6_26697:                            ;   in Loop: Header=BB6_25823 Depth=3
	s_andn2_saveexec_b64 s[36:37], s[36:37]
; %bb.26698:                            ;   in Loop: Header=BB6_25823 Depth=3
	v_cmp_lt_i16_e32 vcc, -1, v1
	v_mov_b32_e32 v1, 0xff800000
	v_mov_b32_e32 v2, 0x7f800000
	v_cndmask_b32_e32 v1, v1, v2, vcc
	v_cmp_eq_u32_e32 vcc, 0, v3
	v_mov_b32_e32 v2, 0x7f800001
	v_cndmask_b32_e32 v2, v2, v1, vcc
; %bb.26699:                            ;   in Loop: Header=BB6_25823 Depth=3
	s_or_b64 exec, exec, s[36:37]
.LBB6_26700:                            ;   in Loop: Header=BB6_25823 Depth=3
	s_or_b64 exec, exec, s[34:35]
.LBB6_26701:                            ;   in Loop: Header=BB6_25823 Depth=3
	s_or_b64 exec, exec, s[28:29]
	v_mul_f32_e32 v3, v4, v2
	v_and_b32_e32 v5, 0x7f800000, v3
	v_mov_b32_e32 v6, v33
	v_cmp_ne_u64_e32 vcc, s[76:77], v[5:6]
	v_and_b32_e32 v1, 0x7fffff, v3
	v_mov_b32_e32 v2, v33
                                        ; implicit-def: $vgpr5
	buffer_store_dword v5, off, s[0:3], s33 offset:116 ; 4-byte Folded Spill
	s_nop 0
	buffer_store_dword v6, off, s[0:3], s33 offset:120 ; 4-byte Folded Spill
	s_and_saveexec_b64 s[28:29], vcc
	s_xor_b64 s[34:35], exec, s[28:29]
	s_cbranch_execz .LBB6_26719
; %bb.26702:                            ;   in Loop: Header=BB6_25823 Depth=3
	v_and_b32_e32 v5, 0x7fffffff, v3
	v_mov_b32_e32 v6, v33
	v_cmp_gt_u64_e32 vcc, s[78:79], v[5:6]
	v_and_b32_sdwa v5, v3, s97 dst_sel:DWORD dst_unused:UNUSED_PAD src0_sel:BYTE_3 src1_sel:DWORD
                                        ; implicit-def: $vgpr6
	buffer_store_dword v6, off, s[0:3], s33 offset:116 ; 4-byte Folded Spill
	s_nop 0
	buffer_store_dword v7, off, s[0:3], s33 offset:120 ; 4-byte Folded Spill
	s_and_saveexec_b64 s[28:29], vcc
	s_xor_b64 s[36:37], exec, s[28:29]
	s_cbranch_execz .LBB6_26716
; %bb.26703:                            ;   in Loop: Header=BB6_25823 Depth=3
	v_cmp_ne_u32_e32 vcc, 0, v3
	v_mov_b32_e32 v6, 0
	buffer_store_dword v6, off, s[0:3], s33 offset:116 ; 4-byte Folded Spill
	s_nop 0
	buffer_store_dword v7, off, s[0:3], s33 offset:120 ; 4-byte Folded Spill
	s_and_saveexec_b64 s[38:39], vcc
	s_cbranch_execz .LBB6_26715
; %bb.26704:                            ;   in Loop: Header=BB6_25823 Depth=3
	v_bfe_u32 v6, v3, 23, 8
	v_cmp_gt_u32_e64 s[28:29], s47, v6
	v_sub_u32_e32 v3, 0x71, v6
	v_cmp_eq_u32_e32 vcc, 0, v6
	v_cndmask_b32_e64 v3, 0, v3, s[28:29]
	v_mov_b32_e32 v7, 0x70
	v_cndmask_b32_e32 v7, v3, v7, vcc
	v_or_b32_e32 v14, 0x800000, v1
	v_add_u32_e32 v3, 21, v7
	v_cndmask_b32_e32 v1, v14, v1, vcc
	v_lshlrev_b64 v[14:15], v3, -1
	v_add_u32_e32 v3, 20, v7
	v_bfi_b32 v14, v14, 0, v1
	v_lshlrev_b64 v[17:18], v3, 1
	v_lshrrev_b64 v[1:2], v7, v[1:2]
	v_bfi_b32 v15, v15, 0, 0
	v_cmp_eq_u64_e64 s[28:29], v[14:15], v[17:18]
	v_mov_b32_e32 v3, v2
	v_mov_b32_e32 v2, v1
	s_and_saveexec_b64 s[48:49], s[28:29]
; %bb.26705:                            ;   in Loop: Header=BB6_25823 Depth=3
	v_bfe_u32 v2, v1, 21, 1
	v_add_co_u32_e64 v2, s[28:29], v1, v2
	v_add_co_u32_e64 v2, s[28:29], -1, v2
; %bb.26706:                            ;   in Loop: Header=BB6_25823 Depth=3
	s_or_b64 exec, exec, s[48:49]
	v_add_u32_e32 v3, 0xffffff81, v6
	v_mov_b32_e32 v6, 0xffffff82
	v_cndmask_b32_e32 v3, v3, v6, vcc
	v_lshrrev_b32_e32 v6, 23, v1
	v_add3_u32 v7, v7, v3, v6
	v_add_u32_e32 v6, 14, v7
	v_and_b32_e32 v2, 0x1fffff, v2
	v_add_u32_e32 v1, v2, v1
	v_mov_b32_e32 v2, v33
	v_cmp_ne_u32_e32 vcc, 0, v6
                                        ; implicit-def: $vgpr3
	s_and_saveexec_b64 s[28:29], vcc
	s_xor_b64 s[28:29], exec, s[28:29]
; %bb.26707:                            ;   in Loop: Header=BB6_25823 Depth=3
	v_cmp_lt_u64_e32 vcc, s[88:89], v[1:2]
	v_add_u32_e32 v3, 15, v7
	v_cndmask_b32_e32 v3, v6, v3, vcc
	v_cndmask_b32_e64 v6, 0, 1, vcc
	v_lshrrev_b64 v[1:2], v6, v[1:2]
; %bb.26708:                            ;   in Loop: Header=BB6_25823 Depth=3
	s_andn2_saveexec_b64 s[28:29], s[28:29]
; %bb.26709:                            ;   in Loop: Header=BB6_25823 Depth=3
	v_bfe_u32 v3, v1, 23, 1
; %bb.26710:                            ;   in Loop: Header=BB6_25823 Depth=3
	s_or_b64 exec, exec, s[28:29]
	v_lshrrev_b64 v[1:2], 21, v[1:2]
	v_cmp_gt_i32_e32 vcc, 32, v3
	v_cndmask_b32_e32 v2, 0, v2, vcc
	v_cndmask_b32_e32 v1, 3, v1, vcc
	v_cmp_ne_u64_e32 vcc, 0, v[1:2]
	v_cmp_ne_u32_e64 s[28:29], 0, v3
	s_or_b64 s[28:29], s[28:29], vcc
                                        ; implicit-def: $vgpr2
	buffer_store_dword v2, off, s[0:3], s33 offset:116 ; 4-byte Folded Spill
	s_nop 0
	buffer_store_dword v3, off, s[0:3], s33 offset:120 ; 4-byte Folded Spill
	s_and_saveexec_b64 s[62:63], s[28:29]
	s_xor_b64 s[28:29], exec, s[62:63]
	s_cbranch_execz .LBB6_26712
; %bb.26711:                            ;   in Loop: Header=BB6_25823 Depth=3
	v_min_i32_e32 v2, 31, v3
	v_lshl_or_b32 v2, v2, 2, v5
	v_and_or_b32 v1, v1, 3, v2
	buffer_store_dword v1, off, s[0:3], s33 offset:116 ; 4-byte Folded Spill
	s_nop 0
	buffer_store_dword v2, off, s[0:3], s33 offset:120 ; 4-byte Folded Spill
                                        ; implicit-def: $vgpr5
.LBB6_26712:                            ;   in Loop: Header=BB6_25823 Depth=3
	s_andn2_saveexec_b64 s[28:29], s[28:29]
	s_cbranch_execz .LBB6_26714
; %bb.26713:                            ;   in Loop: Header=BB6_25823 Depth=3
	v_mov_b32_e32 v1, v5
	buffer_store_dword v1, off, s[0:3], s33 offset:116 ; 4-byte Folded Spill
	s_nop 0
	buffer_store_dword v2, off, s[0:3], s33 offset:120 ; 4-byte Folded Spill
.LBB6_26714:                            ;   in Loop: Header=BB6_25823 Depth=3
	s_or_b64 exec, exec, s[28:29]
.LBB6_26715:                            ;   in Loop: Header=BB6_25823 Depth=3
	s_or_b64 exec, exec, s[38:39]
                                        ; implicit-def: $vgpr5
.LBB6_26716:                            ;   in Loop: Header=BB6_25823 Depth=3
	s_andn2_saveexec_b64 s[28:29], s[36:37]
	s_cbranch_execz .LBB6_26718
; %bb.26717:                            ;   in Loop: Header=BB6_25823 Depth=3
	v_or_b32_e32 v1, 0x7b, v5
	buffer_store_dword v1, off, s[0:3], s33 offset:116 ; 4-byte Folded Spill
	s_nop 0
	buffer_store_dword v2, off, s[0:3], s33 offset:120 ; 4-byte Folded Spill
.LBB6_26718:                            ;   in Loop: Header=BB6_25823 Depth=3
	s_or_b64 exec, exec, s[28:29]
                                        ; implicit-def: $vgpr3
                                        ; implicit-def: $vgpr1_vgpr2
.LBB6_26719:                            ;   in Loop: Header=BB6_25823 Depth=3
	s_andn2_saveexec_b64 s[28:29], s[34:35]
	s_cbranch_execz .LBB6_26725
; %bb.26720:                            ;   in Loop: Header=BB6_25823 Depth=3
	v_cmp_ne_u64_e32 vcc, 0, v[1:2]
                                        ; implicit-def: $vgpr1
	buffer_store_dword v1, off, s[0:3], s33 offset:116 ; 4-byte Folded Spill
	s_nop 0
	buffer_store_dword v2, off, s[0:3], s33 offset:120 ; 4-byte Folded Spill
	s_and_saveexec_b64 s[62:63], vcc
	s_xor_b64 vcc, exec, s[62:63]
	s_cbranch_execz .LBB6_26722
; %bb.26721:                            ;   in Loop: Header=BB6_25823 Depth=3
	v_or_b32_sdwa v1, v3, s44 dst_sel:DWORD dst_unused:UNUSED_PAD src0_sel:BYTE_3 src1_sel:DWORD
	buffer_store_dword v1, off, s[0:3], s33 offset:116 ; 4-byte Folded Spill
	s_nop 0
	buffer_store_dword v2, off, s[0:3], s33 offset:120 ; 4-byte Folded Spill
                                        ; implicit-def: $vgpr3
.LBB6_26722:                            ;   in Loop: Header=BB6_25823 Depth=3
	s_andn2_saveexec_b64 s[34:35], vcc
	s_cbranch_execz .LBB6_26724
; %bb.26723:                            ;   in Loop: Header=BB6_25823 Depth=3
	v_cmp_lt_i32_e32 vcc, -1, v3
	v_mov_b32_e32 v1, 0x7c
	v_cndmask_b32_e32 v1, -4, v1, vcc
	buffer_store_dword v1, off, s[0:3], s33 offset:116 ; 4-byte Folded Spill
	s_nop 0
	buffer_store_dword v2, off, s[0:3], s33 offset:120 ; 4-byte Folded Spill
.LBB6_26724:                            ;   in Loop: Header=BB6_25823 Depth=3
	s_or_b64 exec, exec, s[34:35]
.LBB6_26725:                            ;   in Loop: Header=BB6_25823 Depth=3
	s_or_b64 exec, exec, s[28:29]
	flat_load_sbyte v1, v[8:9] offset:1792 glc slc
	v_mov_b32_e32 v2, 0
	s_waitcnt vmcnt(0) lgkmcnt(0)
	v_cmp_ne_u16_e32 vcc, 0, v1
	s_and_saveexec_b64 s[28:29], vcc
	s_cbranch_execz .LBB6_26733
; %bb.26726:                            ;   in Loop: Header=BB6_25823 Depth=3
	v_cmp_ne_u16_e32 vcc, s46, v1
	v_bfrev_b32_e32 v2, 1
	s_and_saveexec_b64 s[34:35], vcc
	s_cbranch_execz .LBB6_26732
; %bb.26727:                            ;   in Loop: Header=BB6_25823 Depth=3
	v_and_b32_e32 v2, 0x7c, v1
	v_and_b32_e32 v3, 3, v1
	v_cmp_ne_u32_e32 vcc, s86, v2
                                        ; implicit-def: $vgpr2
	s_and_saveexec_b64 s[62:63], vcc
	s_xor_b64 s[36:37], exec, s[62:63]
	s_cbranch_execz .LBB6_26729
; %bb.26728:                            ;   in Loop: Header=BB6_25823 Depth=3
	v_and_b32_e32 v5, 0xff, v1
	v_bfe_u32 v7, v5, 2, 5
	v_ffbh_u32_e32 v5, v3
	v_min_u32_e32 v14, 32, v5
	v_mov_b32_e32 v2, v33
	v_subrev_u32_e32 v5, 29, v14
	v_lshlrev_b64 v[5:6], v5, v[1:2]
	v_sub_u32_e32 v2, 30, v14
	v_cmp_eq_u32_e32 vcc, 0, v7
	v_and_b32_e32 v5, 3, v5
	v_cndmask_b32_e32 v2, v7, v2, vcc
	v_and_b32_sdwa v1, sext(v1), s87 dst_sel:DWORD dst_unused:UNUSED_PAD src0_sel:WORD_0 src1_sel:DWORD
	v_cndmask_b32_e32 v3, v3, v5, vcc
	v_lshl_add_u32 v1, v2, 23, v1
	v_lshl_or_b32 v1, v3, 21, v1
	v_add_u32_e32 v2, 0x38000000, v1
                                        ; implicit-def: $vgpr3
                                        ; implicit-def: $vgpr1
.LBB6_26729:                            ;   in Loop: Header=BB6_25823 Depth=3
	s_andn2_saveexec_b64 s[36:37], s[36:37]
; %bb.26730:                            ;   in Loop: Header=BB6_25823 Depth=3
	v_cmp_lt_i16_e32 vcc, -1, v1
	v_mov_b32_e32 v1, 0xff800000
	v_mov_b32_e32 v2, 0x7f800000
	v_cndmask_b32_e32 v1, v1, v2, vcc
	v_cmp_eq_u32_e32 vcc, 0, v3
	v_mov_b32_e32 v2, 0x7f800001
	v_cndmask_b32_e32 v2, v2, v1, vcc
; %bb.26731:                            ;   in Loop: Header=BB6_25823 Depth=3
	s_or_b64 exec, exec, s[36:37]
.LBB6_26732:                            ;   in Loop: Header=BB6_25823 Depth=3
	s_or_b64 exec, exec, s[34:35]
.LBB6_26733:                            ;   in Loop: Header=BB6_25823 Depth=3
	s_or_b64 exec, exec, s[28:29]
	v_mul_f32_e32 v3, v4, v2
	v_and_b32_e32 v5, 0x7f800000, v3
	v_mov_b32_e32 v6, v33
	v_cmp_ne_u64_e32 vcc, s[76:77], v[5:6]
	v_and_b32_e32 v1, 0x7fffff, v3
	v_mov_b32_e32 v2, v33
                                        ; implicit-def: $vgpr5
	buffer_store_dword v5, off, s[0:3], s33 offset:108 ; 4-byte Folded Spill
	s_nop 0
	buffer_store_dword v6, off, s[0:3], s33 offset:112 ; 4-byte Folded Spill
	s_and_saveexec_b64 s[28:29], vcc
	s_xor_b64 s[34:35], exec, s[28:29]
	s_cbranch_execz .LBB6_26751
; %bb.26734:                            ;   in Loop: Header=BB6_25823 Depth=3
	v_and_b32_e32 v5, 0x7fffffff, v3
	v_mov_b32_e32 v6, v33
	v_cmp_gt_u64_e32 vcc, s[78:79], v[5:6]
	v_and_b32_sdwa v5, v3, s97 dst_sel:DWORD dst_unused:UNUSED_PAD src0_sel:BYTE_3 src1_sel:DWORD
                                        ; implicit-def: $vgpr6
	buffer_store_dword v6, off, s[0:3], s33 offset:108 ; 4-byte Folded Spill
	s_nop 0
	buffer_store_dword v7, off, s[0:3], s33 offset:112 ; 4-byte Folded Spill
	s_and_saveexec_b64 s[28:29], vcc
	s_xor_b64 s[36:37], exec, s[28:29]
	s_cbranch_execz .LBB6_26748
; %bb.26735:                            ;   in Loop: Header=BB6_25823 Depth=3
	v_cmp_ne_u32_e32 vcc, 0, v3
	v_mov_b32_e32 v6, 0
	buffer_store_dword v6, off, s[0:3], s33 offset:108 ; 4-byte Folded Spill
	s_nop 0
	buffer_store_dword v7, off, s[0:3], s33 offset:112 ; 4-byte Folded Spill
	s_and_saveexec_b64 s[38:39], vcc
	s_cbranch_execz .LBB6_26747
; %bb.26736:                            ;   in Loop: Header=BB6_25823 Depth=3
	v_bfe_u32 v6, v3, 23, 8
	v_cmp_gt_u32_e64 s[28:29], s47, v6
	v_sub_u32_e32 v3, 0x71, v6
	v_cmp_eq_u32_e32 vcc, 0, v6
	v_cndmask_b32_e64 v3, 0, v3, s[28:29]
	v_mov_b32_e32 v7, 0x70
	v_cndmask_b32_e32 v7, v3, v7, vcc
	v_or_b32_e32 v14, 0x800000, v1
	v_add_u32_e32 v3, 21, v7
	v_cndmask_b32_e32 v1, v14, v1, vcc
	v_lshlrev_b64 v[14:15], v3, -1
	v_add_u32_e32 v3, 20, v7
	v_bfi_b32 v14, v14, 0, v1
	v_lshlrev_b64 v[17:18], v3, 1
	v_lshrrev_b64 v[1:2], v7, v[1:2]
	v_bfi_b32 v15, v15, 0, 0
	v_cmp_eq_u64_e64 s[28:29], v[14:15], v[17:18]
	v_mov_b32_e32 v3, v2
	v_mov_b32_e32 v2, v1
	s_and_saveexec_b64 s[48:49], s[28:29]
; %bb.26737:                            ;   in Loop: Header=BB6_25823 Depth=3
	v_bfe_u32 v2, v1, 21, 1
	v_add_co_u32_e64 v2, s[28:29], v1, v2
	v_add_co_u32_e64 v2, s[28:29], -1, v2
; %bb.26738:                            ;   in Loop: Header=BB6_25823 Depth=3
	s_or_b64 exec, exec, s[48:49]
	v_add_u32_e32 v3, 0xffffff81, v6
	v_mov_b32_e32 v6, 0xffffff82
	v_cndmask_b32_e32 v3, v3, v6, vcc
	v_lshrrev_b32_e32 v6, 23, v1
	v_add3_u32 v7, v7, v3, v6
	v_add_u32_e32 v6, 14, v7
	v_and_b32_e32 v2, 0x1fffff, v2
	v_add_u32_e32 v1, v2, v1
	v_mov_b32_e32 v2, v33
	v_cmp_ne_u32_e32 vcc, 0, v6
                                        ; implicit-def: $vgpr3
	s_and_saveexec_b64 s[28:29], vcc
	s_xor_b64 s[28:29], exec, s[28:29]
; %bb.26739:                            ;   in Loop: Header=BB6_25823 Depth=3
	v_cmp_lt_u64_e32 vcc, s[88:89], v[1:2]
	v_add_u32_e32 v3, 15, v7
	v_cndmask_b32_e32 v3, v6, v3, vcc
	v_cndmask_b32_e64 v6, 0, 1, vcc
	v_lshrrev_b64 v[1:2], v6, v[1:2]
; %bb.26740:                            ;   in Loop: Header=BB6_25823 Depth=3
	s_andn2_saveexec_b64 s[28:29], s[28:29]
; %bb.26741:                            ;   in Loop: Header=BB6_25823 Depth=3
	v_bfe_u32 v3, v1, 23, 1
; %bb.26742:                            ;   in Loop: Header=BB6_25823 Depth=3
	s_or_b64 exec, exec, s[28:29]
	v_lshrrev_b64 v[1:2], 21, v[1:2]
	v_cmp_gt_i32_e32 vcc, 32, v3
	v_cndmask_b32_e32 v2, 0, v2, vcc
	v_cndmask_b32_e32 v1, 3, v1, vcc
	v_cmp_ne_u64_e32 vcc, 0, v[1:2]
	v_cmp_ne_u32_e64 s[28:29], 0, v3
	s_or_b64 s[28:29], s[28:29], vcc
                                        ; implicit-def: $vgpr2
	buffer_store_dword v2, off, s[0:3], s33 offset:108 ; 4-byte Folded Spill
	s_nop 0
	buffer_store_dword v3, off, s[0:3], s33 offset:112 ; 4-byte Folded Spill
	s_and_saveexec_b64 s[62:63], s[28:29]
	s_xor_b64 s[28:29], exec, s[62:63]
	s_cbranch_execz .LBB6_26744
; %bb.26743:                            ;   in Loop: Header=BB6_25823 Depth=3
	v_min_i32_e32 v2, 31, v3
	v_lshl_or_b32 v2, v2, 2, v5
	v_and_or_b32 v1, v1, 3, v2
	buffer_store_dword v1, off, s[0:3], s33 offset:108 ; 4-byte Folded Spill
	s_nop 0
	buffer_store_dword v2, off, s[0:3], s33 offset:112 ; 4-byte Folded Spill
                                        ; implicit-def: $vgpr5
.LBB6_26744:                            ;   in Loop: Header=BB6_25823 Depth=3
	s_andn2_saveexec_b64 s[28:29], s[28:29]
	s_cbranch_execz .LBB6_26746
; %bb.26745:                            ;   in Loop: Header=BB6_25823 Depth=3
	v_mov_b32_e32 v1, v5
	buffer_store_dword v1, off, s[0:3], s33 offset:108 ; 4-byte Folded Spill
	s_nop 0
	buffer_store_dword v2, off, s[0:3], s33 offset:112 ; 4-byte Folded Spill
.LBB6_26746:                            ;   in Loop: Header=BB6_25823 Depth=3
	s_or_b64 exec, exec, s[28:29]
.LBB6_26747:                            ;   in Loop: Header=BB6_25823 Depth=3
	s_or_b64 exec, exec, s[38:39]
                                        ; implicit-def: $vgpr5
.LBB6_26748:                            ;   in Loop: Header=BB6_25823 Depth=3
	s_andn2_saveexec_b64 s[28:29], s[36:37]
	s_cbranch_execz .LBB6_26750
; %bb.26749:                            ;   in Loop: Header=BB6_25823 Depth=3
	v_or_b32_e32 v1, 0x7b, v5
	buffer_store_dword v1, off, s[0:3], s33 offset:108 ; 4-byte Folded Spill
	s_nop 0
	buffer_store_dword v2, off, s[0:3], s33 offset:112 ; 4-byte Folded Spill
.LBB6_26750:                            ;   in Loop: Header=BB6_25823 Depth=3
	s_or_b64 exec, exec, s[28:29]
                                        ; implicit-def: $vgpr3
                                        ; implicit-def: $vgpr1_vgpr2
.LBB6_26751:                            ;   in Loop: Header=BB6_25823 Depth=3
	s_andn2_saveexec_b64 s[28:29], s[34:35]
	s_cbranch_execz .LBB6_26757
; %bb.26752:                            ;   in Loop: Header=BB6_25823 Depth=3
	v_cmp_ne_u64_e32 vcc, 0, v[1:2]
                                        ; implicit-def: $vgpr1
	buffer_store_dword v1, off, s[0:3], s33 offset:108 ; 4-byte Folded Spill
	s_nop 0
	buffer_store_dword v2, off, s[0:3], s33 offset:112 ; 4-byte Folded Spill
	s_and_saveexec_b64 s[62:63], vcc
	s_xor_b64 vcc, exec, s[62:63]
	s_cbranch_execz .LBB6_26754
; %bb.26753:                            ;   in Loop: Header=BB6_25823 Depth=3
	v_or_b32_sdwa v1, v3, s44 dst_sel:DWORD dst_unused:UNUSED_PAD src0_sel:BYTE_3 src1_sel:DWORD
	buffer_store_dword v1, off, s[0:3], s33 offset:108 ; 4-byte Folded Spill
	s_nop 0
	buffer_store_dword v2, off, s[0:3], s33 offset:112 ; 4-byte Folded Spill
                                        ; implicit-def: $vgpr3
.LBB6_26754:                            ;   in Loop: Header=BB6_25823 Depth=3
	s_andn2_saveexec_b64 s[34:35], vcc
	s_cbranch_execz .LBB6_26756
; %bb.26755:                            ;   in Loop: Header=BB6_25823 Depth=3
	v_cmp_lt_i32_e32 vcc, -1, v3
	v_mov_b32_e32 v1, 0x7c
	v_cndmask_b32_e32 v1, -4, v1, vcc
	buffer_store_dword v1, off, s[0:3], s33 offset:108 ; 4-byte Folded Spill
	s_nop 0
	buffer_store_dword v2, off, s[0:3], s33 offset:112 ; 4-byte Folded Spill
.LBB6_26756:                            ;   in Loop: Header=BB6_25823 Depth=3
	s_or_b64 exec, exec, s[34:35]
.LBB6_26757:                            ;   in Loop: Header=BB6_25823 Depth=3
	s_or_b64 exec, exec, s[28:29]
	flat_load_sbyte v1, v[8:9] offset:1856 glc slc
	v_mov_b32_e32 v2, 0
	s_waitcnt vmcnt(0) lgkmcnt(0)
	v_cmp_ne_u16_e32 vcc, 0, v1
	s_and_saveexec_b64 s[28:29], vcc
	s_cbranch_execz .LBB6_26765
; %bb.26758:                            ;   in Loop: Header=BB6_25823 Depth=3
	v_cmp_ne_u16_e32 vcc, s46, v1
	v_bfrev_b32_e32 v2, 1
	s_and_saveexec_b64 s[34:35], vcc
	s_cbranch_execz .LBB6_26764
; %bb.26759:                            ;   in Loop: Header=BB6_25823 Depth=3
	v_and_b32_e32 v2, 0x7c, v1
	v_and_b32_e32 v3, 3, v1
	v_cmp_ne_u32_e32 vcc, s86, v2
                                        ; implicit-def: $vgpr2
	s_and_saveexec_b64 s[62:63], vcc
	s_xor_b64 s[36:37], exec, s[62:63]
	s_cbranch_execz .LBB6_26761
; %bb.26760:                            ;   in Loop: Header=BB6_25823 Depth=3
	v_and_b32_e32 v5, 0xff, v1
	v_bfe_u32 v7, v5, 2, 5
	v_ffbh_u32_e32 v5, v3
	v_min_u32_e32 v14, 32, v5
	v_mov_b32_e32 v2, v33
	v_subrev_u32_e32 v5, 29, v14
	v_lshlrev_b64 v[5:6], v5, v[1:2]
	v_sub_u32_e32 v2, 30, v14
	v_cmp_eq_u32_e32 vcc, 0, v7
	v_and_b32_e32 v5, 3, v5
	v_cndmask_b32_e32 v2, v7, v2, vcc
	v_and_b32_sdwa v1, sext(v1), s87 dst_sel:DWORD dst_unused:UNUSED_PAD src0_sel:WORD_0 src1_sel:DWORD
	v_cndmask_b32_e32 v3, v3, v5, vcc
	v_lshl_add_u32 v1, v2, 23, v1
	v_lshl_or_b32 v1, v3, 21, v1
	v_add_u32_e32 v2, 0x38000000, v1
                                        ; implicit-def: $vgpr3
                                        ; implicit-def: $vgpr1
.LBB6_26761:                            ;   in Loop: Header=BB6_25823 Depth=3
	s_andn2_saveexec_b64 s[36:37], s[36:37]
; %bb.26762:                            ;   in Loop: Header=BB6_25823 Depth=3
	v_cmp_lt_i16_e32 vcc, -1, v1
	v_mov_b32_e32 v1, 0xff800000
	v_mov_b32_e32 v2, 0x7f800000
	v_cndmask_b32_e32 v1, v1, v2, vcc
	v_cmp_eq_u32_e32 vcc, 0, v3
	v_mov_b32_e32 v2, 0x7f800001
	v_cndmask_b32_e32 v2, v2, v1, vcc
; %bb.26763:                            ;   in Loop: Header=BB6_25823 Depth=3
	s_or_b64 exec, exec, s[36:37]
.LBB6_26764:                            ;   in Loop: Header=BB6_25823 Depth=3
	s_or_b64 exec, exec, s[34:35]
.LBB6_26765:                            ;   in Loop: Header=BB6_25823 Depth=3
	s_or_b64 exec, exec, s[28:29]
	v_mul_f32_e32 v3, v4, v2
	v_and_b32_e32 v5, 0x7f800000, v3
	v_mov_b32_e32 v6, v33
	v_cmp_ne_u64_e32 vcc, s[76:77], v[5:6]
	v_and_b32_e32 v1, 0x7fffff, v3
	v_mov_b32_e32 v2, v33
                                        ; implicit-def: $vgpr5
	buffer_store_dword v5, off, s[0:3], s33 offset:100 ; 4-byte Folded Spill
	s_nop 0
	buffer_store_dword v6, off, s[0:3], s33 offset:104 ; 4-byte Folded Spill
	s_and_saveexec_b64 s[28:29], vcc
	s_xor_b64 s[34:35], exec, s[28:29]
	s_cbranch_execz .LBB6_26783
; %bb.26766:                            ;   in Loop: Header=BB6_25823 Depth=3
	v_and_b32_e32 v5, 0x7fffffff, v3
	v_mov_b32_e32 v6, v33
	v_cmp_gt_u64_e32 vcc, s[78:79], v[5:6]
	v_and_b32_sdwa v5, v3, s97 dst_sel:DWORD dst_unused:UNUSED_PAD src0_sel:BYTE_3 src1_sel:DWORD
                                        ; implicit-def: $vgpr6
	buffer_store_dword v6, off, s[0:3], s33 offset:100 ; 4-byte Folded Spill
	s_nop 0
	buffer_store_dword v7, off, s[0:3], s33 offset:104 ; 4-byte Folded Spill
	s_and_saveexec_b64 s[28:29], vcc
	s_xor_b64 s[36:37], exec, s[28:29]
	s_cbranch_execz .LBB6_26780
; %bb.26767:                            ;   in Loop: Header=BB6_25823 Depth=3
	v_cmp_ne_u32_e32 vcc, 0, v3
	v_mov_b32_e32 v6, 0
	buffer_store_dword v6, off, s[0:3], s33 offset:100 ; 4-byte Folded Spill
	s_nop 0
	buffer_store_dword v7, off, s[0:3], s33 offset:104 ; 4-byte Folded Spill
	s_and_saveexec_b64 s[38:39], vcc
	s_cbranch_execz .LBB6_26779
; %bb.26768:                            ;   in Loop: Header=BB6_25823 Depth=3
	v_bfe_u32 v6, v3, 23, 8
	v_cmp_gt_u32_e64 s[28:29], s47, v6
	v_sub_u32_e32 v3, 0x71, v6
	v_cmp_eq_u32_e32 vcc, 0, v6
	v_cndmask_b32_e64 v3, 0, v3, s[28:29]
	v_mov_b32_e32 v7, 0x70
	v_cndmask_b32_e32 v7, v3, v7, vcc
	v_or_b32_e32 v14, 0x800000, v1
	v_add_u32_e32 v3, 21, v7
	v_cndmask_b32_e32 v1, v14, v1, vcc
	v_lshlrev_b64 v[14:15], v3, -1
	v_add_u32_e32 v3, 20, v7
	v_bfi_b32 v14, v14, 0, v1
	v_lshlrev_b64 v[17:18], v3, 1
	v_lshrrev_b64 v[1:2], v7, v[1:2]
	v_bfi_b32 v15, v15, 0, 0
	v_cmp_eq_u64_e64 s[28:29], v[14:15], v[17:18]
	v_mov_b32_e32 v3, v2
	v_mov_b32_e32 v2, v1
	s_and_saveexec_b64 s[48:49], s[28:29]
; %bb.26769:                            ;   in Loop: Header=BB6_25823 Depth=3
	v_bfe_u32 v2, v1, 21, 1
	v_add_co_u32_e64 v2, s[28:29], v1, v2
	v_add_co_u32_e64 v2, s[28:29], -1, v2
; %bb.26770:                            ;   in Loop: Header=BB6_25823 Depth=3
	s_or_b64 exec, exec, s[48:49]
	v_add_u32_e32 v3, 0xffffff81, v6
	v_mov_b32_e32 v6, 0xffffff82
	v_cndmask_b32_e32 v3, v3, v6, vcc
	v_lshrrev_b32_e32 v6, 23, v1
	v_add3_u32 v7, v7, v3, v6
	v_add_u32_e32 v6, 14, v7
	v_and_b32_e32 v2, 0x1fffff, v2
	v_add_u32_e32 v1, v2, v1
	v_mov_b32_e32 v2, v33
	v_cmp_ne_u32_e32 vcc, 0, v6
                                        ; implicit-def: $vgpr3
	s_and_saveexec_b64 s[28:29], vcc
	s_xor_b64 s[28:29], exec, s[28:29]
; %bb.26771:                            ;   in Loop: Header=BB6_25823 Depth=3
	v_cmp_lt_u64_e32 vcc, s[88:89], v[1:2]
	v_add_u32_e32 v3, 15, v7
	v_cndmask_b32_e32 v3, v6, v3, vcc
	v_cndmask_b32_e64 v6, 0, 1, vcc
	v_lshrrev_b64 v[1:2], v6, v[1:2]
; %bb.26772:                            ;   in Loop: Header=BB6_25823 Depth=3
	s_andn2_saveexec_b64 s[28:29], s[28:29]
; %bb.26773:                            ;   in Loop: Header=BB6_25823 Depth=3
	v_bfe_u32 v3, v1, 23, 1
; %bb.26774:                            ;   in Loop: Header=BB6_25823 Depth=3
	s_or_b64 exec, exec, s[28:29]
	v_lshrrev_b64 v[1:2], 21, v[1:2]
	v_cmp_gt_i32_e32 vcc, 32, v3
	v_cndmask_b32_e32 v2, 0, v2, vcc
	v_cndmask_b32_e32 v1, 3, v1, vcc
	v_cmp_ne_u64_e32 vcc, 0, v[1:2]
	v_cmp_ne_u32_e64 s[28:29], 0, v3
	s_or_b64 s[28:29], s[28:29], vcc
                                        ; implicit-def: $vgpr2
	buffer_store_dword v2, off, s[0:3], s33 offset:100 ; 4-byte Folded Spill
	s_nop 0
	buffer_store_dword v3, off, s[0:3], s33 offset:104 ; 4-byte Folded Spill
	s_and_saveexec_b64 s[62:63], s[28:29]
	s_xor_b64 s[28:29], exec, s[62:63]
	s_cbranch_execz .LBB6_26776
; %bb.26775:                            ;   in Loop: Header=BB6_25823 Depth=3
	v_min_i32_e32 v2, 31, v3
	v_lshl_or_b32 v2, v2, 2, v5
	v_and_or_b32 v1, v1, 3, v2
	buffer_store_dword v1, off, s[0:3], s33 offset:100 ; 4-byte Folded Spill
	s_nop 0
	buffer_store_dword v2, off, s[0:3], s33 offset:104 ; 4-byte Folded Spill
                                        ; implicit-def: $vgpr5
.LBB6_26776:                            ;   in Loop: Header=BB6_25823 Depth=3
	s_andn2_saveexec_b64 s[28:29], s[28:29]
	s_cbranch_execz .LBB6_26778
; %bb.26777:                            ;   in Loop: Header=BB6_25823 Depth=3
	v_mov_b32_e32 v1, v5
	buffer_store_dword v1, off, s[0:3], s33 offset:100 ; 4-byte Folded Spill
	s_nop 0
	buffer_store_dword v2, off, s[0:3], s33 offset:104 ; 4-byte Folded Spill
.LBB6_26778:                            ;   in Loop: Header=BB6_25823 Depth=3
	s_or_b64 exec, exec, s[28:29]
.LBB6_26779:                            ;   in Loop: Header=BB6_25823 Depth=3
	s_or_b64 exec, exec, s[38:39]
                                        ; implicit-def: $vgpr5
.LBB6_26780:                            ;   in Loop: Header=BB6_25823 Depth=3
	s_andn2_saveexec_b64 s[28:29], s[36:37]
	s_cbranch_execz .LBB6_26782
; %bb.26781:                            ;   in Loop: Header=BB6_25823 Depth=3
	v_or_b32_e32 v1, 0x7b, v5
	buffer_store_dword v1, off, s[0:3], s33 offset:100 ; 4-byte Folded Spill
	s_nop 0
	buffer_store_dword v2, off, s[0:3], s33 offset:104 ; 4-byte Folded Spill
.LBB6_26782:                            ;   in Loop: Header=BB6_25823 Depth=3
	s_or_b64 exec, exec, s[28:29]
                                        ; implicit-def: $vgpr3
                                        ; implicit-def: $vgpr1_vgpr2
.LBB6_26783:                            ;   in Loop: Header=BB6_25823 Depth=3
	s_andn2_saveexec_b64 s[28:29], s[34:35]
	s_cbranch_execz .LBB6_26789
; %bb.26784:                            ;   in Loop: Header=BB6_25823 Depth=3
	v_cmp_ne_u64_e32 vcc, 0, v[1:2]
                                        ; implicit-def: $vgpr1
	buffer_store_dword v1, off, s[0:3], s33 offset:100 ; 4-byte Folded Spill
	s_nop 0
	buffer_store_dword v2, off, s[0:3], s33 offset:104 ; 4-byte Folded Spill
	s_and_saveexec_b64 s[62:63], vcc
	s_xor_b64 vcc, exec, s[62:63]
	s_cbranch_execz .LBB6_26786
; %bb.26785:                            ;   in Loop: Header=BB6_25823 Depth=3
	v_or_b32_sdwa v1, v3, s44 dst_sel:DWORD dst_unused:UNUSED_PAD src0_sel:BYTE_3 src1_sel:DWORD
	buffer_store_dword v1, off, s[0:3], s33 offset:100 ; 4-byte Folded Spill
	s_nop 0
	buffer_store_dword v2, off, s[0:3], s33 offset:104 ; 4-byte Folded Spill
                                        ; implicit-def: $vgpr3
.LBB6_26786:                            ;   in Loop: Header=BB6_25823 Depth=3
	s_andn2_saveexec_b64 s[34:35], vcc
	s_cbranch_execz .LBB6_26788
; %bb.26787:                            ;   in Loop: Header=BB6_25823 Depth=3
	v_cmp_lt_i32_e32 vcc, -1, v3
	v_mov_b32_e32 v1, 0x7c
	v_cndmask_b32_e32 v1, -4, v1, vcc
	buffer_store_dword v1, off, s[0:3], s33 offset:100 ; 4-byte Folded Spill
	s_nop 0
	buffer_store_dword v2, off, s[0:3], s33 offset:104 ; 4-byte Folded Spill
.LBB6_26788:                            ;   in Loop: Header=BB6_25823 Depth=3
	s_or_b64 exec, exec, s[34:35]
.LBB6_26789:                            ;   in Loop: Header=BB6_25823 Depth=3
	s_or_b64 exec, exec, s[28:29]
	flat_load_sbyte v1, v[8:9] offset:1920 glc slc
	v_mov_b32_e32 v2, 0
	s_waitcnt vmcnt(0) lgkmcnt(0)
	v_cmp_ne_u16_e32 vcc, 0, v1
	s_and_saveexec_b64 s[28:29], vcc
	s_cbranch_execz .LBB6_26797
; %bb.26790:                            ;   in Loop: Header=BB6_25823 Depth=3
	v_cmp_ne_u16_e32 vcc, s46, v1
	v_bfrev_b32_e32 v2, 1
	s_and_saveexec_b64 s[34:35], vcc
	s_cbranch_execz .LBB6_26796
; %bb.26791:                            ;   in Loop: Header=BB6_25823 Depth=3
	v_and_b32_e32 v2, 0x7c, v1
	v_and_b32_e32 v3, 3, v1
	v_cmp_ne_u32_e32 vcc, s86, v2
                                        ; implicit-def: $vgpr2
	s_and_saveexec_b64 s[62:63], vcc
	s_xor_b64 s[36:37], exec, s[62:63]
	s_cbranch_execz .LBB6_26793
; %bb.26792:                            ;   in Loop: Header=BB6_25823 Depth=3
	v_and_b32_e32 v5, 0xff, v1
	v_bfe_u32 v7, v5, 2, 5
	v_ffbh_u32_e32 v5, v3
	v_min_u32_e32 v14, 32, v5
	v_mov_b32_e32 v2, v33
	v_subrev_u32_e32 v5, 29, v14
	v_lshlrev_b64 v[5:6], v5, v[1:2]
	v_sub_u32_e32 v2, 30, v14
	v_cmp_eq_u32_e32 vcc, 0, v7
	v_and_b32_e32 v5, 3, v5
	v_cndmask_b32_e32 v2, v7, v2, vcc
	v_and_b32_sdwa v1, sext(v1), s87 dst_sel:DWORD dst_unused:UNUSED_PAD src0_sel:WORD_0 src1_sel:DWORD
	v_cndmask_b32_e32 v3, v3, v5, vcc
	v_lshl_add_u32 v1, v2, 23, v1
	v_lshl_or_b32 v1, v3, 21, v1
	v_add_u32_e32 v2, 0x38000000, v1
                                        ; implicit-def: $vgpr3
                                        ; implicit-def: $vgpr1
.LBB6_26793:                            ;   in Loop: Header=BB6_25823 Depth=3
	s_andn2_saveexec_b64 s[36:37], s[36:37]
; %bb.26794:                            ;   in Loop: Header=BB6_25823 Depth=3
	v_cmp_lt_i16_e32 vcc, -1, v1
	v_mov_b32_e32 v1, 0xff800000
	v_mov_b32_e32 v2, 0x7f800000
	v_cndmask_b32_e32 v1, v1, v2, vcc
	v_cmp_eq_u32_e32 vcc, 0, v3
	v_mov_b32_e32 v2, 0x7f800001
	v_cndmask_b32_e32 v2, v2, v1, vcc
; %bb.26795:                            ;   in Loop: Header=BB6_25823 Depth=3
	s_or_b64 exec, exec, s[36:37]
.LBB6_26796:                            ;   in Loop: Header=BB6_25823 Depth=3
	s_or_b64 exec, exec, s[34:35]
.LBB6_26797:                            ;   in Loop: Header=BB6_25823 Depth=3
	s_or_b64 exec, exec, s[28:29]
	v_mul_f32_e32 v3, v4, v2
	v_and_b32_e32 v5, 0x7f800000, v3
	v_mov_b32_e32 v6, v33
	v_cmp_ne_u64_e32 vcc, s[76:77], v[5:6]
	v_and_b32_e32 v1, 0x7fffff, v3
	v_mov_b32_e32 v2, v33
                                        ; implicit-def: $vgpr5
	buffer_store_dword v5, off, s[0:3], s33 offset:92 ; 4-byte Folded Spill
	s_nop 0
	buffer_store_dword v6, off, s[0:3], s33 offset:96 ; 4-byte Folded Spill
	s_and_saveexec_b64 s[28:29], vcc
	s_xor_b64 s[34:35], exec, s[28:29]
	s_cbranch_execz .LBB6_26815
; %bb.26798:                            ;   in Loop: Header=BB6_25823 Depth=3
	v_and_b32_e32 v5, 0x7fffffff, v3
	v_mov_b32_e32 v6, v33
	v_cmp_gt_u64_e32 vcc, s[78:79], v[5:6]
	v_and_b32_sdwa v5, v3, s97 dst_sel:DWORD dst_unused:UNUSED_PAD src0_sel:BYTE_3 src1_sel:DWORD
                                        ; implicit-def: $vgpr6
	buffer_store_dword v6, off, s[0:3], s33 offset:92 ; 4-byte Folded Spill
	s_nop 0
	buffer_store_dword v7, off, s[0:3], s33 offset:96 ; 4-byte Folded Spill
	s_and_saveexec_b64 s[28:29], vcc
	s_xor_b64 s[36:37], exec, s[28:29]
	s_cbranch_execz .LBB6_26812
; %bb.26799:                            ;   in Loop: Header=BB6_25823 Depth=3
	v_cmp_ne_u32_e32 vcc, 0, v3
	v_mov_b32_e32 v6, 0
	buffer_store_dword v6, off, s[0:3], s33 offset:92 ; 4-byte Folded Spill
	s_nop 0
	buffer_store_dword v7, off, s[0:3], s33 offset:96 ; 4-byte Folded Spill
	s_and_saveexec_b64 s[38:39], vcc
	s_cbranch_execz .LBB6_26811
; %bb.26800:                            ;   in Loop: Header=BB6_25823 Depth=3
	v_bfe_u32 v6, v3, 23, 8
	v_cmp_gt_u32_e64 s[28:29], s47, v6
	v_sub_u32_e32 v3, 0x71, v6
	v_cmp_eq_u32_e32 vcc, 0, v6
	v_cndmask_b32_e64 v3, 0, v3, s[28:29]
	v_mov_b32_e32 v7, 0x70
	v_cndmask_b32_e32 v7, v3, v7, vcc
	v_or_b32_e32 v14, 0x800000, v1
	v_add_u32_e32 v3, 21, v7
	v_cndmask_b32_e32 v1, v14, v1, vcc
	v_lshlrev_b64 v[14:15], v3, -1
	v_add_u32_e32 v3, 20, v7
	v_bfi_b32 v14, v14, 0, v1
	v_lshlrev_b64 v[17:18], v3, 1
	v_lshrrev_b64 v[1:2], v7, v[1:2]
	v_bfi_b32 v15, v15, 0, 0
	v_cmp_eq_u64_e64 s[28:29], v[14:15], v[17:18]
	v_mov_b32_e32 v3, v2
	v_mov_b32_e32 v2, v1
	s_and_saveexec_b64 s[48:49], s[28:29]
; %bb.26801:                            ;   in Loop: Header=BB6_25823 Depth=3
	v_bfe_u32 v2, v1, 21, 1
	v_add_co_u32_e64 v2, s[28:29], v1, v2
	v_add_co_u32_e64 v2, s[28:29], -1, v2
; %bb.26802:                            ;   in Loop: Header=BB6_25823 Depth=3
	s_or_b64 exec, exec, s[48:49]
	v_add_u32_e32 v3, 0xffffff81, v6
	v_mov_b32_e32 v6, 0xffffff82
	v_cndmask_b32_e32 v3, v3, v6, vcc
	v_lshrrev_b32_e32 v6, 23, v1
	v_add3_u32 v7, v7, v3, v6
	v_add_u32_e32 v6, 14, v7
	v_and_b32_e32 v2, 0x1fffff, v2
	v_add_u32_e32 v1, v2, v1
	v_mov_b32_e32 v2, v33
	v_cmp_ne_u32_e32 vcc, 0, v6
                                        ; implicit-def: $vgpr3
	s_and_saveexec_b64 s[28:29], vcc
	s_xor_b64 s[28:29], exec, s[28:29]
; %bb.26803:                            ;   in Loop: Header=BB6_25823 Depth=3
	v_cmp_lt_u64_e32 vcc, s[88:89], v[1:2]
	v_add_u32_e32 v3, 15, v7
	v_cndmask_b32_e32 v3, v6, v3, vcc
	v_cndmask_b32_e64 v6, 0, 1, vcc
	v_lshrrev_b64 v[1:2], v6, v[1:2]
; %bb.26804:                            ;   in Loop: Header=BB6_25823 Depth=3
	s_andn2_saveexec_b64 s[28:29], s[28:29]
; %bb.26805:                            ;   in Loop: Header=BB6_25823 Depth=3
	v_bfe_u32 v3, v1, 23, 1
; %bb.26806:                            ;   in Loop: Header=BB6_25823 Depth=3
	s_or_b64 exec, exec, s[28:29]
	v_lshrrev_b64 v[1:2], 21, v[1:2]
	v_cmp_gt_i32_e32 vcc, 32, v3
	v_cndmask_b32_e32 v2, 0, v2, vcc
	v_cndmask_b32_e32 v1, 3, v1, vcc
	v_cmp_ne_u64_e32 vcc, 0, v[1:2]
	v_cmp_ne_u32_e64 s[28:29], 0, v3
	s_or_b64 s[28:29], s[28:29], vcc
                                        ; implicit-def: $vgpr2
	buffer_store_dword v2, off, s[0:3], s33 offset:92 ; 4-byte Folded Spill
	s_nop 0
	buffer_store_dword v3, off, s[0:3], s33 offset:96 ; 4-byte Folded Spill
	s_and_saveexec_b64 s[62:63], s[28:29]
	s_xor_b64 s[28:29], exec, s[62:63]
	s_cbranch_execz .LBB6_26808
; %bb.26807:                            ;   in Loop: Header=BB6_25823 Depth=3
	v_min_i32_e32 v2, 31, v3
	v_lshl_or_b32 v2, v2, 2, v5
	v_and_or_b32 v1, v1, 3, v2
	buffer_store_dword v1, off, s[0:3], s33 offset:92 ; 4-byte Folded Spill
	s_nop 0
	buffer_store_dword v2, off, s[0:3], s33 offset:96 ; 4-byte Folded Spill
                                        ; implicit-def: $vgpr5
.LBB6_26808:                            ;   in Loop: Header=BB6_25823 Depth=3
	s_andn2_saveexec_b64 s[28:29], s[28:29]
	s_cbranch_execz .LBB6_26810
; %bb.26809:                            ;   in Loop: Header=BB6_25823 Depth=3
	v_mov_b32_e32 v1, v5
	buffer_store_dword v1, off, s[0:3], s33 offset:92 ; 4-byte Folded Spill
	s_nop 0
	buffer_store_dword v2, off, s[0:3], s33 offset:96 ; 4-byte Folded Spill
.LBB6_26810:                            ;   in Loop: Header=BB6_25823 Depth=3
	s_or_b64 exec, exec, s[28:29]
.LBB6_26811:                            ;   in Loop: Header=BB6_25823 Depth=3
	s_or_b64 exec, exec, s[38:39]
                                        ; implicit-def: $vgpr5
.LBB6_26812:                            ;   in Loop: Header=BB6_25823 Depth=3
	s_andn2_saveexec_b64 s[28:29], s[36:37]
	s_cbranch_execz .LBB6_26814
; %bb.26813:                            ;   in Loop: Header=BB6_25823 Depth=3
	v_or_b32_e32 v1, 0x7b, v5
	buffer_store_dword v1, off, s[0:3], s33 offset:92 ; 4-byte Folded Spill
	s_nop 0
	buffer_store_dword v2, off, s[0:3], s33 offset:96 ; 4-byte Folded Spill
.LBB6_26814:                            ;   in Loop: Header=BB6_25823 Depth=3
	s_or_b64 exec, exec, s[28:29]
                                        ; implicit-def: $vgpr3
                                        ; implicit-def: $vgpr1_vgpr2
.LBB6_26815:                            ;   in Loop: Header=BB6_25823 Depth=3
	s_andn2_saveexec_b64 s[28:29], s[34:35]
	s_cbranch_execz .LBB6_26821
; %bb.26816:                            ;   in Loop: Header=BB6_25823 Depth=3
	v_cmp_ne_u64_e32 vcc, 0, v[1:2]
                                        ; implicit-def: $vgpr1
	buffer_store_dword v1, off, s[0:3], s33 offset:92 ; 4-byte Folded Spill
	s_nop 0
	buffer_store_dword v2, off, s[0:3], s33 offset:96 ; 4-byte Folded Spill
	s_and_saveexec_b64 s[62:63], vcc
	s_xor_b64 vcc, exec, s[62:63]
	s_cbranch_execz .LBB6_26818
; %bb.26817:                            ;   in Loop: Header=BB6_25823 Depth=3
	v_or_b32_sdwa v1, v3, s44 dst_sel:DWORD dst_unused:UNUSED_PAD src0_sel:BYTE_3 src1_sel:DWORD
	buffer_store_dword v1, off, s[0:3], s33 offset:92 ; 4-byte Folded Spill
	s_nop 0
	buffer_store_dword v2, off, s[0:3], s33 offset:96 ; 4-byte Folded Spill
                                        ; implicit-def: $vgpr3
.LBB6_26818:                            ;   in Loop: Header=BB6_25823 Depth=3
	s_andn2_saveexec_b64 s[34:35], vcc
	s_cbranch_execz .LBB6_26820
; %bb.26819:                            ;   in Loop: Header=BB6_25823 Depth=3
	v_cmp_lt_i32_e32 vcc, -1, v3
	v_mov_b32_e32 v1, 0x7c
	v_cndmask_b32_e32 v1, -4, v1, vcc
	buffer_store_dword v1, off, s[0:3], s33 offset:92 ; 4-byte Folded Spill
	s_nop 0
	buffer_store_dword v2, off, s[0:3], s33 offset:96 ; 4-byte Folded Spill
.LBB6_26820:                            ;   in Loop: Header=BB6_25823 Depth=3
	s_or_b64 exec, exec, s[34:35]
.LBB6_26821:                            ;   in Loop: Header=BB6_25823 Depth=3
	s_or_b64 exec, exec, s[28:29]
	flat_load_sbyte v1, v[8:9] offset:1984 glc slc
	v_mov_b32_e32 v2, 0
	s_waitcnt vmcnt(0) lgkmcnt(0)
	v_cmp_ne_u16_e32 vcc, 0, v1
	s_and_saveexec_b64 s[28:29], vcc
	s_cbranch_execz .LBB6_26829
; %bb.26822:                            ;   in Loop: Header=BB6_25823 Depth=3
	v_cmp_ne_u16_e32 vcc, s46, v1
	v_bfrev_b32_e32 v2, 1
	s_and_saveexec_b64 s[34:35], vcc
	s_cbranch_execz .LBB6_26828
; %bb.26823:                            ;   in Loop: Header=BB6_25823 Depth=3
	v_and_b32_e32 v2, 0x7c, v1
	v_and_b32_e32 v3, 3, v1
	v_cmp_ne_u32_e32 vcc, s86, v2
                                        ; implicit-def: $vgpr2
	s_and_saveexec_b64 s[62:63], vcc
	s_xor_b64 s[36:37], exec, s[62:63]
	s_cbranch_execz .LBB6_26825
; %bb.26824:                            ;   in Loop: Header=BB6_25823 Depth=3
	v_and_b32_e32 v5, 0xff, v1
	v_bfe_u32 v7, v5, 2, 5
	v_ffbh_u32_e32 v5, v3
	v_min_u32_e32 v14, 32, v5
	v_mov_b32_e32 v2, v33
	v_subrev_u32_e32 v5, 29, v14
	v_lshlrev_b64 v[5:6], v5, v[1:2]
	v_sub_u32_e32 v2, 30, v14
	v_cmp_eq_u32_e32 vcc, 0, v7
	v_and_b32_e32 v5, 3, v5
	v_cndmask_b32_e32 v2, v7, v2, vcc
	v_and_b32_sdwa v1, sext(v1), s87 dst_sel:DWORD dst_unused:UNUSED_PAD src0_sel:WORD_0 src1_sel:DWORD
	v_cndmask_b32_e32 v3, v3, v5, vcc
	v_lshl_add_u32 v1, v2, 23, v1
	v_lshl_or_b32 v1, v3, 21, v1
	v_add_u32_e32 v2, 0x38000000, v1
                                        ; implicit-def: $vgpr3
                                        ; implicit-def: $vgpr1
.LBB6_26825:                            ;   in Loop: Header=BB6_25823 Depth=3
	s_andn2_saveexec_b64 s[36:37], s[36:37]
; %bb.26826:                            ;   in Loop: Header=BB6_25823 Depth=3
	v_cmp_lt_i16_e32 vcc, -1, v1
	v_mov_b32_e32 v1, 0xff800000
	v_mov_b32_e32 v2, 0x7f800000
	v_cndmask_b32_e32 v1, v1, v2, vcc
	v_cmp_eq_u32_e32 vcc, 0, v3
	v_mov_b32_e32 v2, 0x7f800001
	v_cndmask_b32_e32 v2, v2, v1, vcc
; %bb.26827:                            ;   in Loop: Header=BB6_25823 Depth=3
	s_or_b64 exec, exec, s[36:37]
.LBB6_26828:                            ;   in Loop: Header=BB6_25823 Depth=3
	s_or_b64 exec, exec, s[34:35]
.LBB6_26829:                            ;   in Loop: Header=BB6_25823 Depth=3
	s_or_b64 exec, exec, s[28:29]
	v_mul_f32_e32 v3, v4, v2
	v_and_b32_e32 v4, 0x7f800000, v3
	v_mov_b32_e32 v5, v33
	v_cmp_ne_u64_e32 vcc, s[76:77], v[4:5]
	v_and_b32_e32 v1, 0x7fffff, v3
	v_mov_b32_e32 v2, v33
                                        ; implicit-def: $vgpr4
	buffer_store_dword v4, off, s[0:3], s33 offset:84 ; 4-byte Folded Spill
	s_nop 0
	buffer_store_dword v5, off, s[0:3], s33 offset:88 ; 4-byte Folded Spill
	s_and_saveexec_b64 s[28:29], vcc
	s_xor_b64 s[34:35], exec, s[28:29]
	s_cbranch_execz .LBB6_26847
; %bb.26830:                            ;   in Loop: Header=BB6_25823 Depth=3
	v_and_b32_e32 v4, 0x7fffffff, v3
	v_mov_b32_e32 v5, v33
	v_cmp_gt_u64_e32 vcc, s[78:79], v[4:5]
	v_and_b32_sdwa v4, v3, s97 dst_sel:DWORD dst_unused:UNUSED_PAD src0_sel:BYTE_3 src1_sel:DWORD
                                        ; implicit-def: $vgpr5
	buffer_store_dword v5, off, s[0:3], s33 offset:84 ; 4-byte Folded Spill
	s_nop 0
	buffer_store_dword v6, off, s[0:3], s33 offset:88 ; 4-byte Folded Spill
	s_and_saveexec_b64 s[28:29], vcc
	s_xor_b64 s[36:37], exec, s[28:29]
	s_cbranch_execz .LBB6_26844
; %bb.26831:                            ;   in Loop: Header=BB6_25823 Depth=3
	v_cmp_ne_u32_e32 vcc, 0, v3
	v_mov_b32_e32 v5, 0
	buffer_store_dword v5, off, s[0:3], s33 offset:84 ; 4-byte Folded Spill
	s_nop 0
	buffer_store_dword v6, off, s[0:3], s33 offset:88 ; 4-byte Folded Spill
	s_and_saveexec_b64 s[38:39], vcc
	s_cbranch_execz .LBB6_26843
; %bb.26832:                            ;   in Loop: Header=BB6_25823 Depth=3
	v_bfe_u32 v5, v3, 23, 8
	v_cmp_gt_u32_e64 s[28:29], s47, v5
	v_sub_u32_e32 v3, 0x71, v5
	v_cmp_eq_u32_e32 vcc, 0, v5
	v_cndmask_b32_e64 v3, 0, v3, s[28:29]
	v_mov_b32_e32 v6, 0x70
	v_cndmask_b32_e32 v6, v3, v6, vcc
	v_add_u32_e32 v3, 21, v6
	v_or_b32_e32 v7, 0x800000, v1
	v_lshlrev_b64 v[14:15], v3, -1
	v_cndmask_b32_e32 v1, v7, v1, vcc
	v_add_u32_e32 v3, 20, v6
	v_bfi_b32 v14, v14, 0, v1
	v_lshlrev_b64 v[17:18], v3, 1
	v_lshrrev_b64 v[1:2], v6, v[1:2]
	v_bfi_b32 v15, v15, 0, 0
	v_cmp_eq_u64_e64 s[28:29], v[14:15], v[17:18]
	v_mov_b32_e32 v3, v2
	v_mov_b32_e32 v2, v1
	s_and_saveexec_b64 s[48:49], s[28:29]
; %bb.26833:                            ;   in Loop: Header=BB6_25823 Depth=3
	v_bfe_u32 v2, v1, 21, 1
	v_add_co_u32_e64 v2, s[28:29], v1, v2
	v_add_co_u32_e64 v2, s[28:29], -1, v2
; %bb.26834:                            ;   in Loop: Header=BB6_25823 Depth=3
	s_or_b64 exec, exec, s[48:49]
	v_add_u32_e32 v3, 0xffffff81, v5
	v_mov_b32_e32 v5, 0xffffff82
	v_cndmask_b32_e32 v3, v3, v5, vcc
	v_lshrrev_b32_e32 v5, 23, v1
	v_add3_u32 v6, v6, v3, v5
	v_add_u32_e32 v5, 14, v6
	v_and_b32_e32 v2, 0x1fffff, v2
	v_add_u32_e32 v1, v2, v1
	v_mov_b32_e32 v2, v33
	v_cmp_ne_u32_e32 vcc, 0, v5
                                        ; implicit-def: $vgpr3
	s_and_saveexec_b64 s[28:29], vcc
	s_xor_b64 s[28:29], exec, s[28:29]
; %bb.26835:                            ;   in Loop: Header=BB6_25823 Depth=3
	v_cmp_lt_u64_e32 vcc, s[88:89], v[1:2]
	v_add_u32_e32 v3, 15, v6
	v_cndmask_b32_e32 v3, v5, v3, vcc
	v_cndmask_b32_e64 v5, 0, 1, vcc
	v_lshrrev_b64 v[1:2], v5, v[1:2]
; %bb.26836:                            ;   in Loop: Header=BB6_25823 Depth=3
	s_andn2_saveexec_b64 s[28:29], s[28:29]
; %bb.26837:                            ;   in Loop: Header=BB6_25823 Depth=3
	v_bfe_u32 v3, v1, 23, 1
; %bb.26838:                            ;   in Loop: Header=BB6_25823 Depth=3
	s_or_b64 exec, exec, s[28:29]
	v_lshrrev_b64 v[1:2], 21, v[1:2]
	v_cmp_gt_i32_e32 vcc, 32, v3
	v_cndmask_b32_e32 v2, 0, v2, vcc
	v_cndmask_b32_e32 v1, 3, v1, vcc
	v_cmp_ne_u64_e32 vcc, 0, v[1:2]
	v_cmp_ne_u32_e64 s[28:29], 0, v3
	s_or_b64 s[28:29], s[28:29], vcc
                                        ; implicit-def: $vgpr2
	buffer_store_dword v2, off, s[0:3], s33 offset:84 ; 4-byte Folded Spill
	s_nop 0
	buffer_store_dword v3, off, s[0:3], s33 offset:88 ; 4-byte Folded Spill
	s_and_saveexec_b64 s[62:63], s[28:29]
	s_xor_b64 s[28:29], exec, s[62:63]
	s_cbranch_execz .LBB6_26840
; %bb.26839:                            ;   in Loop: Header=BB6_25823 Depth=3
	v_min_i32_e32 v2, 31, v3
	v_lshl_or_b32 v2, v2, 2, v4
	v_and_or_b32 v1, v1, 3, v2
	buffer_store_dword v1, off, s[0:3], s33 offset:84 ; 4-byte Folded Spill
	s_nop 0
	buffer_store_dword v2, off, s[0:3], s33 offset:88 ; 4-byte Folded Spill
                                        ; implicit-def: $vgpr4
.LBB6_26840:                            ;   in Loop: Header=BB6_25823 Depth=3
	s_andn2_saveexec_b64 s[28:29], s[28:29]
	s_cbranch_execz .LBB6_26842
; %bb.26841:                            ;   in Loop: Header=BB6_25823 Depth=3
	v_mov_b32_e32 v1, v4
	buffer_store_dword v1, off, s[0:3], s33 offset:84 ; 4-byte Folded Spill
	s_nop 0
	buffer_store_dword v2, off, s[0:3], s33 offset:88 ; 4-byte Folded Spill
.LBB6_26842:                            ;   in Loop: Header=BB6_25823 Depth=3
	s_or_b64 exec, exec, s[28:29]
.LBB6_26843:                            ;   in Loop: Header=BB6_25823 Depth=3
	s_or_b64 exec, exec, s[38:39]
                                        ; implicit-def: $vgpr4
.LBB6_26844:                            ;   in Loop: Header=BB6_25823 Depth=3
	s_andn2_saveexec_b64 s[28:29], s[36:37]
	s_cbranch_execz .LBB6_26846
; %bb.26845:                            ;   in Loop: Header=BB6_25823 Depth=3
	v_or_b32_e32 v1, 0x7b, v4
	buffer_store_dword v1, off, s[0:3], s33 offset:84 ; 4-byte Folded Spill
	s_nop 0
	buffer_store_dword v2, off, s[0:3], s33 offset:88 ; 4-byte Folded Spill
.LBB6_26846:                            ;   in Loop: Header=BB6_25823 Depth=3
	s_or_b64 exec, exec, s[28:29]
                                        ; implicit-def: $vgpr3
                                        ; implicit-def: $vgpr1_vgpr2
.LBB6_26847:                            ;   in Loop: Header=BB6_25823 Depth=3
	s_andn2_saveexec_b64 s[28:29], s[34:35]
	s_cbranch_execz .LBB6_26853
; %bb.26848:                            ;   in Loop: Header=BB6_25823 Depth=3
	v_cmp_ne_u64_e32 vcc, 0, v[1:2]
                                        ; implicit-def: $vgpr1
	buffer_store_dword v1, off, s[0:3], s33 offset:84 ; 4-byte Folded Spill
	s_nop 0
	buffer_store_dword v2, off, s[0:3], s33 offset:88 ; 4-byte Folded Spill
	s_and_saveexec_b64 s[62:63], vcc
	s_xor_b64 vcc, exec, s[62:63]
	s_cbranch_execz .LBB6_26850
; %bb.26849:                            ;   in Loop: Header=BB6_25823 Depth=3
	v_or_b32_sdwa v1, v3, s44 dst_sel:DWORD dst_unused:UNUSED_PAD src0_sel:BYTE_3 src1_sel:DWORD
	buffer_store_dword v1, off, s[0:3], s33 offset:84 ; 4-byte Folded Spill
	s_nop 0
	buffer_store_dword v2, off, s[0:3], s33 offset:88 ; 4-byte Folded Spill
                                        ; implicit-def: $vgpr3
.LBB6_26850:                            ;   in Loop: Header=BB6_25823 Depth=3
	s_andn2_saveexec_b64 s[34:35], vcc
	s_cbranch_execz .LBB6_26852
; %bb.26851:                            ;   in Loop: Header=BB6_25823 Depth=3
	v_cmp_lt_i32_e32 vcc, -1, v3
	v_mov_b32_e32 v1, 0x7c
	v_cndmask_b32_e32 v1, -4, v1, vcc
	buffer_store_dword v1, off, s[0:3], s33 offset:84 ; 4-byte Folded Spill
	s_nop 0
	buffer_store_dword v2, off, s[0:3], s33 offset:88 ; 4-byte Folded Spill
.LBB6_26852:                            ;   in Loop: Header=BB6_25823 Depth=3
	s_or_b64 exec, exec, s[34:35]
.LBB6_26853:                            ;   in Loop: Header=BB6_25823 Depth=3
	s_or_b64 exec, exec, s[28:29]
	flat_load_sbyte v54, v[10:11] glc slc
	flat_load_sbyte v60, v[10:11] offset:64 glc slc
	flat_load_sbyte v50, v[10:11] offset:128 glc slc
	flat_load_sbyte v49, v[10:11] offset:192 glc slc
	flat_load_sbyte v41, v[10:11] offset:256 glc slc
	flat_load_sbyte v43, v[10:11] offset:320 glc slc
	flat_load_sbyte v35, v[10:11] offset:384 glc slc
	flat_load_sbyte v1, v[10:11] offset:448 glc slc
	flat_load_sbyte v15, v[10:11] offset:512 glc slc
	flat_load_sbyte v59, v[10:11] offset:576 glc slc
	flat_load_sbyte v52, v[10:11] offset:640 glc slc
	flat_load_sbyte v56, v[10:11] offset:704 glc slc
	flat_load_sbyte v45, v[10:11] offset:768 glc slc
	flat_load_sbyte v4, v[10:11] offset:832 glc slc
	flat_load_sbyte v3, v[10:11] offset:896 glc slc
	flat_load_sbyte v47, v[10:11] offset:960 glc slc
	flat_load_sbyte v30, v[10:11] offset:1024 glc slc
	flat_load_sbyte v29, v[10:11] offset:1088 glc slc
	flat_load_sbyte v28, v[10:11] offset:1152 glc slc
	flat_load_sbyte v27, v[10:11] offset:1216 glc slc
	flat_load_sbyte v22, v[10:11] offset:1280 glc slc
	flat_load_sbyte v21, v[10:11] offset:1344 glc slc
	flat_load_sbyte v20, v[10:11] offset:1408 glc slc
	flat_load_sbyte v19, v[10:11] offset:1472 glc slc
	flat_load_sbyte v18, v[10:11] offset:1536 glc slc
	flat_load_sbyte v39, v[10:11] offset:1600 glc slc
	flat_load_sbyte v14, v[10:11] offset:1664 glc slc
	flat_load_sbyte v6, v[10:11] offset:1728 glc slc
	flat_load_sbyte v58, v[10:11] offset:1792 glc slc
	flat_load_sbyte v24, v[10:11] offset:1856 glc slc
	flat_load_sbyte v26, v[10:11] offset:1920 glc slc
	flat_load_sbyte v16, v[10:11] offset:1984 glc slc
	v_and_b32_e32 v7, 0xff, v36
	v_cmp_ne_u16_e32 vcc, 0, v7
	v_mov_b32_e32 v2, 0
	v_mov_b32_e32 v5, 0
	s_waitcnt vmcnt(0) lgkmcnt(0)
	buffer_store_dword v16, off, s[0:3], s33 offset:268 ; 4-byte Folded Spill
	s_nop 0
	buffer_store_dword v17, off, s[0:3], s33 offset:272 ; 4-byte Folded Spill
	s_and_saveexec_b64 s[28:29], vcc
	s_cbranch_execz .LBB6_26861
; %bb.26854:                            ;   in Loop: Header=BB6_25823 Depth=3
	v_cmp_ne_u16_e32 vcc, s97, v7
	v_bfrev_b32_e32 v5, 1
	s_and_saveexec_b64 s[34:35], vcc
	s_cbranch_execz .LBB6_26860
; %bb.26855:                            ;   in Loop: Header=BB6_25823 Depth=3
	v_and_b32_e32 v5, 0x7c, v36
	v_and_b32_e32 v17, 3, v36
	v_cmp_ne_u32_e32 vcc, s86, v5
                                        ; implicit-def: $vgpr5
	s_and_saveexec_b64 s[62:63], vcc
	s_xor_b64 s[36:37], exec, s[62:63]
	s_cbranch_execz .LBB6_26857
; %bb.26856:                            ;   in Loop: Header=BB6_25823 Depth=3
	v_bfe_u32 v5, v7, 2, 5
	v_ffbh_u32_e32 v7, v17
	v_min_u32_e32 v7, 32, v7
	v_mov_b32_e32 v37, v33
	v_subrev_u32_e32 v16, 29, v7
	v_lshlrev_b64 v[37:38], v16, v[36:37]
	v_sub_u32_e32 v7, 30, v7
	v_and_b32_e32 v16, 3, v37
	v_cmp_eq_u32_e32 vcc, 0, v5
	v_cndmask_b32_e32 v5, v5, v7, vcc
	v_cndmask_b32_e32 v7, v17, v16, vcc
	v_lshlrev_b32_e32 v16, 24, v36
	v_and_b32_e32 v16, 0x80000000, v16
	v_lshl_add_u32 v5, v5, 23, v16
	v_lshl_or_b32 v5, v7, 21, v5
	v_add_u32_e32 v5, 0x38000000, v5
                                        ; implicit-def: $vgpr17
                                        ; implicit-def: $vgpr36
.LBB6_26857:                            ;   in Loop: Header=BB6_25823 Depth=3
	s_andn2_saveexec_b64 s[36:37], s[36:37]
; %bb.26858:                            ;   in Loop: Header=BB6_25823 Depth=3
	v_mov_b32_e32 v5, -1
	v_cmp_gt_i16_sdwa vcc, sext(v36), v5 src0_sel:BYTE_0 src1_sel:DWORD
	v_mov_b32_e32 v5, 0xff800000
	v_mov_b32_e32 v7, 0x7f800000
	v_cndmask_b32_e32 v5, v5, v7, vcc
	v_cmp_eq_u32_e32 vcc, 0, v17
	v_mov_b32_e32 v7, 0x7f800001
	v_cndmask_b32_e32 v5, v7, v5, vcc
; %bb.26859:                            ;   in Loop: Header=BB6_25823 Depth=3
	s_or_b64 exec, exec, s[36:37]
.LBB6_26860:                            ;   in Loop: Header=BB6_25823 Depth=3
	s_or_b64 exec, exec, s[34:35]
.LBB6_26861:                            ;   in Loop: Header=BB6_25823 Depth=3
	s_or_b64 exec, exec, s[28:29]
	v_cmp_ne_u16_e32 vcc, 0, v54
	s_and_saveexec_b64 s[28:29], vcc
	s_cbranch_execz .LBB6_26869
; %bb.26862:                            ;   in Loop: Header=BB6_25823 Depth=3
	v_cmp_ne_u16_e32 vcc, s46, v54
	v_bfrev_b32_e32 v2, 1
	s_and_saveexec_b64 s[34:35], vcc
	s_cbranch_execz .LBB6_26868
; %bb.26863:                            ;   in Loop: Header=BB6_25823 Depth=3
	v_and_b32_e32 v2, 0x7c, v54
	v_and_b32_e32 v7, 3, v54
	v_cmp_ne_u32_e32 vcc, s86, v2
                                        ; implicit-def: $vgpr2
	s_and_saveexec_b64 s[62:63], vcc
	s_xor_b64 s[36:37], exec, s[62:63]
	s_cbranch_execz .LBB6_26865
; %bb.26864:                            ;   in Loop: Header=BB6_25823 Depth=3
	v_ffbh_u32_e32 v16, v7
	v_min_u32_e32 v16, 32, v16
	v_and_b32_e32 v2, 0xff, v54
	v_mov_b32_e32 v55, v33
	v_subrev_u32_e32 v17, 29, v16
	v_bfe_u32 v2, v2, 2, 5
	v_lshlrev_b64 v[36:37], v17, v[54:55]
	v_sub_u32_e32 v16, 30, v16
	v_cmp_eq_u32_e32 vcc, 0, v2
	v_and_b32_e32 v17, 3, v36
	v_cndmask_b32_e32 v2, v2, v16, vcc
	v_and_b32_sdwa v16, sext(v54), s87 dst_sel:DWORD dst_unused:UNUSED_PAD src0_sel:WORD_0 src1_sel:DWORD
	v_cndmask_b32_e32 v7, v7, v17, vcc
	v_lshl_add_u32 v2, v2, 23, v16
	v_lshl_or_b32 v2, v7, 21, v2
	v_add_u32_e32 v2, 0x38000000, v2
                                        ; implicit-def: $vgpr7
                                        ; implicit-def: $vgpr54
.LBB6_26865:                            ;   in Loop: Header=BB6_25823 Depth=3
	s_andn2_saveexec_b64 s[36:37], s[36:37]
; %bb.26866:                            ;   in Loop: Header=BB6_25823 Depth=3
	v_cmp_lt_i16_e32 vcc, -1, v54
	v_mov_b32_e32 v2, 0xff800000
	v_mov_b32_e32 v16, 0x7f800000
	v_cndmask_b32_e32 v2, v2, v16, vcc
	v_cmp_eq_u32_e32 vcc, 0, v7
	v_mov_b32_e32 v7, 0x7f800001
	v_cndmask_b32_e32 v2, v7, v2, vcc
; %bb.26867:                            ;   in Loop: Header=BB6_25823 Depth=3
	s_or_b64 exec, exec, s[36:37]
.LBB6_26868:                            ;   in Loop: Header=BB6_25823 Depth=3
	s_or_b64 exec, exec, s[34:35]
.LBB6_26869:                            ;   in Loop: Header=BB6_25823 Depth=3
	s_or_b64 exec, exec, s[28:29]
	v_add_f32_e32 v5, v5, v2
	v_and_b32_e32 v37, 0x7f800000, v5
	v_mov_b32_e32 v38, v33
	v_cmp_ne_u64_e32 vcc, s[76:77], v[37:38]
	v_and_b32_e32 v36, 0x7fffff, v5
	v_mov_b32_e32 v37, v33
                                        ; implicit-def: $vgpr55
	s_and_saveexec_b64 s[28:29], vcc
	s_xor_b64 s[34:35], exec, s[28:29]
	s_cbranch_execz .LBB6_26887
; %bb.26870:                            ;   in Loop: Header=BB6_25823 Depth=3
	v_and_b32_e32 v54, 0x7fffffff, v5
	v_mov_b32_e32 v55, v33
	v_cmp_gt_u64_e32 vcc, s[78:79], v[54:55]
	v_and_b32_sdwa v2, v5, s97 dst_sel:DWORD dst_unused:UNUSED_PAD src0_sel:BYTE_3 src1_sel:DWORD
                                        ; implicit-def: $vgpr55
	s_and_saveexec_b64 s[28:29], vcc
	s_xor_b64 s[36:37], exec, s[28:29]
	s_cbranch_execz .LBB6_26884
; %bb.26871:                            ;   in Loop: Header=BB6_25823 Depth=3
	v_cmp_ne_u32_e32 vcc, 0, v5
	v_mov_b32_e32 v55, 0
	s_and_saveexec_b64 s[38:39], vcc
	s_cbranch_execz .LBB6_26883
; %bb.26872:                            ;   in Loop: Header=BB6_25823 Depth=3
	v_bfe_u32 v5, v5, 23, 8
	v_cmp_gt_u32_e64 s[28:29], s47, v5
	v_sub_u32_e32 v7, 0x71, v5
	v_cmp_eq_u32_e32 vcc, 0, v5
	v_cndmask_b32_e64 v7, 0, v7, s[28:29]
	v_mov_b32_e32 v17, 0x70
	v_or_b32_e32 v16, 0x800000, v36
	v_cndmask_b32_e32 v7, v7, v17, vcc
	v_cndmask_b32_e32 v36, v16, v36, vcc
	v_add_u32_e32 v16, 21, v7
	v_lshlrev_b64 v[54:55], v16, -1
	v_add_u32_e32 v16, 20, v7
	v_bfi_b32 v54, v54, 0, v36
	v_lshlrev_b64 v[16:17], v16, 1
	v_lshrrev_b64 v[36:37], v7, v[36:37]
	v_bfi_b32 v55, v55, 0, 0
	v_cmp_eq_u64_e64 s[28:29], v[54:55], v[16:17]
	v_mov_b32_e32 v55, v37
	v_mov_b32_e32 v54, v36
	s_and_saveexec_b64 s[48:49], s[28:29]
; %bb.26873:                            ;   in Loop: Header=BB6_25823 Depth=3
	v_bfe_u32 v16, v36, 21, 1
	v_add_co_u32_e64 v16, s[28:29], v36, v16
	v_add_co_u32_e64 v54, s[28:29], -1, v16
; %bb.26874:                            ;   in Loop: Header=BB6_25823 Depth=3
	s_or_b64 exec, exec, s[48:49]
	v_add_u32_e32 v5, 0xffffff81, v5
	v_mov_b32_e32 v16, 0xffffff82
	v_cndmask_b32_e32 v5, v5, v16, vcc
	v_lshrrev_b32_e32 v16, 23, v36
	v_add3_u32 v17, v7, v5, v16
	v_add_u32_e32 v7, 14, v17
	v_and_b32_e32 v5, 0x1fffff, v54
	v_add_u32_e32 v36, v5, v36
	v_mov_b32_e32 v37, v33
	v_cmp_ne_u32_e32 vcc, 0, v7
                                        ; implicit-def: $vgpr5
	s_and_saveexec_b64 s[28:29], vcc
	s_xor_b64 s[28:29], exec, s[28:29]
; %bb.26875:                            ;   in Loop: Header=BB6_25823 Depth=3
	v_cmp_lt_u64_e32 vcc, s[88:89], v[36:37]
	v_add_u32_e32 v5, 15, v17
	v_cndmask_b32_e32 v5, v7, v5, vcc
	v_cndmask_b32_e64 v7, 0, 1, vcc
	v_lshrrev_b64 v[36:37], v7, v[36:37]
; %bb.26876:                            ;   in Loop: Header=BB6_25823 Depth=3
	s_andn2_saveexec_b64 s[28:29], s[28:29]
; %bb.26877:                            ;   in Loop: Header=BB6_25823 Depth=3
	v_bfe_u32 v5, v36, 23, 1
; %bb.26878:                            ;   in Loop: Header=BB6_25823 Depth=3
	s_or_b64 exec, exec, s[28:29]
	v_lshrrev_b64 v[16:17], 21, v[36:37]
	v_cmp_gt_i32_e32 vcc, 32, v5
	v_cndmask_b32_e32 v37, 0, v17, vcc
	v_cndmask_b32_e32 v36, 3, v16, vcc
	v_cmp_ne_u64_e32 vcc, 0, v[36:37]
	v_cmp_ne_u32_e64 s[28:29], 0, v5
	s_or_b64 s[28:29], s[28:29], vcc
                                        ; implicit-def: $vgpr55
	s_and_saveexec_b64 s[62:63], s[28:29]
	s_xor_b64 s[28:29], exec, s[62:63]
; %bb.26879:                            ;   in Loop: Header=BB6_25823 Depth=3
	v_min_i32_e32 v5, 31, v5
	v_lshl_or_b32 v2, v5, 2, v2
	v_and_or_b32 v55, v36, 3, v2
                                        ; implicit-def: $vgpr2
; %bb.26880:                            ;   in Loop: Header=BB6_25823 Depth=3
	s_andn2_saveexec_b64 s[28:29], s[28:29]
; %bb.26881:                            ;   in Loop: Header=BB6_25823 Depth=3
	v_mov_b32_e32 v55, v2
; %bb.26882:                            ;   in Loop: Header=BB6_25823 Depth=3
	s_or_b64 exec, exec, s[28:29]
.LBB6_26883:                            ;   in Loop: Header=BB6_25823 Depth=3
	s_or_b64 exec, exec, s[38:39]
                                        ; implicit-def: $vgpr2
.LBB6_26884:                            ;   in Loop: Header=BB6_25823 Depth=3
	s_andn2_saveexec_b64 s[28:29], s[36:37]
; %bb.26885:                            ;   in Loop: Header=BB6_25823 Depth=3
	v_or_b32_e32 v55, 0x7b, v2
; %bb.26886:                            ;   in Loop: Header=BB6_25823 Depth=3
	s_or_b64 exec, exec, s[28:29]
                                        ; implicit-def: $vgpr5
                                        ; implicit-def: $vgpr36_vgpr37
.LBB6_26887:                            ;   in Loop: Header=BB6_25823 Depth=3
	s_andn2_saveexec_b64 s[28:29], s[34:35]
	s_cbranch_execz .LBB6_26893
; %bb.26888:                            ;   in Loop: Header=BB6_25823 Depth=3
	v_cmp_ne_u64_e32 vcc, 0, v[36:37]
                                        ; implicit-def: $vgpr55
	s_and_saveexec_b64 s[62:63], vcc
	s_xor_b64 vcc, exec, s[62:63]
; %bb.26889:                            ;   in Loop: Header=BB6_25823 Depth=3
	v_or_b32_sdwa v55, v5, s44 dst_sel:DWORD dst_unused:UNUSED_PAD src0_sel:BYTE_3 src1_sel:DWORD
                                        ; implicit-def: $vgpr5
; %bb.26890:                            ;   in Loop: Header=BB6_25823 Depth=3
	s_andn2_saveexec_b64 s[34:35], vcc
; %bb.26891:                            ;   in Loop: Header=BB6_25823 Depth=3
	v_cmp_lt_i32_e32 vcc, -1, v5
	v_mov_b32_e32 v2, 0x7c
	v_cndmask_b32_e32 v55, -4, v2, vcc
; %bb.26892:                            ;   in Loop: Header=BB6_25823 Depth=3
	s_or_b64 exec, exec, s[34:35]
.LBB6_26893:                            ;   in Loop: Header=BB6_25823 Depth=3
	s_or_b64 exec, exec, s[28:29]
	v_and_b32_e32 v17, 0xff, v53
	v_cmp_ne_u16_e32 vcc, 0, v17
	v_mov_b32_e32 v2, 0
	v_mov_b32_e32 v5, 0
	s_and_saveexec_b64 s[28:29], vcc
	s_cbranch_execz .LBB6_26901
; %bb.26894:                            ;   in Loop: Header=BB6_25823 Depth=3
	v_cmp_ne_u16_e32 vcc, s97, v17
	v_bfrev_b32_e32 v5, 1
	s_and_saveexec_b64 s[34:35], vcc
	s_cbranch_execz .LBB6_26900
; %bb.26895:                            ;   in Loop: Header=BB6_25823 Depth=3
	v_and_b32_e32 v5, 0x7c, v53
	v_and_b32_e32 v7, 3, v53
	v_cmp_ne_u32_e32 vcc, s86, v5
                                        ; implicit-def: $vgpr5
	s_and_saveexec_b64 s[62:63], vcc
	s_xor_b64 s[36:37], exec, s[62:63]
	s_cbranch_execz .LBB6_26897
; %bb.26896:                            ;   in Loop: Header=BB6_25823 Depth=3
	v_ffbh_u32_e32 v16, v7
	v_min_u32_e32 v23, 32, v16
	v_mov_b32_e32 v54, v33
	v_subrev_u32_e32 v16, 29, v23
	v_bfe_u32 v5, v17, 2, 5
	v_lshlrev_b64 v[16:17], v16, v[53:54]
	v_cmp_eq_u32_e32 vcc, 0, v5
	v_and_b32_e32 v16, 3, v16
	v_sub_u32_e32 v17, 30, v23
	v_cndmask_b32_e32 v7, v7, v16, vcc
	v_lshlrev_b32_e32 v16, 24, v53
	v_cndmask_b32_e32 v5, v5, v17, vcc
	v_and_b32_e32 v16, 0x80000000, v16
	v_lshl_add_u32 v5, v5, 23, v16
	v_lshl_or_b32 v5, v7, 21, v5
	v_add_u32_e32 v5, 0x38000000, v5
                                        ; implicit-def: $vgpr7
                                        ; implicit-def: $vgpr53
.LBB6_26897:                            ;   in Loop: Header=BB6_25823 Depth=3
	s_andn2_saveexec_b64 s[36:37], s[36:37]
; %bb.26898:                            ;   in Loop: Header=BB6_25823 Depth=3
	v_mov_b32_e32 v5, -1
	v_cmp_gt_i16_sdwa vcc, sext(v53), v5 src0_sel:BYTE_0 src1_sel:DWORD
	v_mov_b32_e32 v5, 0xff800000
	v_mov_b32_e32 v16, 0x7f800000
	v_cndmask_b32_e32 v5, v5, v16, vcc
	v_cmp_eq_u32_e32 vcc, 0, v7
	v_mov_b32_e32 v7, 0x7f800001
	v_cndmask_b32_e32 v5, v7, v5, vcc
; %bb.26899:                            ;   in Loop: Header=BB6_25823 Depth=3
	s_or_b64 exec, exec, s[36:37]
.LBB6_26900:                            ;   in Loop: Header=BB6_25823 Depth=3
	s_or_b64 exec, exec, s[34:35]
.LBB6_26901:                            ;   in Loop: Header=BB6_25823 Depth=3
	s_or_b64 exec, exec, s[28:29]
	v_cmp_ne_u16_e32 vcc, 0, v60
	s_and_saveexec_b64 s[28:29], vcc
	s_cbranch_execz .LBB6_26909
; %bb.26902:                            ;   in Loop: Header=BB6_25823 Depth=3
	v_cmp_ne_u16_e32 vcc, s46, v60
	v_bfrev_b32_e32 v2, 1
	s_and_saveexec_b64 s[34:35], vcc
	s_cbranch_execz .LBB6_26908
; %bb.26903:                            ;   in Loop: Header=BB6_25823 Depth=3
	v_and_b32_e32 v2, 0x7c, v60
	v_and_b32_e32 v7, 3, v60
	v_cmp_ne_u32_e32 vcc, s86, v2
                                        ; implicit-def: $vgpr2
	s_and_saveexec_b64 s[62:63], vcc
	s_xor_b64 s[36:37], exec, s[62:63]
	s_cbranch_execz .LBB6_26905
; %bb.26904:                            ;   in Loop: Header=BB6_25823 Depth=3
	v_ffbh_u32_e32 v16, v7
	v_min_u32_e32 v23, 32, v16
	v_mov_b32_e32 v61, v33
	v_subrev_u32_e32 v16, 29, v23
	v_and_b32_e32 v2, 0xff, v60
	v_lshlrev_b64 v[16:17], v16, v[60:61]
	v_bfe_u32 v2, v2, 2, 5
	v_sub_u32_e32 v17, 30, v23
	v_and_b32_e32 v16, 3, v16
	v_cmp_eq_u32_e32 vcc, 0, v2
	v_cndmask_b32_e32 v2, v2, v17, vcc
	v_cndmask_b32_e32 v7, v7, v16, vcc
	v_and_b32_sdwa v16, sext(v60), s87 dst_sel:DWORD dst_unused:UNUSED_PAD src0_sel:WORD_0 src1_sel:DWORD
	v_lshl_add_u32 v2, v2, 23, v16
	v_lshl_or_b32 v2, v7, 21, v2
	v_add_u32_e32 v2, 0x38000000, v2
                                        ; implicit-def: $vgpr7
                                        ; implicit-def: $vgpr60
.LBB6_26905:                            ;   in Loop: Header=BB6_25823 Depth=3
	s_andn2_saveexec_b64 s[36:37], s[36:37]
; %bb.26906:                            ;   in Loop: Header=BB6_25823 Depth=3
	v_cmp_lt_i16_e32 vcc, -1, v60
	v_mov_b32_e32 v2, 0xff800000
	v_mov_b32_e32 v16, 0x7f800000
	v_cndmask_b32_e32 v2, v2, v16, vcc
	v_cmp_eq_u32_e32 vcc, 0, v7
	v_mov_b32_e32 v7, 0x7f800001
	v_cndmask_b32_e32 v2, v7, v2, vcc
; %bb.26907:                            ;   in Loop: Header=BB6_25823 Depth=3
	s_or_b64 exec, exec, s[36:37]
.LBB6_26908:                            ;   in Loop: Header=BB6_25823 Depth=3
	s_or_b64 exec, exec, s[34:35]
.LBB6_26909:                            ;   in Loop: Header=BB6_25823 Depth=3
	s_or_b64 exec, exec, s[28:29]
	v_add_f32_e32 v5, v5, v2
	v_and_b32_e32 v16, 0x7f800000, v5
	v_mov_b32_e32 v17, v33
	v_cmp_ne_u64_e32 vcc, s[76:77], v[16:17]
	v_and_b32_e32 v36, 0x7fffff, v5
	v_mov_b32_e32 v37, v33
                                        ; implicit-def: $vgpr54
	s_and_saveexec_b64 s[28:29], vcc
	s_xor_b64 s[34:35], exec, s[28:29]
	s_cbranch_execz .LBB6_26927
; %bb.26910:                            ;   in Loop: Header=BB6_25823 Depth=3
	v_and_b32_e32 v16, 0x7fffffff, v5
	v_mov_b32_e32 v17, v33
	v_cmp_gt_u64_e32 vcc, s[78:79], v[16:17]
	v_and_b32_sdwa v2, v5, s97 dst_sel:DWORD dst_unused:UNUSED_PAD src0_sel:BYTE_3 src1_sel:DWORD
                                        ; implicit-def: $vgpr54
	s_and_saveexec_b64 s[28:29], vcc
	s_xor_b64 s[36:37], exec, s[28:29]
	s_cbranch_execz .LBB6_26924
; %bb.26911:                            ;   in Loop: Header=BB6_25823 Depth=3
	v_cmp_ne_u32_e32 vcc, 0, v5
	v_mov_b32_e32 v54, 0
	s_and_saveexec_b64 s[38:39], vcc
	s_cbranch_execz .LBB6_26923
; %bb.26912:                            ;   in Loop: Header=BB6_25823 Depth=3
	v_bfe_u32 v5, v5, 23, 8
	v_cmp_gt_u32_e64 s[28:29], s47, v5
	v_sub_u32_e32 v7, 0x71, v5
	v_cmp_eq_u32_e32 vcc, 0, v5
	v_cndmask_b32_e64 v7, 0, v7, s[28:29]
	v_mov_b32_e32 v17, 0x70
	v_or_b32_e32 v16, 0x800000, v36
	v_cndmask_b32_e32 v7, v7, v17, vcc
	v_cndmask_b32_e32 v36, v16, v36, vcc
	v_add_u32_e32 v16, 21, v7
	v_lshlrev_b64 v[16:17], v16, -1
	v_add_u32_e32 v23, 20, v7
	v_bfi_b32 v16, v16, 0, v36
	v_lshlrev_b64 v[53:54], v23, 1
	v_lshrrev_b64 v[36:37], v7, v[36:37]
	v_bfi_b32 v17, v17, 0, 0
	v_cmp_eq_u64_e64 s[28:29], v[16:17], v[53:54]
	v_mov_b32_e32 v54, v37
	v_mov_b32_e32 v53, v36
	s_and_saveexec_b64 s[48:49], s[28:29]
; %bb.26913:                            ;   in Loop: Header=BB6_25823 Depth=3
	v_bfe_u32 v16, v36, 21, 1
	v_add_co_u32_e64 v16, s[28:29], v36, v16
	v_add_co_u32_e64 v53, s[28:29], -1, v16
; %bb.26914:                            ;   in Loop: Header=BB6_25823 Depth=3
	s_or_b64 exec, exec, s[48:49]
	v_add_u32_e32 v5, 0xffffff81, v5
	v_mov_b32_e32 v16, 0xffffff82
	v_cndmask_b32_e32 v5, v5, v16, vcc
	v_lshrrev_b32_e32 v16, 23, v36
	v_add3_u32 v17, v7, v5, v16
	v_add_u32_e32 v7, 14, v17
	v_and_b32_e32 v5, 0x1fffff, v53
	v_add_u32_e32 v36, v5, v36
	v_mov_b32_e32 v37, v33
	v_cmp_ne_u32_e32 vcc, 0, v7
                                        ; implicit-def: $vgpr5
	s_and_saveexec_b64 s[28:29], vcc
	s_xor_b64 s[28:29], exec, s[28:29]
; %bb.26915:                            ;   in Loop: Header=BB6_25823 Depth=3
	v_cmp_lt_u64_e32 vcc, s[88:89], v[36:37]
	v_add_u32_e32 v5, 15, v17
	v_cndmask_b32_e32 v5, v7, v5, vcc
	v_cndmask_b32_e64 v7, 0, 1, vcc
	v_lshrrev_b64 v[36:37], v7, v[36:37]
; %bb.26916:                            ;   in Loop: Header=BB6_25823 Depth=3
	s_andn2_saveexec_b64 s[28:29], s[28:29]
; %bb.26917:                            ;   in Loop: Header=BB6_25823 Depth=3
	v_bfe_u32 v5, v36, 23, 1
; %bb.26918:                            ;   in Loop: Header=BB6_25823 Depth=3
	s_or_b64 exec, exec, s[28:29]
	v_lshrrev_b64 v[16:17], 21, v[36:37]
	v_cmp_gt_i32_e32 vcc, 32, v5
	v_cndmask_b32_e32 v37, 0, v17, vcc
	v_cndmask_b32_e32 v36, 3, v16, vcc
	v_cmp_ne_u64_e32 vcc, 0, v[36:37]
	v_cmp_ne_u32_e64 s[28:29], 0, v5
	s_or_b64 s[28:29], s[28:29], vcc
                                        ; implicit-def: $vgpr54
	s_and_saveexec_b64 s[62:63], s[28:29]
	s_xor_b64 s[28:29], exec, s[62:63]
; %bb.26919:                            ;   in Loop: Header=BB6_25823 Depth=3
	v_min_i32_e32 v5, 31, v5
	v_lshl_or_b32 v2, v5, 2, v2
	v_and_or_b32 v54, v36, 3, v2
                                        ; implicit-def: $vgpr2
; %bb.26920:                            ;   in Loop: Header=BB6_25823 Depth=3
	s_andn2_saveexec_b64 s[28:29], s[28:29]
; %bb.26921:                            ;   in Loop: Header=BB6_25823 Depth=3
	v_mov_b32_e32 v54, v2
; %bb.26922:                            ;   in Loop: Header=BB6_25823 Depth=3
	s_or_b64 exec, exec, s[28:29]
.LBB6_26923:                            ;   in Loop: Header=BB6_25823 Depth=3
	s_or_b64 exec, exec, s[38:39]
                                        ; implicit-def: $vgpr2
.LBB6_26924:                            ;   in Loop: Header=BB6_25823 Depth=3
	s_andn2_saveexec_b64 s[28:29], s[36:37]
; %bb.26925:                            ;   in Loop: Header=BB6_25823 Depth=3
	v_or_b32_e32 v54, 0x7b, v2
; %bb.26926:                            ;   in Loop: Header=BB6_25823 Depth=3
	s_or_b64 exec, exec, s[28:29]
                                        ; implicit-def: $vgpr5
                                        ; implicit-def: $vgpr36_vgpr37
.LBB6_26927:                            ;   in Loop: Header=BB6_25823 Depth=3
	s_andn2_saveexec_b64 s[28:29], s[34:35]
	s_cbranch_execz .LBB6_26933
; %bb.26928:                            ;   in Loop: Header=BB6_25823 Depth=3
	v_cmp_ne_u64_e32 vcc, 0, v[36:37]
                                        ; implicit-def: $vgpr54
	s_and_saveexec_b64 s[62:63], vcc
	s_xor_b64 vcc, exec, s[62:63]
; %bb.26929:                            ;   in Loop: Header=BB6_25823 Depth=3
	v_or_b32_sdwa v54, v5, s44 dst_sel:DWORD dst_unused:UNUSED_PAD src0_sel:BYTE_3 src1_sel:DWORD
                                        ; implicit-def: $vgpr5
; %bb.26930:                            ;   in Loop: Header=BB6_25823 Depth=3
	s_andn2_saveexec_b64 s[34:35], vcc
; %bb.26931:                            ;   in Loop: Header=BB6_25823 Depth=3
	v_cmp_lt_i32_e32 vcc, -1, v5
	v_mov_b32_e32 v2, 0x7c
	v_cndmask_b32_e32 v54, -4, v2, vcc
; %bb.26932:                            ;   in Loop: Header=BB6_25823 Depth=3
	s_or_b64 exec, exec, s[34:35]
.LBB6_26933:                            ;   in Loop: Header=BB6_25823 Depth=3
	s_or_b64 exec, exec, s[28:29]
	v_and_b32_e32 v17, 0xff, v31
	v_cmp_ne_u16_e32 vcc, 0, v17
	v_mov_b32_e32 v2, 0
	v_mov_b32_e32 v5, 0
	s_and_saveexec_b64 s[28:29], vcc
	s_cbranch_execz .LBB6_26941
; %bb.26934:                            ;   in Loop: Header=BB6_25823 Depth=3
	v_cmp_ne_u16_e32 vcc, s97, v17
	v_bfrev_b32_e32 v5, 1
	s_and_saveexec_b64 s[34:35], vcc
	s_cbranch_execz .LBB6_26940
; %bb.26935:                            ;   in Loop: Header=BB6_25823 Depth=3
	v_and_b32_e32 v5, 0x7c, v31
	v_and_b32_e32 v7, 3, v31
	v_cmp_ne_u32_e32 vcc, s86, v5
                                        ; implicit-def: $vgpr5
	s_and_saveexec_b64 s[62:63], vcc
	s_xor_b64 s[36:37], exec, s[62:63]
	s_cbranch_execz .LBB6_26937
; %bb.26936:                            ;   in Loop: Header=BB6_25823 Depth=3
	v_ffbh_u32_e32 v16, v7
	v_min_u32_e32 v23, 32, v16
	v_mov_b32_e32 v32, v33
	v_subrev_u32_e32 v16, 29, v23
	v_bfe_u32 v5, v17, 2, 5
	v_lshlrev_b64 v[16:17], v16, v[31:32]
	v_cmp_eq_u32_e32 vcc, 0, v5
	v_and_b32_e32 v16, 3, v16
	v_sub_u32_e32 v17, 30, v23
	v_cndmask_b32_e32 v7, v7, v16, vcc
	v_lshlrev_b32_e32 v16, 24, v31
	v_cndmask_b32_e32 v5, v5, v17, vcc
	v_and_b32_e32 v16, 0x80000000, v16
	v_lshl_add_u32 v5, v5, 23, v16
	v_lshl_or_b32 v5, v7, 21, v5
	v_add_u32_e32 v5, 0x38000000, v5
                                        ; implicit-def: $vgpr7
                                        ; implicit-def: $vgpr31
.LBB6_26937:                            ;   in Loop: Header=BB6_25823 Depth=3
	s_andn2_saveexec_b64 s[36:37], s[36:37]
; %bb.26938:                            ;   in Loop: Header=BB6_25823 Depth=3
	v_mov_b32_e32 v5, -1
	v_cmp_gt_i16_sdwa vcc, sext(v31), v5 src0_sel:BYTE_0 src1_sel:DWORD
	v_mov_b32_e32 v5, 0xff800000
	v_mov_b32_e32 v16, 0x7f800000
	v_cndmask_b32_e32 v5, v5, v16, vcc
	v_cmp_eq_u32_e32 vcc, 0, v7
	v_mov_b32_e32 v7, 0x7f800001
	v_cndmask_b32_e32 v5, v7, v5, vcc
; %bb.26939:                            ;   in Loop: Header=BB6_25823 Depth=3
	s_or_b64 exec, exec, s[36:37]
.LBB6_26940:                            ;   in Loop: Header=BB6_25823 Depth=3
	s_or_b64 exec, exec, s[34:35]
.LBB6_26941:                            ;   in Loop: Header=BB6_25823 Depth=3
	s_or_b64 exec, exec, s[28:29]
	v_cmp_ne_u16_e32 vcc, 0, v50
	s_and_saveexec_b64 s[28:29], vcc
	s_cbranch_execz .LBB6_26949
; %bb.26942:                            ;   in Loop: Header=BB6_25823 Depth=3
	v_cmp_ne_u16_e32 vcc, s46, v50
	v_bfrev_b32_e32 v2, 1
	s_and_saveexec_b64 s[34:35], vcc
	s_cbranch_execz .LBB6_26948
; %bb.26943:                            ;   in Loop: Header=BB6_25823 Depth=3
	v_and_b32_e32 v2, 0x7c, v50
	v_and_b32_e32 v7, 3, v50
	v_cmp_ne_u32_e32 vcc, s86, v2
                                        ; implicit-def: $vgpr2
	s_and_saveexec_b64 s[62:63], vcc
	s_xor_b64 s[36:37], exec, s[62:63]
	s_cbranch_execz .LBB6_26945
; %bb.26944:                            ;   in Loop: Header=BB6_25823 Depth=3
	v_ffbh_u32_e32 v16, v7
	v_min_u32_e32 v23, 32, v16
	v_mov_b32_e32 v51, v33
	v_subrev_u32_e32 v16, 29, v23
	v_and_b32_e32 v2, 0xff, v50
	v_lshlrev_b64 v[16:17], v16, v[50:51]
	v_bfe_u32 v2, v2, 2, 5
	v_sub_u32_e32 v17, 30, v23
	v_and_b32_e32 v16, 3, v16
	v_cmp_eq_u32_e32 vcc, 0, v2
	v_cndmask_b32_e32 v2, v2, v17, vcc
	v_cndmask_b32_e32 v7, v7, v16, vcc
	v_and_b32_sdwa v16, sext(v50), s87 dst_sel:DWORD dst_unused:UNUSED_PAD src0_sel:WORD_0 src1_sel:DWORD
	v_lshl_add_u32 v2, v2, 23, v16
	v_lshl_or_b32 v2, v7, 21, v2
	v_add_u32_e32 v2, 0x38000000, v2
                                        ; implicit-def: $vgpr7
                                        ; implicit-def: $vgpr50
.LBB6_26945:                            ;   in Loop: Header=BB6_25823 Depth=3
	s_andn2_saveexec_b64 s[36:37], s[36:37]
; %bb.26946:                            ;   in Loop: Header=BB6_25823 Depth=3
	v_cmp_lt_i16_e32 vcc, -1, v50
	v_mov_b32_e32 v2, 0xff800000
	v_mov_b32_e32 v16, 0x7f800000
	v_cndmask_b32_e32 v2, v2, v16, vcc
	v_cmp_eq_u32_e32 vcc, 0, v7
	v_mov_b32_e32 v7, 0x7f800001
	v_cndmask_b32_e32 v2, v7, v2, vcc
; %bb.26947:                            ;   in Loop: Header=BB6_25823 Depth=3
	s_or_b64 exec, exec, s[36:37]
.LBB6_26948:                            ;   in Loop: Header=BB6_25823 Depth=3
	s_or_b64 exec, exec, s[34:35]
.LBB6_26949:                            ;   in Loop: Header=BB6_25823 Depth=3
	s_or_b64 exec, exec, s[28:29]
	v_add_f32_e32 v5, v5, v2
	v_and_b32_e32 v16, 0x7f800000, v5
	v_mov_b32_e32 v17, v33
	v_cmp_ne_u64_e32 vcc, s[76:77], v[16:17]
	v_and_b32_e32 v31, 0x7fffff, v5
	v_mov_b32_e32 v32, v33
                                        ; implicit-def: $vgpr37
	s_and_saveexec_b64 s[28:29], vcc
	s_xor_b64 s[34:35], exec, s[28:29]
	s_cbranch_execz .LBB6_26967
; %bb.26950:                            ;   in Loop: Header=BB6_25823 Depth=3
	v_and_b32_e32 v16, 0x7fffffff, v5
	v_mov_b32_e32 v17, v33
	v_cmp_gt_u64_e32 vcc, s[78:79], v[16:17]
	v_and_b32_sdwa v2, v5, s97 dst_sel:DWORD dst_unused:UNUSED_PAD src0_sel:BYTE_3 src1_sel:DWORD
                                        ; implicit-def: $vgpr37
	s_and_saveexec_b64 s[28:29], vcc
	s_xor_b64 s[36:37], exec, s[28:29]
	s_cbranch_execz .LBB6_26964
; %bb.26951:                            ;   in Loop: Header=BB6_25823 Depth=3
	v_cmp_ne_u32_e32 vcc, 0, v5
	v_mov_b32_e32 v37, 0
	s_and_saveexec_b64 s[38:39], vcc
	s_cbranch_execz .LBB6_26963
; %bb.26952:                            ;   in Loop: Header=BB6_25823 Depth=3
	v_bfe_u32 v5, v5, 23, 8
	v_cmp_gt_u32_e64 s[28:29], s47, v5
	v_sub_u32_e32 v7, 0x71, v5
	v_cmp_eq_u32_e32 vcc, 0, v5
	v_cndmask_b32_e64 v7, 0, v7, s[28:29]
	v_mov_b32_e32 v17, 0x70
	v_or_b32_e32 v16, 0x800000, v31
	v_cndmask_b32_e32 v7, v7, v17, vcc
	v_cndmask_b32_e32 v31, v16, v31, vcc
	v_add_u32_e32 v16, 21, v7
	v_lshlrev_b64 v[16:17], v16, -1
	v_add_u32_e32 v23, 20, v7
	v_bfi_b32 v16, v16, 0, v31
	v_lshlrev_b64 v[36:37], v23, 1
	v_lshrrev_b64 v[31:32], v7, v[31:32]
	v_bfi_b32 v17, v17, 0, 0
	v_cmp_eq_u64_e64 s[28:29], v[16:17], v[36:37]
	v_mov_b32_e32 v37, v32
	v_mov_b32_e32 v36, v31
	s_and_saveexec_b64 s[48:49], s[28:29]
; %bb.26953:                            ;   in Loop: Header=BB6_25823 Depth=3
	v_bfe_u32 v16, v31, 21, 1
	v_add_co_u32_e64 v16, s[28:29], v31, v16
	v_add_co_u32_e64 v36, s[28:29], -1, v16
; %bb.26954:                            ;   in Loop: Header=BB6_25823 Depth=3
	s_or_b64 exec, exec, s[48:49]
	v_add_u32_e32 v5, 0xffffff81, v5
	v_mov_b32_e32 v16, 0xffffff82
	v_cndmask_b32_e32 v5, v5, v16, vcc
	v_lshrrev_b32_e32 v16, 23, v31
	v_add3_u32 v17, v7, v5, v16
	v_add_u32_e32 v7, 14, v17
	v_and_b32_e32 v5, 0x1fffff, v36
	v_add_u32_e32 v31, v5, v31
	v_mov_b32_e32 v32, v33
	v_cmp_ne_u32_e32 vcc, 0, v7
                                        ; implicit-def: $vgpr5
	s_and_saveexec_b64 s[28:29], vcc
	s_xor_b64 s[28:29], exec, s[28:29]
; %bb.26955:                            ;   in Loop: Header=BB6_25823 Depth=3
	v_cmp_lt_u64_e32 vcc, s[88:89], v[31:32]
	v_add_u32_e32 v5, 15, v17
	v_cndmask_b32_e32 v5, v7, v5, vcc
	v_cndmask_b32_e64 v7, 0, 1, vcc
	v_lshrrev_b64 v[31:32], v7, v[31:32]
; %bb.26956:                            ;   in Loop: Header=BB6_25823 Depth=3
	s_andn2_saveexec_b64 s[28:29], s[28:29]
; %bb.26957:                            ;   in Loop: Header=BB6_25823 Depth=3
	v_bfe_u32 v5, v31, 23, 1
; %bb.26958:                            ;   in Loop: Header=BB6_25823 Depth=3
	s_or_b64 exec, exec, s[28:29]
	v_lshrrev_b64 v[16:17], 21, v[31:32]
	v_cmp_gt_i32_e32 vcc, 32, v5
	v_cndmask_b32_e32 v32, 0, v17, vcc
	v_cndmask_b32_e32 v31, 3, v16, vcc
	v_cmp_ne_u64_e32 vcc, 0, v[31:32]
	v_cmp_ne_u32_e64 s[28:29], 0, v5
	s_or_b64 s[28:29], s[28:29], vcc
                                        ; implicit-def: $vgpr37
	s_and_saveexec_b64 s[62:63], s[28:29]
	s_xor_b64 s[28:29], exec, s[62:63]
; %bb.26959:                            ;   in Loop: Header=BB6_25823 Depth=3
	v_min_i32_e32 v5, 31, v5
	v_lshl_or_b32 v2, v5, 2, v2
	v_and_or_b32 v37, v31, 3, v2
                                        ; implicit-def: $vgpr2
; %bb.26960:                            ;   in Loop: Header=BB6_25823 Depth=3
	s_andn2_saveexec_b64 s[28:29], s[28:29]
; %bb.26961:                            ;   in Loop: Header=BB6_25823 Depth=3
	v_mov_b32_e32 v37, v2
; %bb.26962:                            ;   in Loop: Header=BB6_25823 Depth=3
	s_or_b64 exec, exec, s[28:29]
.LBB6_26963:                            ;   in Loop: Header=BB6_25823 Depth=3
	s_or_b64 exec, exec, s[38:39]
                                        ; implicit-def: $vgpr2
.LBB6_26964:                            ;   in Loop: Header=BB6_25823 Depth=3
	s_andn2_saveexec_b64 s[28:29], s[36:37]
; %bb.26965:                            ;   in Loop: Header=BB6_25823 Depth=3
	v_or_b32_e32 v37, 0x7b, v2
; %bb.26966:                            ;   in Loop: Header=BB6_25823 Depth=3
	s_or_b64 exec, exec, s[28:29]
                                        ; implicit-def: $vgpr5
                                        ; implicit-def: $vgpr31_vgpr32
.LBB6_26967:                            ;   in Loop: Header=BB6_25823 Depth=3
	s_andn2_saveexec_b64 s[28:29], s[34:35]
	s_cbranch_execz .LBB6_26973
; %bb.26968:                            ;   in Loop: Header=BB6_25823 Depth=3
	v_cmp_ne_u64_e32 vcc, 0, v[31:32]
                                        ; implicit-def: $vgpr37
	s_and_saveexec_b64 s[62:63], vcc
	s_xor_b64 vcc, exec, s[62:63]
; %bb.26969:                            ;   in Loop: Header=BB6_25823 Depth=3
	v_or_b32_sdwa v37, v5, s44 dst_sel:DWORD dst_unused:UNUSED_PAD src0_sel:BYTE_3 src1_sel:DWORD
                                        ; implicit-def: $vgpr5
; %bb.26970:                            ;   in Loop: Header=BB6_25823 Depth=3
	s_andn2_saveexec_b64 s[34:35], vcc
; %bb.26971:                            ;   in Loop: Header=BB6_25823 Depth=3
	v_cmp_lt_i32_e32 vcc, -1, v5
	v_mov_b32_e32 v2, 0x7c
	v_cndmask_b32_e32 v37, -4, v2, vcc
; %bb.26972:                            ;   in Loop: Header=BB6_25823 Depth=3
	s_or_b64 exec, exec, s[34:35]
.LBB6_26973:                            ;   in Loop: Header=BB6_25823 Depth=3
	s_or_b64 exec, exec, s[28:29]
	v_and_b32_e32 v23, 0xff, v25
	v_cmp_ne_u16_e32 vcc, 0, v23
	v_mov_b32_e32 v2, 0
	v_mov_b32_e32 v5, 0
	s_and_saveexec_b64 s[28:29], vcc
	s_cbranch_execz .LBB6_26981
; %bb.26974:                            ;   in Loop: Header=BB6_25823 Depth=3
	v_cmp_ne_u16_e32 vcc, s97, v23
	v_bfrev_b32_e32 v5, 1
	s_and_saveexec_b64 s[34:35], vcc
	s_cbranch_execz .LBB6_26980
; %bb.26975:                            ;   in Loop: Header=BB6_25823 Depth=3
	v_mov_b32_e32 v5, v25
	v_and_b32_e32 v7, 3, v5
	v_and_b32_e32 v5, 0x7c, v5
	v_cmp_ne_u32_e32 vcc, s86, v5
                                        ; implicit-def: $vgpr5
	s_and_saveexec_b64 s[62:63], vcc
	s_xor_b64 s[36:37], exec, s[62:63]
	s_cbranch_execz .LBB6_26977
; %bb.26976:                            ;   in Loop: Header=BB6_25823 Depth=3
	v_ffbh_u32_e32 v16, v7
	v_bfe_u32 v5, v23, 2, 5
	v_min_u32_e32 v23, 32, v16
	v_mov_b32_e32 v31, v25
	v_mov_b32_e32 v32, v33
	v_subrev_u32_e32 v16, 29, v23
	v_lshlrev_b64 v[16:17], v16, v[31:32]
	v_cmp_eq_u32_e32 vcc, 0, v5
	v_and_b32_e32 v16, 3, v16
	v_sub_u32_e32 v17, 30, v23
	v_cndmask_b32_e32 v7, v7, v16, vcc
	v_lshlrev_b32_e32 v16, 24, v31
	v_cndmask_b32_e32 v5, v5, v17, vcc
	v_and_b32_e32 v16, 0x80000000, v16
	v_lshl_add_u32 v5, v5, 23, v16
	v_lshl_or_b32 v5, v7, 21, v5
	v_add_u32_e32 v5, 0x38000000, v5
                                        ; implicit-def: $vgpr7
                                        ; implicit-def: $vgpr25
.LBB6_26977:                            ;   in Loop: Header=BB6_25823 Depth=3
	s_andn2_saveexec_b64 s[36:37], s[36:37]
; %bb.26978:                            ;   in Loop: Header=BB6_25823 Depth=3
	v_mov_b32_e32 v5, -1
	v_cmp_gt_i16_sdwa vcc, sext(v25), v5 src0_sel:BYTE_0 src1_sel:DWORD
	v_mov_b32_e32 v5, 0xff800000
	v_mov_b32_e32 v16, 0x7f800000
	v_cndmask_b32_e32 v5, v5, v16, vcc
	v_cmp_eq_u32_e32 vcc, 0, v7
	v_mov_b32_e32 v7, 0x7f800001
	v_cndmask_b32_e32 v5, v7, v5, vcc
; %bb.26979:                            ;   in Loop: Header=BB6_25823 Depth=3
	s_or_b64 exec, exec, s[36:37]
.LBB6_26980:                            ;   in Loop: Header=BB6_25823 Depth=3
	s_or_b64 exec, exec, s[34:35]
.LBB6_26981:                            ;   in Loop: Header=BB6_25823 Depth=3
	s_or_b64 exec, exec, s[28:29]
	v_cmp_ne_u16_e32 vcc, 0, v49
	s_and_saveexec_b64 s[28:29], vcc
	s_cbranch_execz .LBB6_26989
; %bb.26982:                            ;   in Loop: Header=BB6_25823 Depth=3
	v_cmp_ne_u16_e32 vcc, s46, v49
	v_bfrev_b32_e32 v2, 1
	s_and_saveexec_b64 s[34:35], vcc
	s_cbranch_execz .LBB6_26988
; %bb.26983:                            ;   in Loop: Header=BB6_25823 Depth=3
	v_and_b32_e32 v2, 0x7c, v49
	v_and_b32_e32 v7, 3, v49
	v_cmp_ne_u32_e32 vcc, s86, v2
                                        ; implicit-def: $vgpr2
	s_and_saveexec_b64 s[62:63], vcc
	s_xor_b64 s[36:37], exec, s[62:63]
	s_cbranch_execz .LBB6_26985
; %bb.26984:                            ;   in Loop: Header=BB6_25823 Depth=3
	v_ffbh_u32_e32 v16, v7
	v_min_u32_e32 v23, 32, v16
	v_mov_b32_e32 v50, v33
	v_subrev_u32_e32 v16, 29, v23
	v_and_b32_e32 v2, 0xff, v49
	v_lshlrev_b64 v[16:17], v16, v[49:50]
	v_bfe_u32 v2, v2, 2, 5
	v_sub_u32_e32 v17, 30, v23
	v_and_b32_e32 v16, 3, v16
	v_cmp_eq_u32_e32 vcc, 0, v2
	v_cndmask_b32_e32 v2, v2, v17, vcc
	v_cndmask_b32_e32 v7, v7, v16, vcc
	v_and_b32_sdwa v16, sext(v49), s87 dst_sel:DWORD dst_unused:UNUSED_PAD src0_sel:WORD_0 src1_sel:DWORD
	v_lshl_add_u32 v2, v2, 23, v16
	v_lshl_or_b32 v2, v7, 21, v2
	v_add_u32_e32 v2, 0x38000000, v2
                                        ; implicit-def: $vgpr7
                                        ; implicit-def: $vgpr49
.LBB6_26985:                            ;   in Loop: Header=BB6_25823 Depth=3
	s_andn2_saveexec_b64 s[36:37], s[36:37]
; %bb.26986:                            ;   in Loop: Header=BB6_25823 Depth=3
	v_cmp_lt_i16_e32 vcc, -1, v49
	v_mov_b32_e32 v2, 0xff800000
	v_mov_b32_e32 v16, 0x7f800000
	v_cndmask_b32_e32 v2, v2, v16, vcc
	v_cmp_eq_u32_e32 vcc, 0, v7
	v_mov_b32_e32 v7, 0x7f800001
	v_cndmask_b32_e32 v2, v7, v2, vcc
; %bb.26987:                            ;   in Loop: Header=BB6_25823 Depth=3
	s_or_b64 exec, exec, s[36:37]
.LBB6_26988:                            ;   in Loop: Header=BB6_25823 Depth=3
	s_or_b64 exec, exec, s[34:35]
.LBB6_26989:                            ;   in Loop: Header=BB6_25823 Depth=3
	s_or_b64 exec, exec, s[28:29]
	v_add_f32_e32 v5, v5, v2
	v_and_b32_e32 v31, 0x7f800000, v5
	v_mov_b32_e32 v32, v33
	v_cmp_ne_u64_e32 vcc, s[76:77], v[31:32]
	v_and_b32_e32 v16, 0x7fffff, v5
	v_mov_b32_e32 v17, v33
                                        ; implicit-def: $vgpr50
	s_and_saveexec_b64 s[28:29], vcc
	s_xor_b64 s[34:35], exec, s[28:29]
	s_cbranch_execz .LBB6_27007
; %bb.26990:                            ;   in Loop: Header=BB6_25823 Depth=3
	v_and_b32_e32 v31, 0x7fffffff, v5
	v_mov_b32_e32 v32, v33
	v_cmp_gt_u64_e32 vcc, s[78:79], v[31:32]
	v_and_b32_sdwa v2, v5, s97 dst_sel:DWORD dst_unused:UNUSED_PAD src0_sel:BYTE_3 src1_sel:DWORD
                                        ; implicit-def: $vgpr50
	s_and_saveexec_b64 s[28:29], vcc
	s_xor_b64 s[36:37], exec, s[28:29]
	s_cbranch_execz .LBB6_27004
; %bb.26991:                            ;   in Loop: Header=BB6_25823 Depth=3
	v_cmp_ne_u32_e32 vcc, 0, v5
	v_mov_b32_e32 v50, 0
	s_and_saveexec_b64 s[38:39], vcc
	s_cbranch_execz .LBB6_27003
; %bb.26992:                            ;   in Loop: Header=BB6_25823 Depth=3
	v_bfe_u32 v5, v5, 23, 8
	v_cmp_gt_u32_e64 s[28:29], s47, v5
	v_sub_u32_e32 v7, 0x71, v5
	v_cmp_eq_u32_e32 vcc, 0, v5
	v_cndmask_b32_e64 v7, 0, v7, s[28:29]
	v_mov_b32_e32 v25, 0x70
	v_or_b32_e32 v23, 0x800000, v16
	v_cndmask_b32_e32 v7, v7, v25, vcc
	v_cndmask_b32_e32 v16, v23, v16, vcc
	v_add_u32_e32 v23, 21, v7
	v_lshlrev_b64 v[31:32], v23, -1
	v_add_u32_e32 v23, 20, v7
	v_bfi_b32 v31, v31, 0, v16
	v_lshlrev_b64 v[49:50], v23, 1
	v_lshrrev_b64 v[16:17], v7, v[16:17]
	v_bfi_b32 v32, v32, 0, 0
	v_cmp_eq_u64_e64 s[28:29], v[31:32], v[49:50]
	v_mov_b32_e32 v32, v17
	v_mov_b32_e32 v31, v16
	s_and_saveexec_b64 s[48:49], s[28:29]
; %bb.26993:                            ;   in Loop: Header=BB6_25823 Depth=3
	v_bfe_u32 v17, v16, 21, 1
	v_add_co_u32_e64 v17, s[28:29], v16, v17
	v_add_co_u32_e64 v31, s[28:29], -1, v17
; %bb.26994:                            ;   in Loop: Header=BB6_25823 Depth=3
	s_or_b64 exec, exec, s[48:49]
	v_add_u32_e32 v5, 0xffffff81, v5
	v_mov_b32_e32 v17, 0xffffff82
	v_cndmask_b32_e32 v5, v5, v17, vcc
	v_lshrrev_b32_e32 v17, 23, v16
	v_add3_u32 v23, v7, v5, v17
	v_add_u32_e32 v7, 14, v23
	v_and_b32_e32 v5, 0x1fffff, v31
	v_add_u32_e32 v16, v5, v16
	v_mov_b32_e32 v17, v33
	v_cmp_ne_u32_e32 vcc, 0, v7
                                        ; implicit-def: $vgpr5
	s_and_saveexec_b64 s[28:29], vcc
	s_xor_b64 s[28:29], exec, s[28:29]
; %bb.26995:                            ;   in Loop: Header=BB6_25823 Depth=3
	v_cmp_lt_u64_e32 vcc, s[88:89], v[16:17]
	v_add_u32_e32 v5, 15, v23
	v_cndmask_b32_e32 v5, v7, v5, vcc
	v_cndmask_b32_e64 v7, 0, 1, vcc
	v_lshrrev_b64 v[16:17], v7, v[16:17]
; %bb.26996:                            ;   in Loop: Header=BB6_25823 Depth=3
	s_andn2_saveexec_b64 s[28:29], s[28:29]
; %bb.26997:                            ;   in Loop: Header=BB6_25823 Depth=3
	v_bfe_u32 v5, v16, 23, 1
; %bb.26998:                            ;   in Loop: Header=BB6_25823 Depth=3
	s_or_b64 exec, exec, s[28:29]
	v_lshrrev_b64 v[16:17], 21, v[16:17]
	v_cmp_gt_i32_e32 vcc, 32, v5
	v_cndmask_b32_e32 v17, 0, v17, vcc
	v_cndmask_b32_e32 v16, 3, v16, vcc
	v_cmp_ne_u64_e32 vcc, 0, v[16:17]
	v_cmp_ne_u32_e64 s[28:29], 0, v5
	s_or_b64 s[28:29], s[28:29], vcc
                                        ; implicit-def: $vgpr50
	s_and_saveexec_b64 s[62:63], s[28:29]
	s_xor_b64 s[28:29], exec, s[62:63]
; %bb.26999:                            ;   in Loop: Header=BB6_25823 Depth=3
	v_min_i32_e32 v5, 31, v5
	v_lshl_or_b32 v2, v5, 2, v2
	v_and_or_b32 v50, v16, 3, v2
                                        ; implicit-def: $vgpr2
; %bb.27000:                            ;   in Loop: Header=BB6_25823 Depth=3
	s_andn2_saveexec_b64 s[28:29], s[28:29]
; %bb.27001:                            ;   in Loop: Header=BB6_25823 Depth=3
	v_mov_b32_e32 v50, v2
; %bb.27002:                            ;   in Loop: Header=BB6_25823 Depth=3
	s_or_b64 exec, exec, s[28:29]
.LBB6_27003:                            ;   in Loop: Header=BB6_25823 Depth=3
	s_or_b64 exec, exec, s[38:39]
                                        ; implicit-def: $vgpr2
.LBB6_27004:                            ;   in Loop: Header=BB6_25823 Depth=3
	s_andn2_saveexec_b64 s[28:29], s[36:37]
; %bb.27005:                            ;   in Loop: Header=BB6_25823 Depth=3
	v_or_b32_e32 v50, 0x7b, v2
; %bb.27006:                            ;   in Loop: Header=BB6_25823 Depth=3
	s_or_b64 exec, exec, s[28:29]
                                        ; implicit-def: $vgpr5
                                        ; implicit-def: $vgpr16_vgpr17
.LBB6_27007:                            ;   in Loop: Header=BB6_25823 Depth=3
	s_andn2_saveexec_b64 s[28:29], s[34:35]
	s_cbranch_execz .LBB6_27013
; %bb.27008:                            ;   in Loop: Header=BB6_25823 Depth=3
	v_cmp_ne_u64_e32 vcc, 0, v[16:17]
                                        ; implicit-def: $vgpr50
	s_and_saveexec_b64 s[62:63], vcc
	s_xor_b64 vcc, exec, s[62:63]
; %bb.27009:                            ;   in Loop: Header=BB6_25823 Depth=3
	v_or_b32_sdwa v50, v5, s44 dst_sel:DWORD dst_unused:UNUSED_PAD src0_sel:BYTE_3 src1_sel:DWORD
                                        ; implicit-def: $vgpr5
; %bb.27010:                            ;   in Loop: Header=BB6_25823 Depth=3
	s_andn2_saveexec_b64 s[34:35], vcc
; %bb.27011:                            ;   in Loop: Header=BB6_25823 Depth=3
	v_cmp_lt_i32_e32 vcc, -1, v5
	v_mov_b32_e32 v2, 0x7c
	v_cndmask_b32_e32 v50, -4, v2, vcc
; %bb.27012:                            ;   in Loop: Header=BB6_25823 Depth=3
	s_or_b64 exec, exec, s[34:35]
.LBB6_27013:                            ;   in Loop: Header=BB6_25823 Depth=3
	s_or_b64 exec, exec, s[28:29]
	v_and_b32_e32 v16, 0xff, v48
	v_cmp_ne_u16_e32 vcc, 0, v16
	v_mov_b32_e32 v2, 0
	v_mov_b32_e32 v5, 0
	s_and_saveexec_b64 s[28:29], vcc
	s_cbranch_execz .LBB6_27021
; %bb.27014:                            ;   in Loop: Header=BB6_25823 Depth=3
	v_cmp_ne_u16_e32 vcc, s97, v16
	v_bfrev_b32_e32 v5, 1
	s_and_saveexec_b64 s[34:35], vcc
	s_cbranch_execz .LBB6_27020
; %bb.27015:                            ;   in Loop: Header=BB6_25823 Depth=3
	v_and_b32_e32 v5, 0x7c, v48
	v_and_b32_e32 v7, 3, v48
	v_cmp_ne_u32_e32 vcc, s86, v5
                                        ; implicit-def: $vgpr5
	s_and_saveexec_b64 s[62:63], vcc
	s_xor_b64 s[36:37], exec, s[62:63]
	s_cbranch_execz .LBB6_27017
; %bb.27016:                            ;   in Loop: Header=BB6_25823 Depth=3
	v_bfe_u32 v5, v16, 2, 5
	v_ffbh_u32_e32 v16, v7
	v_min_u32_e32 v23, 32, v16
	v_mov_b32_e32 v49, v33
	v_subrev_u32_e32 v16, 29, v23
	v_lshlrev_b64 v[16:17], v16, v[48:49]
	v_cmp_eq_u32_e32 vcc, 0, v5
	v_and_b32_e32 v16, 3, v16
	v_sub_u32_e32 v17, 30, v23
	v_cndmask_b32_e32 v7, v7, v16, vcc
	v_lshlrev_b32_e32 v16, 24, v48
	v_cndmask_b32_e32 v5, v5, v17, vcc
	v_and_b32_e32 v16, 0x80000000, v16
	v_lshl_add_u32 v5, v5, 23, v16
	v_lshl_or_b32 v5, v7, 21, v5
	v_add_u32_e32 v5, 0x38000000, v5
                                        ; implicit-def: $vgpr7
                                        ; implicit-def: $vgpr48
.LBB6_27017:                            ;   in Loop: Header=BB6_25823 Depth=3
	s_andn2_saveexec_b64 s[36:37], s[36:37]
; %bb.27018:                            ;   in Loop: Header=BB6_25823 Depth=3
	v_mov_b32_e32 v5, -1
	v_cmp_gt_i16_sdwa vcc, sext(v48), v5 src0_sel:BYTE_0 src1_sel:DWORD
	v_mov_b32_e32 v5, 0xff800000
	v_mov_b32_e32 v16, 0x7f800000
	v_cndmask_b32_e32 v5, v5, v16, vcc
	v_cmp_eq_u32_e32 vcc, 0, v7
	v_mov_b32_e32 v7, 0x7f800001
	v_cndmask_b32_e32 v5, v7, v5, vcc
; %bb.27019:                            ;   in Loop: Header=BB6_25823 Depth=3
	s_or_b64 exec, exec, s[36:37]
.LBB6_27020:                            ;   in Loop: Header=BB6_25823 Depth=3
	s_or_b64 exec, exec, s[34:35]
.LBB6_27021:                            ;   in Loop: Header=BB6_25823 Depth=3
	s_or_b64 exec, exec, s[28:29]
	v_cmp_ne_u16_e32 vcc, 0, v41
	s_and_saveexec_b64 s[28:29], vcc
	s_cbranch_execz .LBB6_27029
; %bb.27022:                            ;   in Loop: Header=BB6_25823 Depth=3
	v_cmp_ne_u16_e32 vcc, s46, v41
	v_bfrev_b32_e32 v2, 1
	s_and_saveexec_b64 s[34:35], vcc
	s_cbranch_execz .LBB6_27028
; %bb.27023:                            ;   in Loop: Header=BB6_25823 Depth=3
	v_and_b32_e32 v2, 0x7c, v41
	v_and_b32_e32 v7, 3, v41
	v_cmp_ne_u32_e32 vcc, s86, v2
                                        ; implicit-def: $vgpr2
	s_and_saveexec_b64 s[62:63], vcc
	s_xor_b64 s[36:37], exec, s[62:63]
	s_cbranch_execz .LBB6_27025
; %bb.27024:                            ;   in Loop: Header=BB6_25823 Depth=3
	v_ffbh_u32_e32 v16, v7
	v_min_u32_e32 v23, 32, v16
	v_mov_b32_e32 v42, v33
	v_subrev_u32_e32 v16, 29, v23
	v_and_b32_e32 v2, 0xff, v41
	v_lshlrev_b64 v[16:17], v16, v[41:42]
	v_bfe_u32 v2, v2, 2, 5
	v_sub_u32_e32 v17, 30, v23
	v_and_b32_e32 v16, 3, v16
	v_cmp_eq_u32_e32 vcc, 0, v2
	v_cndmask_b32_e32 v2, v2, v17, vcc
	v_cndmask_b32_e32 v7, v7, v16, vcc
	v_and_b32_sdwa v16, sext(v41), s87 dst_sel:DWORD dst_unused:UNUSED_PAD src0_sel:WORD_0 src1_sel:DWORD
	v_lshl_add_u32 v2, v2, 23, v16
	v_lshl_or_b32 v2, v7, 21, v2
	v_add_u32_e32 v2, 0x38000000, v2
                                        ; implicit-def: $vgpr7
                                        ; implicit-def: $vgpr41
.LBB6_27025:                            ;   in Loop: Header=BB6_25823 Depth=3
	s_andn2_saveexec_b64 s[36:37], s[36:37]
; %bb.27026:                            ;   in Loop: Header=BB6_25823 Depth=3
	v_cmp_lt_i16_e32 vcc, -1, v41
	v_mov_b32_e32 v2, 0xff800000
	v_mov_b32_e32 v16, 0x7f800000
	v_cndmask_b32_e32 v2, v2, v16, vcc
	v_cmp_eq_u32_e32 vcc, 0, v7
	v_mov_b32_e32 v7, 0x7f800001
	v_cndmask_b32_e32 v2, v7, v2, vcc
; %bb.27027:                            ;   in Loop: Header=BB6_25823 Depth=3
	s_or_b64 exec, exec, s[36:37]
.LBB6_27028:                            ;   in Loop: Header=BB6_25823 Depth=3
	s_or_b64 exec, exec, s[34:35]
.LBB6_27029:                            ;   in Loop: Header=BB6_25823 Depth=3
	s_or_b64 exec, exec, s[28:29]
	v_add_f32_e32 v5, v5, v2
	v_and_b32_e32 v31, 0x7f800000, v5
	v_mov_b32_e32 v32, v33
	v_cmp_ne_u64_e32 vcc, s[76:77], v[31:32]
	v_and_b32_e32 v16, 0x7fffff, v5
	v_mov_b32_e32 v17, v33
                                        ; implicit-def: $vgpr49
	s_and_saveexec_b64 s[28:29], vcc
	s_xor_b64 s[34:35], exec, s[28:29]
	s_cbranch_execz .LBB6_27047
; %bb.27030:                            ;   in Loop: Header=BB6_25823 Depth=3
	v_and_b32_e32 v31, 0x7fffffff, v5
	v_mov_b32_e32 v32, v33
	v_cmp_gt_u64_e32 vcc, s[78:79], v[31:32]
	v_and_b32_sdwa v2, v5, s97 dst_sel:DWORD dst_unused:UNUSED_PAD src0_sel:BYTE_3 src1_sel:DWORD
                                        ; implicit-def: $vgpr49
	s_and_saveexec_b64 s[28:29], vcc
	s_xor_b64 s[36:37], exec, s[28:29]
	s_cbranch_execz .LBB6_27044
; %bb.27031:                            ;   in Loop: Header=BB6_25823 Depth=3
	v_cmp_ne_u32_e32 vcc, 0, v5
	v_mov_b32_e32 v49, 0
	s_and_saveexec_b64 s[38:39], vcc
	s_cbranch_execz .LBB6_27043
; %bb.27032:                            ;   in Loop: Header=BB6_25823 Depth=3
	v_bfe_u32 v5, v5, 23, 8
	v_cmp_gt_u32_e64 s[28:29], s47, v5
	v_sub_u32_e32 v7, 0x71, v5
	v_cmp_eq_u32_e32 vcc, 0, v5
	v_cndmask_b32_e64 v7, 0, v7, s[28:29]
	v_mov_b32_e32 v25, 0x70
	v_or_b32_e32 v23, 0x800000, v16
	v_cndmask_b32_e32 v7, v7, v25, vcc
	v_cndmask_b32_e32 v16, v23, v16, vcc
	v_add_u32_e32 v23, 21, v7
	v_lshlrev_b64 v[31:32], v23, -1
	v_add_u32_e32 v23, 20, v7
	v_bfi_b32 v31, v31, 0, v16
	v_lshlrev_b64 v[48:49], v23, 1
	v_lshrrev_b64 v[16:17], v7, v[16:17]
	v_bfi_b32 v32, v32, 0, 0
	v_cmp_eq_u64_e64 s[28:29], v[31:32], v[48:49]
	v_mov_b32_e32 v32, v17
	v_mov_b32_e32 v31, v16
	s_and_saveexec_b64 s[48:49], s[28:29]
; %bb.27033:                            ;   in Loop: Header=BB6_25823 Depth=3
	v_bfe_u32 v17, v16, 21, 1
	v_add_co_u32_e64 v17, s[28:29], v16, v17
	v_add_co_u32_e64 v31, s[28:29], -1, v17
; %bb.27034:                            ;   in Loop: Header=BB6_25823 Depth=3
	s_or_b64 exec, exec, s[48:49]
	v_add_u32_e32 v5, 0xffffff81, v5
	v_mov_b32_e32 v17, 0xffffff82
	v_cndmask_b32_e32 v5, v5, v17, vcc
	v_lshrrev_b32_e32 v17, 23, v16
	v_add3_u32 v23, v7, v5, v17
	v_add_u32_e32 v7, 14, v23
	v_and_b32_e32 v5, 0x1fffff, v31
	v_add_u32_e32 v16, v5, v16
	v_mov_b32_e32 v17, v33
	v_cmp_ne_u32_e32 vcc, 0, v7
                                        ; implicit-def: $vgpr5
	s_and_saveexec_b64 s[28:29], vcc
	s_xor_b64 s[28:29], exec, s[28:29]
; %bb.27035:                            ;   in Loop: Header=BB6_25823 Depth=3
	v_cmp_lt_u64_e32 vcc, s[88:89], v[16:17]
	v_add_u32_e32 v5, 15, v23
	v_cndmask_b32_e32 v5, v7, v5, vcc
	v_cndmask_b32_e64 v7, 0, 1, vcc
	v_lshrrev_b64 v[16:17], v7, v[16:17]
; %bb.27036:                            ;   in Loop: Header=BB6_25823 Depth=3
	s_andn2_saveexec_b64 s[28:29], s[28:29]
; %bb.27037:                            ;   in Loop: Header=BB6_25823 Depth=3
	v_bfe_u32 v5, v16, 23, 1
; %bb.27038:                            ;   in Loop: Header=BB6_25823 Depth=3
	s_or_b64 exec, exec, s[28:29]
	v_lshrrev_b64 v[16:17], 21, v[16:17]
	v_cmp_gt_i32_e32 vcc, 32, v5
	v_cndmask_b32_e32 v17, 0, v17, vcc
	v_cndmask_b32_e32 v16, 3, v16, vcc
	v_cmp_ne_u64_e32 vcc, 0, v[16:17]
	v_cmp_ne_u32_e64 s[28:29], 0, v5
	s_or_b64 s[28:29], s[28:29], vcc
                                        ; implicit-def: $vgpr49
	s_and_saveexec_b64 s[62:63], s[28:29]
	s_xor_b64 s[28:29], exec, s[62:63]
; %bb.27039:                            ;   in Loop: Header=BB6_25823 Depth=3
	v_min_i32_e32 v5, 31, v5
	v_lshl_or_b32 v2, v5, 2, v2
	v_and_or_b32 v49, v16, 3, v2
                                        ; implicit-def: $vgpr2
; %bb.27040:                            ;   in Loop: Header=BB6_25823 Depth=3
	s_andn2_saveexec_b64 s[28:29], s[28:29]
; %bb.27041:                            ;   in Loop: Header=BB6_25823 Depth=3
	v_mov_b32_e32 v49, v2
; %bb.27042:                            ;   in Loop: Header=BB6_25823 Depth=3
	s_or_b64 exec, exec, s[28:29]
.LBB6_27043:                            ;   in Loop: Header=BB6_25823 Depth=3
	s_or_b64 exec, exec, s[38:39]
                                        ; implicit-def: $vgpr2
.LBB6_27044:                            ;   in Loop: Header=BB6_25823 Depth=3
	s_andn2_saveexec_b64 s[28:29], s[36:37]
; %bb.27045:                            ;   in Loop: Header=BB6_25823 Depth=3
	v_or_b32_e32 v49, 0x7b, v2
; %bb.27046:                            ;   in Loop: Header=BB6_25823 Depth=3
	s_or_b64 exec, exec, s[28:29]
                                        ; implicit-def: $vgpr5
                                        ; implicit-def: $vgpr16_vgpr17
.LBB6_27047:                            ;   in Loop: Header=BB6_25823 Depth=3
	s_andn2_saveexec_b64 s[28:29], s[34:35]
	s_cbranch_execz .LBB6_27053
; %bb.27048:                            ;   in Loop: Header=BB6_25823 Depth=3
	v_cmp_ne_u64_e32 vcc, 0, v[16:17]
                                        ; implicit-def: $vgpr49
	s_and_saveexec_b64 s[62:63], vcc
	s_xor_b64 vcc, exec, s[62:63]
; %bb.27049:                            ;   in Loop: Header=BB6_25823 Depth=3
	v_or_b32_sdwa v49, v5, s44 dst_sel:DWORD dst_unused:UNUSED_PAD src0_sel:BYTE_3 src1_sel:DWORD
                                        ; implicit-def: $vgpr5
; %bb.27050:                            ;   in Loop: Header=BB6_25823 Depth=3
	s_andn2_saveexec_b64 s[34:35], vcc
; %bb.27051:                            ;   in Loop: Header=BB6_25823 Depth=3
	v_cmp_lt_i32_e32 vcc, -1, v5
	v_mov_b32_e32 v2, 0x7c
	v_cndmask_b32_e32 v49, -4, v2, vcc
; %bb.27052:                            ;   in Loop: Header=BB6_25823 Depth=3
	s_or_b64 exec, exec, s[34:35]
.LBB6_27053:                            ;   in Loop: Header=BB6_25823 Depth=3
	s_or_b64 exec, exec, s[28:29]
	v_and_b32_e32 v16, 0xff, v40
	v_cmp_ne_u16_e32 vcc, 0, v16
	v_mov_b32_e32 v2, 0
	v_mov_b32_e32 v5, 0
	s_and_saveexec_b64 s[28:29], vcc
	s_cbranch_execz .LBB6_27061
; %bb.27054:                            ;   in Loop: Header=BB6_25823 Depth=3
	v_cmp_ne_u16_e32 vcc, s97, v16
	v_bfrev_b32_e32 v5, 1
	s_and_saveexec_b64 s[34:35], vcc
	s_cbranch_execz .LBB6_27060
; %bb.27055:                            ;   in Loop: Header=BB6_25823 Depth=3
	v_and_b32_e32 v5, 0x7c, v40
	v_and_b32_e32 v7, 3, v40
	v_cmp_ne_u32_e32 vcc, s86, v5
                                        ; implicit-def: $vgpr5
	s_and_saveexec_b64 s[62:63], vcc
	s_xor_b64 s[36:37], exec, s[62:63]
	s_cbranch_execz .LBB6_27057
; %bb.27056:                            ;   in Loop: Header=BB6_25823 Depth=3
	v_bfe_u32 v5, v16, 2, 5
	v_ffbh_u32_e32 v16, v7
	v_min_u32_e32 v23, 32, v16
	v_mov_b32_e32 v41, v33
	v_subrev_u32_e32 v16, 29, v23
	v_lshlrev_b64 v[16:17], v16, v[40:41]
	v_cmp_eq_u32_e32 vcc, 0, v5
	v_and_b32_e32 v16, 3, v16
	v_sub_u32_e32 v17, 30, v23
	v_cndmask_b32_e32 v7, v7, v16, vcc
	v_lshlrev_b32_e32 v16, 24, v40
	v_cndmask_b32_e32 v5, v5, v17, vcc
	v_and_b32_e32 v16, 0x80000000, v16
	v_lshl_add_u32 v5, v5, 23, v16
	v_lshl_or_b32 v5, v7, 21, v5
	v_add_u32_e32 v5, 0x38000000, v5
                                        ; implicit-def: $vgpr7
                                        ; implicit-def: $vgpr40
.LBB6_27057:                            ;   in Loop: Header=BB6_25823 Depth=3
	s_andn2_saveexec_b64 s[36:37], s[36:37]
; %bb.27058:                            ;   in Loop: Header=BB6_25823 Depth=3
	v_mov_b32_e32 v5, -1
	v_cmp_gt_i16_sdwa vcc, sext(v40), v5 src0_sel:BYTE_0 src1_sel:DWORD
	v_mov_b32_e32 v5, 0xff800000
	v_mov_b32_e32 v16, 0x7f800000
	v_cndmask_b32_e32 v5, v5, v16, vcc
	v_cmp_eq_u32_e32 vcc, 0, v7
	v_mov_b32_e32 v7, 0x7f800001
	v_cndmask_b32_e32 v5, v7, v5, vcc
; %bb.27059:                            ;   in Loop: Header=BB6_25823 Depth=3
	s_or_b64 exec, exec, s[36:37]
.LBB6_27060:                            ;   in Loop: Header=BB6_25823 Depth=3
	s_or_b64 exec, exec, s[34:35]
.LBB6_27061:                            ;   in Loop: Header=BB6_25823 Depth=3
	s_or_b64 exec, exec, s[28:29]
	v_cmp_ne_u16_e32 vcc, 0, v43
	s_and_saveexec_b64 s[28:29], vcc
	s_cbranch_execz .LBB6_27069
; %bb.27062:                            ;   in Loop: Header=BB6_25823 Depth=3
	v_cmp_ne_u16_e32 vcc, s46, v43
	v_bfrev_b32_e32 v2, 1
	s_and_saveexec_b64 s[34:35], vcc
	s_cbranch_execz .LBB6_27068
; %bb.27063:                            ;   in Loop: Header=BB6_25823 Depth=3
	v_and_b32_e32 v2, 0x7c, v43
	v_and_b32_e32 v7, 3, v43
	v_cmp_ne_u32_e32 vcc, s86, v2
                                        ; implicit-def: $vgpr2
	s_and_saveexec_b64 s[62:63], vcc
	s_xor_b64 s[36:37], exec, s[62:63]
	s_cbranch_execz .LBB6_27065
; %bb.27064:                            ;   in Loop: Header=BB6_25823 Depth=3
	v_ffbh_u32_e32 v16, v7
	v_min_u32_e32 v23, 32, v16
	v_mov_b32_e32 v44, v33
	v_subrev_u32_e32 v16, 29, v23
	v_and_b32_e32 v2, 0xff, v43
	v_lshlrev_b64 v[16:17], v16, v[43:44]
	v_bfe_u32 v2, v2, 2, 5
	v_sub_u32_e32 v17, 30, v23
	v_and_b32_e32 v16, 3, v16
	v_cmp_eq_u32_e32 vcc, 0, v2
	v_cndmask_b32_e32 v2, v2, v17, vcc
	v_cndmask_b32_e32 v7, v7, v16, vcc
	v_and_b32_sdwa v16, sext(v43), s87 dst_sel:DWORD dst_unused:UNUSED_PAD src0_sel:WORD_0 src1_sel:DWORD
	v_lshl_add_u32 v2, v2, 23, v16
	v_lshl_or_b32 v2, v7, 21, v2
	v_add_u32_e32 v2, 0x38000000, v2
                                        ; implicit-def: $vgpr7
                                        ; implicit-def: $vgpr43
.LBB6_27065:                            ;   in Loop: Header=BB6_25823 Depth=3
	s_andn2_saveexec_b64 s[36:37], s[36:37]
; %bb.27066:                            ;   in Loop: Header=BB6_25823 Depth=3
	v_cmp_lt_i16_e32 vcc, -1, v43
	v_mov_b32_e32 v2, 0xff800000
	v_mov_b32_e32 v16, 0x7f800000
	v_cndmask_b32_e32 v2, v2, v16, vcc
	v_cmp_eq_u32_e32 vcc, 0, v7
	v_mov_b32_e32 v7, 0x7f800001
	v_cndmask_b32_e32 v2, v7, v2, vcc
; %bb.27067:                            ;   in Loop: Header=BB6_25823 Depth=3
	s_or_b64 exec, exec, s[36:37]
.LBB6_27068:                            ;   in Loop: Header=BB6_25823 Depth=3
	s_or_b64 exec, exec, s[34:35]
.LBB6_27069:                            ;   in Loop: Header=BB6_25823 Depth=3
	s_or_b64 exec, exec, s[28:29]
	v_add_f32_e32 v5, v5, v2
	v_and_b32_e32 v31, 0x7f800000, v5
	v_mov_b32_e32 v32, v33
	v_cmp_ne_u64_e32 vcc, s[76:77], v[31:32]
	v_and_b32_e32 v16, 0x7fffff, v5
	v_mov_b32_e32 v17, v33
                                        ; implicit-def: $vgpr51
	s_and_saveexec_b64 s[28:29], vcc
	s_xor_b64 s[34:35], exec, s[28:29]
	s_cbranch_execz .LBB6_27087
; %bb.27070:                            ;   in Loop: Header=BB6_25823 Depth=3
	v_and_b32_e32 v31, 0x7fffffff, v5
	v_mov_b32_e32 v32, v33
	v_cmp_gt_u64_e32 vcc, s[78:79], v[31:32]
	v_and_b32_sdwa v2, v5, s97 dst_sel:DWORD dst_unused:UNUSED_PAD src0_sel:BYTE_3 src1_sel:DWORD
                                        ; implicit-def: $vgpr51
	s_and_saveexec_b64 s[28:29], vcc
	s_xor_b64 s[36:37], exec, s[28:29]
	s_cbranch_execz .LBB6_27084
; %bb.27071:                            ;   in Loop: Header=BB6_25823 Depth=3
	v_cmp_ne_u32_e32 vcc, 0, v5
	v_mov_b32_e32 v51, 0
	s_and_saveexec_b64 s[38:39], vcc
	s_cbranch_execz .LBB6_27083
; %bb.27072:                            ;   in Loop: Header=BB6_25823 Depth=3
	v_bfe_u32 v5, v5, 23, 8
	v_cmp_gt_u32_e64 s[28:29], s47, v5
	v_sub_u32_e32 v7, 0x71, v5
	v_cmp_eq_u32_e32 vcc, 0, v5
	v_cndmask_b32_e64 v7, 0, v7, s[28:29]
	v_mov_b32_e32 v25, 0x70
	v_or_b32_e32 v23, 0x800000, v16
	v_cndmask_b32_e32 v7, v7, v25, vcc
	v_cndmask_b32_e32 v16, v23, v16, vcc
	v_add_u32_e32 v23, 21, v7
	v_lshlrev_b64 v[31:32], v23, -1
	v_add_u32_e32 v23, 20, v7
	v_bfi_b32 v31, v31, 0, v16
	v_lshlrev_b64 v[40:41], v23, 1
	v_lshrrev_b64 v[16:17], v7, v[16:17]
	v_bfi_b32 v32, v32, 0, 0
	v_cmp_eq_u64_e64 s[28:29], v[31:32], v[40:41]
	v_mov_b32_e32 v32, v17
	v_mov_b32_e32 v31, v16
	s_and_saveexec_b64 s[48:49], s[28:29]
; %bb.27073:                            ;   in Loop: Header=BB6_25823 Depth=3
	v_bfe_u32 v17, v16, 21, 1
	v_add_co_u32_e64 v17, s[28:29], v16, v17
	v_add_co_u32_e64 v31, s[28:29], -1, v17
; %bb.27074:                            ;   in Loop: Header=BB6_25823 Depth=3
	s_or_b64 exec, exec, s[48:49]
	v_add_u32_e32 v5, 0xffffff81, v5
	v_mov_b32_e32 v17, 0xffffff82
	v_cndmask_b32_e32 v5, v5, v17, vcc
	v_lshrrev_b32_e32 v17, 23, v16
	v_add3_u32 v23, v7, v5, v17
	v_add_u32_e32 v7, 14, v23
	v_and_b32_e32 v5, 0x1fffff, v31
	v_add_u32_e32 v16, v5, v16
	v_mov_b32_e32 v17, v33
	v_cmp_ne_u32_e32 vcc, 0, v7
                                        ; implicit-def: $vgpr5
	s_and_saveexec_b64 s[28:29], vcc
	s_xor_b64 s[28:29], exec, s[28:29]
; %bb.27075:                            ;   in Loop: Header=BB6_25823 Depth=3
	v_cmp_lt_u64_e32 vcc, s[88:89], v[16:17]
	v_add_u32_e32 v5, 15, v23
	v_cndmask_b32_e32 v5, v7, v5, vcc
	v_cndmask_b32_e64 v7, 0, 1, vcc
	v_lshrrev_b64 v[16:17], v7, v[16:17]
; %bb.27076:                            ;   in Loop: Header=BB6_25823 Depth=3
	s_andn2_saveexec_b64 s[28:29], s[28:29]
; %bb.27077:                            ;   in Loop: Header=BB6_25823 Depth=3
	v_bfe_u32 v5, v16, 23, 1
; %bb.27078:                            ;   in Loop: Header=BB6_25823 Depth=3
	s_or_b64 exec, exec, s[28:29]
	v_lshrrev_b64 v[16:17], 21, v[16:17]
	v_cmp_gt_i32_e32 vcc, 32, v5
	v_cndmask_b32_e32 v17, 0, v17, vcc
	v_cndmask_b32_e32 v16, 3, v16, vcc
	v_cmp_ne_u64_e32 vcc, 0, v[16:17]
	v_cmp_ne_u32_e64 s[28:29], 0, v5
	s_or_b64 s[28:29], s[28:29], vcc
                                        ; implicit-def: $vgpr51
	s_and_saveexec_b64 s[62:63], s[28:29]
	s_xor_b64 s[28:29], exec, s[62:63]
; %bb.27079:                            ;   in Loop: Header=BB6_25823 Depth=3
	v_min_i32_e32 v5, 31, v5
	v_lshl_or_b32 v2, v5, 2, v2
	v_and_or_b32 v51, v16, 3, v2
                                        ; implicit-def: $vgpr2
; %bb.27080:                            ;   in Loop: Header=BB6_25823 Depth=3
	s_andn2_saveexec_b64 s[28:29], s[28:29]
; %bb.27081:                            ;   in Loop: Header=BB6_25823 Depth=3
	v_mov_b32_e32 v51, v2
; %bb.27082:                            ;   in Loop: Header=BB6_25823 Depth=3
	s_or_b64 exec, exec, s[28:29]
.LBB6_27083:                            ;   in Loop: Header=BB6_25823 Depth=3
	s_or_b64 exec, exec, s[38:39]
                                        ; implicit-def: $vgpr2
.LBB6_27084:                            ;   in Loop: Header=BB6_25823 Depth=3
	s_andn2_saveexec_b64 s[28:29], s[36:37]
; %bb.27085:                            ;   in Loop: Header=BB6_25823 Depth=3
	v_or_b32_e32 v51, 0x7b, v2
; %bb.27086:                            ;   in Loop: Header=BB6_25823 Depth=3
	s_or_b64 exec, exec, s[28:29]
                                        ; implicit-def: $vgpr5
                                        ; implicit-def: $vgpr16_vgpr17
.LBB6_27087:                            ;   in Loop: Header=BB6_25823 Depth=3
	s_andn2_saveexec_b64 s[28:29], s[34:35]
	s_cbranch_execz .LBB6_27093
; %bb.27088:                            ;   in Loop: Header=BB6_25823 Depth=3
	v_cmp_ne_u64_e32 vcc, 0, v[16:17]
                                        ; implicit-def: $vgpr51
	s_and_saveexec_b64 s[62:63], vcc
	s_xor_b64 vcc, exec, s[62:63]
; %bb.27089:                            ;   in Loop: Header=BB6_25823 Depth=3
	v_or_b32_sdwa v51, v5, s44 dst_sel:DWORD dst_unused:UNUSED_PAD src0_sel:BYTE_3 src1_sel:DWORD
                                        ; implicit-def: $vgpr5
; %bb.27090:                            ;   in Loop: Header=BB6_25823 Depth=3
	s_andn2_saveexec_b64 s[34:35], vcc
; %bb.27091:                            ;   in Loop: Header=BB6_25823 Depth=3
	v_cmp_lt_i32_e32 vcc, -1, v5
	v_mov_b32_e32 v2, 0x7c
	v_cndmask_b32_e32 v51, -4, v2, vcc
; %bb.27092:                            ;   in Loop: Header=BB6_25823 Depth=3
	s_or_b64 exec, exec, s[34:35]
.LBB6_27093:                            ;   in Loop: Header=BB6_25823 Depth=3
	s_or_b64 exec, exec, s[28:29]
	buffer_load_dword v16, off, s[0:3], s33 offset:260 ; 4-byte Folded Reload
	buffer_load_dword v17, off, s[0:3], s33 offset:264 ; 4-byte Folded Reload
	v_mov_b32_e32 v2, 0
	v_mov_b32_e32 v5, 0
	s_waitcnt vmcnt(1)
	v_and_b32_e32 v16, 0xff, v16
	v_cmp_ne_u16_e32 vcc, 0, v16
	s_and_saveexec_b64 s[28:29], vcc
	s_cbranch_execz .LBB6_27101
; %bb.27094:                            ;   in Loop: Header=BB6_25823 Depth=3
	v_cmp_ne_u16_e32 vcc, s97, v16
	v_bfrev_b32_e32 v5, 1
	s_and_saveexec_b64 s[34:35], vcc
	s_cbranch_execz .LBB6_27100
; %bb.27095:                            ;   in Loop: Header=BB6_25823 Depth=3
	buffer_load_dword v31, off, s[0:3], s33 offset:260 ; 4-byte Folded Reload
	buffer_load_dword v32, off, s[0:3], s33 offset:264 ; 4-byte Folded Reload
	s_waitcnt vmcnt(1)
	v_mov_b32_e32 v5, v31
	v_and_b32_e32 v7, 3, v5
	v_and_b32_e32 v5, 0x7c, v5
	v_cmp_ne_u32_e32 vcc, s86, v5
                                        ; implicit-def: $vgpr5
	s_and_saveexec_b64 s[62:63], vcc
	s_xor_b64 s[36:37], exec, s[62:63]
	s_cbranch_execz .LBB6_27097
; %bb.27096:                            ;   in Loop: Header=BB6_25823 Depth=3
	buffer_load_dword v31, off, s[0:3], s33 offset:260 ; 4-byte Folded Reload
	buffer_load_dword v32, off, s[0:3], s33 offset:264 ; 4-byte Folded Reload
	v_bfe_u32 v5, v16, 2, 5
	v_ffbh_u32_e32 v16, v7
	v_min_u32_e32 v23, 32, v16
	s_waitcnt vmcnt(0)
	v_mov_b32_e32 v32, v33
	v_subrev_u32_e32 v16, 29, v23
	v_cmp_eq_u32_e32 vcc, 0, v5
	v_lshlrev_b64 v[16:17], v16, v[31:32]
	v_sub_u32_e32 v17, 30, v23
	v_and_b32_e32 v16, 3, v16
	v_cndmask_b32_e32 v7, v7, v16, vcc
	v_lshlrev_b32_e32 v16, 24, v31
	v_cndmask_b32_e32 v5, v5, v17, vcc
	v_and_b32_e32 v16, 0x80000000, v16
	v_lshl_add_u32 v5, v5, 23, v16
	v_lshl_or_b32 v5, v7, 21, v5
	v_add_u32_e32 v5, 0x38000000, v5
                                        ; implicit-def: $vgpr16
                                        ; implicit-def: $vgpr7
	buffer_store_dword v16, off, s[0:3], s33 offset:260 ; 4-byte Folded Spill
	s_nop 0
	buffer_store_dword v17, off, s[0:3], s33 offset:264 ; 4-byte Folded Spill
.LBB6_27097:                            ;   in Loop: Header=BB6_25823 Depth=3
	s_andn2_saveexec_b64 s[36:37], s[36:37]
	s_cbranch_execz .LBB6_27099
; %bb.27098:                            ;   in Loop: Header=BB6_25823 Depth=3
	buffer_load_dword v16, off, s[0:3], s33 offset:260 ; 4-byte Folded Reload
	buffer_load_dword v17, off, s[0:3], s33 offset:264 ; 4-byte Folded Reload
	v_mov_b32_e32 v5, -1
	s_waitcnt vmcnt(1)
	v_cmp_gt_i16_sdwa vcc, sext(v16), v5 src0_sel:BYTE_0 src1_sel:DWORD
	v_mov_b32_e32 v5, 0xff800000
	v_mov_b32_e32 v16, 0x7f800000
	v_cndmask_b32_e32 v5, v5, v16, vcc
	v_cmp_eq_u32_e32 vcc, 0, v7
	v_mov_b32_e32 v7, 0x7f800001
	v_cndmask_b32_e32 v5, v7, v5, vcc
.LBB6_27099:                            ;   in Loop: Header=BB6_25823 Depth=3
	s_or_b64 exec, exec, s[36:37]
.LBB6_27100:                            ;   in Loop: Header=BB6_25823 Depth=3
	s_or_b64 exec, exec, s[34:35]
.LBB6_27101:                            ;   in Loop: Header=BB6_25823 Depth=3
	s_or_b64 exec, exec, s[28:29]
	v_cmp_ne_u16_e32 vcc, 0, v35
	s_and_saveexec_b64 s[28:29], vcc
	s_cbranch_execz .LBB6_27109
; %bb.27102:                            ;   in Loop: Header=BB6_25823 Depth=3
	v_cmp_ne_u16_e32 vcc, s46, v35
	v_bfrev_b32_e32 v2, 1
	s_and_saveexec_b64 s[34:35], vcc
	s_cbranch_execz .LBB6_27108
; %bb.27103:                            ;   in Loop: Header=BB6_25823 Depth=3
	v_and_b32_e32 v2, 0x7c, v35
	v_and_b32_e32 v7, 3, v35
	v_cmp_ne_u32_e32 vcc, s86, v2
                                        ; implicit-def: $vgpr2
	s_and_saveexec_b64 s[62:63], vcc
	s_xor_b64 s[36:37], exec, s[62:63]
	s_cbranch_execz .LBB6_27105
; %bb.27104:                            ;   in Loop: Header=BB6_25823 Depth=3
	v_ffbh_u32_e32 v16, v7
	v_min_u32_e32 v23, 32, v16
	v_mov_b32_e32 v36, v33
	v_subrev_u32_e32 v16, 29, v23
	v_and_b32_e32 v2, 0xff, v35
	s_waitcnt vmcnt(0)
	v_lshlrev_b64 v[16:17], v16, v[35:36]
	v_bfe_u32 v2, v2, 2, 5
	v_sub_u32_e32 v17, 30, v23
	v_and_b32_e32 v16, 3, v16
	v_cmp_eq_u32_e32 vcc, 0, v2
	v_cndmask_b32_e32 v2, v2, v17, vcc
	v_cndmask_b32_e32 v7, v7, v16, vcc
	v_and_b32_sdwa v16, sext(v35), s87 dst_sel:DWORD dst_unused:UNUSED_PAD src0_sel:WORD_0 src1_sel:DWORD
	v_lshl_add_u32 v2, v2, 23, v16
	v_lshl_or_b32 v2, v7, 21, v2
	v_add_u32_e32 v2, 0x38000000, v2
                                        ; implicit-def: $vgpr7
                                        ; implicit-def: $vgpr35
.LBB6_27105:                            ;   in Loop: Header=BB6_25823 Depth=3
	s_andn2_saveexec_b64 s[36:37], s[36:37]
; %bb.27106:                            ;   in Loop: Header=BB6_25823 Depth=3
	v_cmp_lt_i16_e32 vcc, -1, v35
	v_mov_b32_e32 v2, 0xff800000
	v_mov_b32_e32 v16, 0x7f800000
	v_cndmask_b32_e32 v2, v2, v16, vcc
	v_cmp_eq_u32_e32 vcc, 0, v7
	v_mov_b32_e32 v7, 0x7f800001
	v_cndmask_b32_e32 v2, v7, v2, vcc
; %bb.27107:                            ;   in Loop: Header=BB6_25823 Depth=3
	s_or_b64 exec, exec, s[36:37]
.LBB6_27108:                            ;   in Loop: Header=BB6_25823 Depth=3
	s_or_b64 exec, exec, s[34:35]
.LBB6_27109:                            ;   in Loop: Header=BB6_25823 Depth=3
	s_or_b64 exec, exec, s[28:29]
	v_add_f32_e32 v5, v5, v2
	v_and_b32_e32 v31, 0x7f800000, v5
	s_waitcnt vmcnt(0)
	v_mov_b32_e32 v32, v33
	v_cmp_ne_u64_e32 vcc, s[76:77], v[31:32]
	v_and_b32_e32 v16, 0x7fffff, v5
	v_mov_b32_e32 v17, v33
                                        ; implicit-def: $vgpr32
	s_and_saveexec_b64 s[28:29], vcc
	s_xor_b64 s[34:35], exec, s[28:29]
	s_cbranch_execz .LBB6_27127
; %bb.27110:                            ;   in Loop: Header=BB6_25823 Depth=3
	v_and_b32_e32 v31, 0x7fffffff, v5
	v_mov_b32_e32 v32, v33
	v_cmp_gt_u64_e32 vcc, s[78:79], v[31:32]
	v_and_b32_sdwa v2, v5, s97 dst_sel:DWORD dst_unused:UNUSED_PAD src0_sel:BYTE_3 src1_sel:DWORD
                                        ; implicit-def: $vgpr32
	s_and_saveexec_b64 s[28:29], vcc
	s_xor_b64 s[36:37], exec, s[28:29]
	s_cbranch_execz .LBB6_27124
; %bb.27111:                            ;   in Loop: Header=BB6_25823 Depth=3
	v_cmp_ne_u32_e32 vcc, 0, v5
	v_mov_b32_e32 v32, 0
	s_and_saveexec_b64 s[38:39], vcc
	s_cbranch_execz .LBB6_27123
; %bb.27112:                            ;   in Loop: Header=BB6_25823 Depth=3
	v_bfe_u32 v5, v5, 23, 8
	v_cmp_gt_u32_e64 s[28:29], s47, v5
	v_sub_u32_e32 v7, 0x71, v5
	v_cmp_eq_u32_e32 vcc, 0, v5
	v_cndmask_b32_e64 v7, 0, v7, s[28:29]
	v_mov_b32_e32 v25, 0x70
	v_or_b32_e32 v23, 0x800000, v16
	v_cndmask_b32_e32 v7, v7, v25, vcc
	v_cndmask_b32_e32 v16, v23, v16, vcc
	v_add_u32_e32 v23, 21, v7
	v_lshlrev_b64 v[31:32], v23, -1
	v_add_u32_e32 v23, 20, v7
	v_bfi_b32 v31, v31, 0, v16
	v_lshlrev_b64 v[35:36], v23, 1
	v_lshrrev_b64 v[16:17], v7, v[16:17]
	v_bfi_b32 v32, v32, 0, 0
	v_cmp_eq_u64_e64 s[28:29], v[31:32], v[35:36]
	v_mov_b32_e32 v32, v17
	v_mov_b32_e32 v31, v16
	s_and_saveexec_b64 s[48:49], s[28:29]
; %bb.27113:                            ;   in Loop: Header=BB6_25823 Depth=3
	v_bfe_u32 v17, v16, 21, 1
	v_add_co_u32_e64 v17, s[28:29], v16, v17
	v_add_co_u32_e64 v31, s[28:29], -1, v17
; %bb.27114:                            ;   in Loop: Header=BB6_25823 Depth=3
	s_or_b64 exec, exec, s[48:49]
	v_add_u32_e32 v5, 0xffffff81, v5
	v_mov_b32_e32 v17, 0xffffff82
	v_cndmask_b32_e32 v5, v5, v17, vcc
	v_lshrrev_b32_e32 v17, 23, v16
	v_add3_u32 v23, v7, v5, v17
	v_add_u32_e32 v7, 14, v23
	v_and_b32_e32 v5, 0x1fffff, v31
	v_add_u32_e32 v16, v5, v16
	v_mov_b32_e32 v17, v33
	v_cmp_ne_u32_e32 vcc, 0, v7
                                        ; implicit-def: $vgpr5
	s_and_saveexec_b64 s[28:29], vcc
	s_xor_b64 s[28:29], exec, s[28:29]
; %bb.27115:                            ;   in Loop: Header=BB6_25823 Depth=3
	v_cmp_lt_u64_e32 vcc, s[88:89], v[16:17]
	v_add_u32_e32 v5, 15, v23
	v_cndmask_b32_e32 v5, v7, v5, vcc
	v_cndmask_b32_e64 v7, 0, 1, vcc
	v_lshrrev_b64 v[16:17], v7, v[16:17]
; %bb.27116:                            ;   in Loop: Header=BB6_25823 Depth=3
	s_andn2_saveexec_b64 s[28:29], s[28:29]
; %bb.27117:                            ;   in Loop: Header=BB6_25823 Depth=3
	v_bfe_u32 v5, v16, 23, 1
; %bb.27118:                            ;   in Loop: Header=BB6_25823 Depth=3
	s_or_b64 exec, exec, s[28:29]
	v_lshrrev_b64 v[16:17], 21, v[16:17]
	v_cmp_gt_i32_e32 vcc, 32, v5
	v_cndmask_b32_e32 v17, 0, v17, vcc
	v_cndmask_b32_e32 v16, 3, v16, vcc
	v_cmp_ne_u64_e32 vcc, 0, v[16:17]
	v_cmp_ne_u32_e64 s[28:29], 0, v5
	s_or_b64 s[28:29], s[28:29], vcc
                                        ; implicit-def: $vgpr32
	s_and_saveexec_b64 s[62:63], s[28:29]
	s_xor_b64 s[28:29], exec, s[62:63]
; %bb.27119:                            ;   in Loop: Header=BB6_25823 Depth=3
	v_min_i32_e32 v5, 31, v5
	v_lshl_or_b32 v2, v5, 2, v2
	v_and_or_b32 v32, v16, 3, v2
                                        ; implicit-def: $vgpr2
; %bb.27120:                            ;   in Loop: Header=BB6_25823 Depth=3
	s_andn2_saveexec_b64 s[28:29], s[28:29]
; %bb.27121:                            ;   in Loop: Header=BB6_25823 Depth=3
	v_mov_b32_e32 v32, v2
; %bb.27122:                            ;   in Loop: Header=BB6_25823 Depth=3
	s_or_b64 exec, exec, s[28:29]
.LBB6_27123:                            ;   in Loop: Header=BB6_25823 Depth=3
	s_or_b64 exec, exec, s[38:39]
                                        ; implicit-def: $vgpr2
.LBB6_27124:                            ;   in Loop: Header=BB6_25823 Depth=3
	s_andn2_saveexec_b64 s[28:29], s[36:37]
; %bb.27125:                            ;   in Loop: Header=BB6_25823 Depth=3
	v_or_b32_e32 v32, 0x7b, v2
; %bb.27126:                            ;   in Loop: Header=BB6_25823 Depth=3
	s_or_b64 exec, exec, s[28:29]
                                        ; implicit-def: $vgpr5
                                        ; implicit-def: $vgpr16_vgpr17
.LBB6_27127:                            ;   in Loop: Header=BB6_25823 Depth=3
	s_andn2_saveexec_b64 s[28:29], s[34:35]
	s_cbranch_execz .LBB6_27133
; %bb.27128:                            ;   in Loop: Header=BB6_25823 Depth=3
	v_cmp_ne_u64_e32 vcc, 0, v[16:17]
                                        ; implicit-def: $vgpr32
	s_and_saveexec_b64 s[62:63], vcc
	s_xor_b64 vcc, exec, s[62:63]
; %bb.27129:                            ;   in Loop: Header=BB6_25823 Depth=3
	v_or_b32_sdwa v32, v5, s44 dst_sel:DWORD dst_unused:UNUSED_PAD src0_sel:BYTE_3 src1_sel:DWORD
                                        ; implicit-def: $vgpr5
; %bb.27130:                            ;   in Loop: Header=BB6_25823 Depth=3
	s_andn2_saveexec_b64 s[34:35], vcc
; %bb.27131:                            ;   in Loop: Header=BB6_25823 Depth=3
	v_cmp_lt_i32_e32 vcc, -1, v5
	v_mov_b32_e32 v2, 0x7c
	v_cndmask_b32_e32 v32, -4, v2, vcc
; %bb.27132:                            ;   in Loop: Header=BB6_25823 Depth=3
	s_or_b64 exec, exec, s[34:35]
.LBB6_27133:                            ;   in Loop: Header=BB6_25823 Depth=3
	s_or_b64 exec, exec, s[28:29]
	buffer_load_dword v16, off, s[0:3], s33 offset:252 ; 4-byte Folded Reload
	buffer_load_dword v17, off, s[0:3], s33 offset:256 ; 4-byte Folded Reload
	v_mov_b32_e32 v2, 0
	v_mov_b32_e32 v5, 0
	s_waitcnt vmcnt(1)
	v_and_b32_e32 v16, 0xff, v16
	v_cmp_ne_u16_e32 vcc, 0, v16
	s_and_saveexec_b64 s[28:29], vcc
	s_cbranch_execz .LBB6_27141
; %bb.27134:                            ;   in Loop: Header=BB6_25823 Depth=3
	v_cmp_ne_u16_e32 vcc, s97, v16
	v_bfrev_b32_e32 v5, 1
	s_and_saveexec_b64 s[34:35], vcc
	s_cbranch_execz .LBB6_27140
; %bb.27135:                            ;   in Loop: Header=BB6_25823 Depth=3
	buffer_load_dword v35, off, s[0:3], s33 offset:252 ; 4-byte Folded Reload
	buffer_load_dword v36, off, s[0:3], s33 offset:256 ; 4-byte Folded Reload
	s_waitcnt vmcnt(1)
	v_mov_b32_e32 v5, v35
	v_and_b32_e32 v7, 3, v5
	v_and_b32_e32 v5, 0x7c, v5
	v_cmp_ne_u32_e32 vcc, s86, v5
                                        ; implicit-def: $vgpr5
	s_and_saveexec_b64 s[62:63], vcc
	s_xor_b64 s[36:37], exec, s[62:63]
	s_cbranch_execz .LBB6_27137
; %bb.27136:                            ;   in Loop: Header=BB6_25823 Depth=3
	buffer_load_dword v35, off, s[0:3], s33 offset:252 ; 4-byte Folded Reload
	buffer_load_dword v36, off, s[0:3], s33 offset:256 ; 4-byte Folded Reload
	v_bfe_u32 v5, v16, 2, 5
	v_ffbh_u32_e32 v16, v7
	v_min_u32_e32 v23, 32, v16
	s_waitcnt vmcnt(0)
	v_mov_b32_e32 v36, v33
	v_subrev_u32_e32 v16, 29, v23
	v_cmp_eq_u32_e32 vcc, 0, v5
	v_lshlrev_b64 v[16:17], v16, v[35:36]
	v_sub_u32_e32 v17, 30, v23
	v_and_b32_e32 v16, 3, v16
	v_cndmask_b32_e32 v7, v7, v16, vcc
	v_lshlrev_b32_e32 v16, 24, v35
	v_cndmask_b32_e32 v5, v5, v17, vcc
	v_and_b32_e32 v16, 0x80000000, v16
	v_lshl_add_u32 v5, v5, 23, v16
	v_lshl_or_b32 v5, v7, 21, v5
	v_add_u32_e32 v5, 0x38000000, v5
                                        ; implicit-def: $vgpr16
                                        ; implicit-def: $vgpr7
	buffer_store_dword v16, off, s[0:3], s33 offset:252 ; 4-byte Folded Spill
	s_nop 0
	buffer_store_dword v17, off, s[0:3], s33 offset:256 ; 4-byte Folded Spill
.LBB6_27137:                            ;   in Loop: Header=BB6_25823 Depth=3
	s_andn2_saveexec_b64 s[36:37], s[36:37]
	s_cbranch_execz .LBB6_27139
; %bb.27138:                            ;   in Loop: Header=BB6_25823 Depth=3
	buffer_load_dword v16, off, s[0:3], s33 offset:252 ; 4-byte Folded Reload
	buffer_load_dword v17, off, s[0:3], s33 offset:256 ; 4-byte Folded Reload
	v_mov_b32_e32 v5, -1
	s_waitcnt vmcnt(1)
	v_cmp_gt_i16_sdwa vcc, sext(v16), v5 src0_sel:BYTE_0 src1_sel:DWORD
	v_mov_b32_e32 v5, 0xff800000
	v_mov_b32_e32 v16, 0x7f800000
	v_cndmask_b32_e32 v5, v5, v16, vcc
	v_cmp_eq_u32_e32 vcc, 0, v7
	v_mov_b32_e32 v7, 0x7f800001
	v_cndmask_b32_e32 v5, v7, v5, vcc
.LBB6_27139:                            ;   in Loop: Header=BB6_25823 Depth=3
	s_or_b64 exec, exec, s[36:37]
.LBB6_27140:                            ;   in Loop: Header=BB6_25823 Depth=3
	s_or_b64 exec, exec, s[34:35]
.LBB6_27141:                            ;   in Loop: Header=BB6_25823 Depth=3
	s_or_b64 exec, exec, s[28:29]
	v_cmp_ne_u16_e32 vcc, 0, v1
	s_and_saveexec_b64 s[28:29], vcc
	s_cbranch_execz .LBB6_27149
; %bb.27142:                            ;   in Loop: Header=BB6_25823 Depth=3
	v_cmp_ne_u16_e32 vcc, s46, v1
	v_bfrev_b32_e32 v2, 1
	s_and_saveexec_b64 s[34:35], vcc
	s_cbranch_execz .LBB6_27148
; %bb.27143:                            ;   in Loop: Header=BB6_25823 Depth=3
	v_and_b32_e32 v2, 0x7c, v1
	v_and_b32_e32 v7, 3, v1
	v_cmp_ne_u32_e32 vcc, s86, v2
                                        ; implicit-def: $vgpr2
	s_and_saveexec_b64 s[62:63], vcc
	s_xor_b64 s[36:37], exec, s[62:63]
	s_cbranch_execz .LBB6_27145
; %bb.27144:                            ;   in Loop: Header=BB6_25823 Depth=3
	v_and_b32_e32 v16, 0xff, v1
	v_bfe_u32 v23, v16, 2, 5
	v_ffbh_u32_e32 v16, v7
	v_min_u32_e32 v25, 32, v16
	v_mov_b32_e32 v2, v33
	v_subrev_u32_e32 v16, 29, v25
	s_waitcnt vmcnt(0)
	v_lshlrev_b64 v[16:17], v16, v[1:2]
	v_sub_u32_e32 v2, 30, v25
	v_cmp_eq_u32_e32 vcc, 0, v23
	v_and_b32_e32 v16, 3, v16
	v_cndmask_b32_e32 v2, v23, v2, vcc
	v_and_b32_sdwa v1, sext(v1), s87 dst_sel:DWORD dst_unused:UNUSED_PAD src0_sel:WORD_0 src1_sel:DWORD
	v_cndmask_b32_e32 v7, v7, v16, vcc
	v_lshl_add_u32 v1, v2, 23, v1
	v_lshl_or_b32 v1, v7, 21, v1
	v_add_u32_e32 v2, 0x38000000, v1
                                        ; implicit-def: $vgpr7
                                        ; implicit-def: $vgpr1
.LBB6_27145:                            ;   in Loop: Header=BB6_25823 Depth=3
	s_andn2_saveexec_b64 s[36:37], s[36:37]
; %bb.27146:                            ;   in Loop: Header=BB6_25823 Depth=3
	v_cmp_lt_i16_e32 vcc, -1, v1
	v_mov_b32_e32 v1, 0xff800000
	v_mov_b32_e32 v2, 0x7f800000
	v_cndmask_b32_e32 v1, v1, v2, vcc
	v_cmp_eq_u32_e32 vcc, 0, v7
	v_mov_b32_e32 v2, 0x7f800001
	v_cndmask_b32_e32 v2, v2, v1, vcc
; %bb.27147:                            ;   in Loop: Header=BB6_25823 Depth=3
	s_or_b64 exec, exec, s[36:37]
.LBB6_27148:                            ;   in Loop: Header=BB6_25823 Depth=3
	s_or_b64 exec, exec, s[34:35]
.LBB6_27149:                            ;   in Loop: Header=BB6_25823 Depth=3
	s_or_b64 exec, exec, s[28:29]
	v_add_f32_e32 v7, v5, v2
	v_and_b32_e32 v16, 0x7f800000, v7
	s_waitcnt vmcnt(0)
	v_mov_b32_e32 v17, v33
	v_cmp_ne_u64_e32 vcc, s[76:77], v[16:17]
	v_and_b32_e32 v1, 0x7fffff, v7
	v_mov_b32_e32 v2, v33
                                        ; implicit-def: $vgpr17
	s_and_saveexec_b64 s[28:29], vcc
	s_xor_b64 s[34:35], exec, s[28:29]
	s_cbranch_execz .LBB6_27167
; %bb.27150:                            ;   in Loop: Header=BB6_25823 Depth=3
	v_and_b32_e32 v16, 0x7fffffff, v7
	v_mov_b32_e32 v17, v33
	v_cmp_gt_u64_e32 vcc, s[78:79], v[16:17]
	v_and_b32_sdwa v5, v7, s97 dst_sel:DWORD dst_unused:UNUSED_PAD src0_sel:BYTE_3 src1_sel:DWORD
                                        ; implicit-def: $vgpr17
	s_and_saveexec_b64 s[28:29], vcc
	s_xor_b64 s[36:37], exec, s[28:29]
	s_cbranch_execz .LBB6_27164
; %bb.27151:                            ;   in Loop: Header=BB6_25823 Depth=3
	v_cmp_ne_u32_e32 vcc, 0, v7
	v_mov_b32_e32 v17, 0
	s_and_saveexec_b64 s[38:39], vcc
	s_cbranch_execz .LBB6_27163
; %bb.27152:                            ;   in Loop: Header=BB6_25823 Depth=3
	v_bfe_u32 v7, v7, 23, 8
	v_cmp_gt_u32_e64 s[28:29], s47, v7
	v_sub_u32_e32 v16, 0x71, v7
	v_cmp_eq_u32_e32 vcc, 0, v7
	v_cndmask_b32_e64 v16, 0, v16, s[28:29]
	v_mov_b32_e32 v23, 0x70
	v_cndmask_b32_e32 v23, v16, v23, vcc
	v_or_b32_e32 v17, 0x800000, v1
	v_add_u32_e32 v16, 21, v23
	v_cndmask_b32_e32 v1, v17, v1, vcc
	v_lshlrev_b64 v[16:17], v16, -1
	v_add_u32_e32 v25, 20, v23
	v_bfi_b32 v16, v16, 0, v1
	v_lshlrev_b64 v[35:36], v25, 1
	v_lshrrev_b64 v[1:2], v23, v[1:2]
	v_bfi_b32 v17, v17, 0, 0
	v_cmp_eq_u64_e64 s[28:29], v[16:17], v[35:36]
	v_mov_b32_e32 v17, v2
	v_mov_b32_e32 v16, v1
	s_and_saveexec_b64 s[48:49], s[28:29]
; %bb.27153:                            ;   in Loop: Header=BB6_25823 Depth=3
	v_bfe_u32 v2, v1, 21, 1
	v_add_co_u32_e64 v2, s[28:29], v1, v2
	v_add_co_u32_e64 v16, s[28:29], -1, v2
; %bb.27154:                            ;   in Loop: Header=BB6_25823 Depth=3
	s_or_b64 exec, exec, s[48:49]
	v_add_u32_e32 v2, 0xffffff81, v7
	v_mov_b32_e32 v7, 0xffffff82
	v_cndmask_b32_e32 v2, v2, v7, vcc
	v_lshrrev_b32_e32 v7, 23, v1
	v_add3_u32 v23, v23, v2, v7
	v_add_u32_e32 v17, 14, v23
	v_and_b32_e32 v2, 0x1fffff, v16
	v_add_u32_e32 v1, v2, v1
	v_mov_b32_e32 v2, v33
	v_cmp_ne_u32_e32 vcc, 0, v17
                                        ; implicit-def: $vgpr7
	s_and_saveexec_b64 s[28:29], vcc
	s_xor_b64 s[28:29], exec, s[28:29]
; %bb.27155:                            ;   in Loop: Header=BB6_25823 Depth=3
	v_cmp_lt_u64_e32 vcc, s[88:89], v[1:2]
	v_add_u32_e32 v7, 15, v23
	v_cndmask_b32_e64 v16, 0, 1, vcc
	v_lshrrev_b64 v[1:2], v16, v[1:2]
	v_cndmask_b32_e32 v7, v17, v7, vcc
; %bb.27156:                            ;   in Loop: Header=BB6_25823 Depth=3
	s_andn2_saveexec_b64 s[28:29], s[28:29]
; %bb.27157:                            ;   in Loop: Header=BB6_25823 Depth=3
	v_bfe_u32 v7, v1, 23, 1
; %bb.27158:                            ;   in Loop: Header=BB6_25823 Depth=3
	s_or_b64 exec, exec, s[28:29]
	v_lshrrev_b64 v[1:2], 21, v[1:2]
	v_cmp_gt_i32_e32 vcc, 32, v7
	v_cndmask_b32_e32 v2, 0, v2, vcc
	v_cndmask_b32_e32 v1, 3, v1, vcc
	v_cmp_ne_u64_e32 vcc, 0, v[1:2]
	v_cmp_ne_u32_e64 s[28:29], 0, v7
	s_or_b64 s[28:29], s[28:29], vcc
                                        ; implicit-def: $vgpr17
	s_and_saveexec_b64 s[62:63], s[28:29]
	s_xor_b64 s[28:29], exec, s[62:63]
; %bb.27159:                            ;   in Loop: Header=BB6_25823 Depth=3
	v_min_i32_e32 v2, 31, v7
	v_lshl_or_b32 v2, v2, 2, v5
	v_and_or_b32 v17, v1, 3, v2
                                        ; implicit-def: $vgpr5
; %bb.27160:                            ;   in Loop: Header=BB6_25823 Depth=3
	s_andn2_saveexec_b64 s[28:29], s[28:29]
; %bb.27161:                            ;   in Loop: Header=BB6_25823 Depth=3
	v_mov_b32_e32 v17, v5
; %bb.27162:                            ;   in Loop: Header=BB6_25823 Depth=3
	s_or_b64 exec, exec, s[28:29]
.LBB6_27163:                            ;   in Loop: Header=BB6_25823 Depth=3
	s_or_b64 exec, exec, s[38:39]
                                        ; implicit-def: $vgpr5
.LBB6_27164:                            ;   in Loop: Header=BB6_25823 Depth=3
	s_andn2_saveexec_b64 s[28:29], s[36:37]
; %bb.27165:                            ;   in Loop: Header=BB6_25823 Depth=3
	v_or_b32_e32 v17, 0x7b, v5
; %bb.27166:                            ;   in Loop: Header=BB6_25823 Depth=3
	s_or_b64 exec, exec, s[28:29]
                                        ; implicit-def: $vgpr7
                                        ; implicit-def: $vgpr1_vgpr2
.LBB6_27167:                            ;   in Loop: Header=BB6_25823 Depth=3
	s_andn2_saveexec_b64 s[28:29], s[34:35]
	s_cbranch_execz .LBB6_27173
; %bb.27168:                            ;   in Loop: Header=BB6_25823 Depth=3
	v_cmp_ne_u64_e32 vcc, 0, v[1:2]
                                        ; implicit-def: $vgpr17
	s_and_saveexec_b64 s[62:63], vcc
	s_xor_b64 vcc, exec, s[62:63]
; %bb.27169:                            ;   in Loop: Header=BB6_25823 Depth=3
	v_or_b32_sdwa v17, v7, s44 dst_sel:DWORD dst_unused:UNUSED_PAD src0_sel:BYTE_3 src1_sel:DWORD
                                        ; implicit-def: $vgpr7
; %bb.27170:                            ;   in Loop: Header=BB6_25823 Depth=3
	s_andn2_saveexec_b64 s[34:35], vcc
; %bb.27171:                            ;   in Loop: Header=BB6_25823 Depth=3
	v_cmp_lt_i32_e32 vcc, -1, v7
	v_mov_b32_e32 v1, 0x7c
	v_cndmask_b32_e32 v17, -4, v1, vcc
; %bb.27172:                            ;   in Loop: Header=BB6_25823 Depth=3
	s_or_b64 exec, exec, s[34:35]
.LBB6_27173:                            ;   in Loop: Header=BB6_25823 Depth=3
	s_or_b64 exec, exec, s[28:29]
	buffer_load_dword v1, off, s[0:3], s33 offset:244 ; 4-byte Folded Reload
	buffer_load_dword v2, off, s[0:3], s33 offset:248 ; 4-byte Folded Reload
	s_waitcnt vmcnt(0)
	v_mov_b32_e32 v2, 0
	v_and_b32_e32 v7, 0xff, v1
	v_cmp_ne_u16_e32 vcc, 0, v7
	v_mov_b32_e32 v1, 0
	s_and_saveexec_b64 s[28:29], vcc
	s_cbranch_execz .LBB6_27181
; %bb.27174:                            ;   in Loop: Header=BB6_25823 Depth=3
	v_cmp_ne_u16_e32 vcc, s97, v7
	v_bfrev_b32_e32 v2, 1
	s_and_saveexec_b64 s[34:35], vcc
	s_cbranch_execz .LBB6_27180
; %bb.27175:                            ;   in Loop: Header=BB6_25823 Depth=3
	buffer_load_dword v35, off, s[0:3], s33 offset:244 ; 4-byte Folded Reload
	buffer_load_dword v36, off, s[0:3], s33 offset:248 ; 4-byte Folded Reload
	s_waitcnt vmcnt(1)
	v_mov_b32_e32 v2, v35
	v_and_b32_e32 v5, 3, v2
	v_and_b32_e32 v2, 0x7c, v2
	v_cmp_ne_u32_e32 vcc, s86, v2
                                        ; implicit-def: $vgpr2
	s_and_saveexec_b64 s[62:63], vcc
	s_xor_b64 s[36:37], exec, s[62:63]
	s_cbranch_execz .LBB6_27177
; %bb.27176:                            ;   in Loop: Header=BB6_25823 Depth=3
	buffer_load_dword v40, off, s[0:3], s33 offset:244 ; 4-byte Folded Reload
	buffer_load_dword v41, off, s[0:3], s33 offset:248 ; 4-byte Folded Reload
	v_bfe_u32 v2, v7, 2, 5
	v_ffbh_u32_e32 v7, v5
	v_min_u32_e32 v7, 32, v7
	s_waitcnt vmcnt(0)
	v_mov_b32_e32 v41, v33
	v_subrev_u32_e32 v16, 29, v7
	v_sub_u32_e32 v7, 30, v7
	v_cmp_eq_u32_e32 vcc, 0, v2
	v_cndmask_b32_e32 v2, v2, v7, vcc
	v_lshlrev_b32_e32 v7, 24, v40
	v_lshlrev_b64 v[35:36], v16, v[40:41]
	v_and_b32_e32 v7, 0x80000000, v7
	v_and_b32_e32 v16, 3, v35
	v_cndmask_b32_e32 v5, v5, v16, vcc
	v_lshl_add_u32 v2, v2, 23, v7
	v_lshl_or_b32 v2, v5, 21, v2
	v_add_u32_e32 v2, 0x38000000, v2
                                        ; implicit-def: $vgpr7
                                        ; implicit-def: $vgpr5
	buffer_store_dword v7, off, s[0:3], s33 offset:244 ; 4-byte Folded Spill
	s_nop 0
	buffer_store_dword v8, off, s[0:3], s33 offset:248 ; 4-byte Folded Spill
.LBB6_27177:                            ;   in Loop: Header=BB6_25823 Depth=3
	s_andn2_saveexec_b64 s[36:37], s[36:37]
	s_cbranch_execz .LBB6_27179
; %bb.27178:                            ;   in Loop: Header=BB6_25823 Depth=3
	buffer_load_dword v35, off, s[0:3], s33 offset:244 ; 4-byte Folded Reload
	buffer_load_dword v36, off, s[0:3], s33 offset:248 ; 4-byte Folded Reload
	v_mov_b32_e32 v2, -1
	v_mov_b32_e32 v7, 0x7f800000
	s_waitcnt vmcnt(1)
	v_cmp_gt_i16_sdwa vcc, sext(v35), v2 src0_sel:BYTE_0 src1_sel:DWORD
	v_mov_b32_e32 v2, 0xff800000
	v_cndmask_b32_e32 v2, v2, v7, vcc
	v_cmp_eq_u32_e32 vcc, 0, v5
	v_mov_b32_e32 v5, 0x7f800001
	v_cndmask_b32_e32 v2, v5, v2, vcc
.LBB6_27179:                            ;   in Loop: Header=BB6_25823 Depth=3
	s_or_b64 exec, exec, s[36:37]
.LBB6_27180:                            ;   in Loop: Header=BB6_25823 Depth=3
	s_or_b64 exec, exec, s[34:35]
.LBB6_27181:                            ;   in Loop: Header=BB6_25823 Depth=3
	s_or_b64 exec, exec, s[28:29]
	v_cmp_ne_u16_e32 vcc, 0, v15
	s_and_saveexec_b64 s[28:29], vcc
	s_cbranch_execz .LBB6_27189
; %bb.27182:                            ;   in Loop: Header=BB6_25823 Depth=3
	v_cmp_ne_u16_e32 vcc, s46, v15
	v_bfrev_b32_e32 v1, 1
	s_and_saveexec_b64 s[34:35], vcc
	s_cbranch_execz .LBB6_27188
; %bb.27183:                            ;   in Loop: Header=BB6_25823 Depth=3
	v_and_b32_e32 v1, 0x7c, v15
	v_and_b32_e32 v5, 3, v15
	v_cmp_ne_u32_e32 vcc, s86, v1
                                        ; implicit-def: $vgpr1
	s_and_saveexec_b64 s[62:63], vcc
	s_xor_b64 s[36:37], exec, s[62:63]
	s_cbranch_execz .LBB6_27185
; %bb.27184:                            ;   in Loop: Header=BB6_25823 Depth=3
	v_ffbh_u32_e32 v7, v5
	v_min_u32_e32 v7, 32, v7
	v_and_b32_e32 v1, 0xff, v15
	v_mov_b32_e32 v16, v33
	v_subrev_u32_e32 v23, 29, v7
	v_bfe_u32 v1, v1, 2, 5
	s_waitcnt vmcnt(0)
	v_lshlrev_b64 v[35:36], v23, v[15:16]
	v_sub_u32_e32 v7, 30, v7
	v_cmp_eq_u32_e32 vcc, 0, v1
	v_and_b32_e32 v16, 3, v35
	v_cndmask_b32_e32 v1, v1, v7, vcc
	v_and_b32_sdwa v7, sext(v15), s87 dst_sel:DWORD dst_unused:UNUSED_PAD src0_sel:WORD_0 src1_sel:DWORD
	v_cndmask_b32_e32 v5, v5, v16, vcc
	v_lshl_add_u32 v1, v1, 23, v7
	v_lshl_or_b32 v1, v5, 21, v1
	v_add_u32_e32 v1, 0x38000000, v1
                                        ; implicit-def: $vgpr5
                                        ; implicit-def: $vgpr15
.LBB6_27185:                            ;   in Loop: Header=BB6_25823 Depth=3
	s_andn2_saveexec_b64 s[36:37], s[36:37]
; %bb.27186:                            ;   in Loop: Header=BB6_25823 Depth=3
	v_cmp_lt_i16_e32 vcc, -1, v15
	v_mov_b32_e32 v1, 0xff800000
	v_mov_b32_e32 v7, 0x7f800000
	v_cndmask_b32_e32 v1, v1, v7, vcc
	v_cmp_eq_u32_e32 vcc, 0, v5
	v_mov_b32_e32 v5, 0x7f800001
	v_cndmask_b32_e32 v1, v5, v1, vcc
; %bb.27187:                            ;   in Loop: Header=BB6_25823 Depth=3
	s_or_b64 exec, exec, s[36:37]
.LBB6_27188:                            ;   in Loop: Header=BB6_25823 Depth=3
	s_or_b64 exec, exec, s[34:35]
.LBB6_27189:                            ;   in Loop: Header=BB6_25823 Depth=3
	s_or_b64 exec, exec, s[28:29]
	v_add_f32_e32 v7, v2, v1
	v_and_b32_e32 v15, 0x7f800000, v7
	v_mov_b32_e32 v16, v33
	v_cmp_ne_u64_e32 vcc, s[76:77], v[15:16]
	v_and_b32_e32 v1, 0x7fffff, v7
	v_mov_b32_e32 v2, v33
                                        ; implicit-def: $vgpr16
	s_and_saveexec_b64 s[28:29], vcc
	s_xor_b64 s[34:35], exec, s[28:29]
	s_cbranch_execz .LBB6_27207
; %bb.27190:                            ;   in Loop: Header=BB6_25823 Depth=3
	v_and_b32_e32 v15, 0x7fffffff, v7
	v_mov_b32_e32 v16, v33
	v_cmp_gt_u64_e32 vcc, s[78:79], v[15:16]
	v_and_b32_sdwa v5, v7, s97 dst_sel:DWORD dst_unused:UNUSED_PAD src0_sel:BYTE_3 src1_sel:DWORD
                                        ; implicit-def: $vgpr16
	s_and_saveexec_b64 s[28:29], vcc
	s_xor_b64 s[36:37], exec, s[28:29]
	s_cbranch_execz .LBB6_27204
; %bb.27191:                            ;   in Loop: Header=BB6_25823 Depth=3
	v_cmp_ne_u32_e32 vcc, 0, v7
	v_mov_b32_e32 v16, 0
	s_and_saveexec_b64 s[38:39], vcc
	s_cbranch_execz .LBB6_27203
; %bb.27192:                            ;   in Loop: Header=BB6_25823 Depth=3
	v_bfe_u32 v7, v7, 23, 8
	v_cmp_gt_u32_e64 s[28:29], s47, v7
	v_sub_u32_e32 v15, 0x71, v7
	v_cmp_eq_u32_e32 vcc, 0, v7
	v_cndmask_b32_e64 v15, 0, v15, s[28:29]
	v_mov_b32_e32 v23, 0x70
	v_cndmask_b32_e32 v23, v15, v23, vcc
	v_or_b32_e32 v16, 0x800000, v1
	v_add_u32_e32 v15, 21, v23
	v_cndmask_b32_e32 v1, v16, v1, vcc
	v_lshlrev_b64 v[15:16], v15, -1
	v_add_u32_e32 v25, 20, v23
	v_bfi_b32 v15, v15, 0, v1
	s_waitcnt vmcnt(0)
	v_lshlrev_b64 v[35:36], v25, 1
	v_lshrrev_b64 v[1:2], v23, v[1:2]
	v_bfi_b32 v16, v16, 0, 0
	v_cmp_eq_u64_e64 s[28:29], v[15:16], v[35:36]
	v_mov_b32_e32 v16, v2
	v_mov_b32_e32 v15, v1
	s_and_saveexec_b64 s[48:49], s[28:29]
; %bb.27193:                            ;   in Loop: Header=BB6_25823 Depth=3
	v_bfe_u32 v2, v1, 21, 1
	v_add_co_u32_e64 v2, s[28:29], v1, v2
	v_add_co_u32_e64 v15, s[28:29], -1, v2
; %bb.27194:                            ;   in Loop: Header=BB6_25823 Depth=3
	s_or_b64 exec, exec, s[48:49]
	v_add_u32_e32 v2, 0xffffff81, v7
	v_mov_b32_e32 v7, 0xffffff82
	v_cndmask_b32_e32 v2, v2, v7, vcc
	v_lshrrev_b32_e32 v7, 23, v1
	v_add3_u32 v23, v23, v2, v7
	v_add_u32_e32 v16, 14, v23
	v_and_b32_e32 v2, 0x1fffff, v15
	v_add_u32_e32 v1, v2, v1
	v_mov_b32_e32 v2, v33
	v_cmp_ne_u32_e32 vcc, 0, v16
                                        ; implicit-def: $vgpr7
	s_and_saveexec_b64 s[28:29], vcc
	s_xor_b64 s[28:29], exec, s[28:29]
; %bb.27195:                            ;   in Loop: Header=BB6_25823 Depth=3
	v_cmp_lt_u64_e32 vcc, s[88:89], v[1:2]
	v_add_u32_e32 v7, 15, v23
	v_cndmask_b32_e64 v15, 0, 1, vcc
	v_lshrrev_b64 v[1:2], v15, v[1:2]
	v_cndmask_b32_e32 v7, v16, v7, vcc
; %bb.27196:                            ;   in Loop: Header=BB6_25823 Depth=3
	s_andn2_saveexec_b64 s[28:29], s[28:29]
; %bb.27197:                            ;   in Loop: Header=BB6_25823 Depth=3
	v_bfe_u32 v7, v1, 23, 1
; %bb.27198:                            ;   in Loop: Header=BB6_25823 Depth=3
	s_or_b64 exec, exec, s[28:29]
	v_lshrrev_b64 v[1:2], 21, v[1:2]
	v_cmp_gt_i32_e32 vcc, 32, v7
	v_cndmask_b32_e32 v2, 0, v2, vcc
	v_cndmask_b32_e32 v1, 3, v1, vcc
	v_cmp_ne_u64_e32 vcc, 0, v[1:2]
	v_cmp_ne_u32_e64 s[28:29], 0, v7
	s_or_b64 s[28:29], s[28:29], vcc
                                        ; implicit-def: $vgpr16
	s_and_saveexec_b64 s[62:63], s[28:29]
	s_xor_b64 s[28:29], exec, s[62:63]
; %bb.27199:                            ;   in Loop: Header=BB6_25823 Depth=3
	v_min_i32_e32 v2, 31, v7
	v_lshl_or_b32 v2, v2, 2, v5
	v_and_or_b32 v16, v1, 3, v2
                                        ; implicit-def: $vgpr5
; %bb.27200:                            ;   in Loop: Header=BB6_25823 Depth=3
	s_andn2_saveexec_b64 s[28:29], s[28:29]
; %bb.27201:                            ;   in Loop: Header=BB6_25823 Depth=3
	v_mov_b32_e32 v16, v5
; %bb.27202:                            ;   in Loop: Header=BB6_25823 Depth=3
	s_or_b64 exec, exec, s[28:29]
.LBB6_27203:                            ;   in Loop: Header=BB6_25823 Depth=3
	s_or_b64 exec, exec, s[38:39]
                                        ; implicit-def: $vgpr5
.LBB6_27204:                            ;   in Loop: Header=BB6_25823 Depth=3
	s_andn2_saveexec_b64 s[28:29], s[36:37]
; %bb.27205:                            ;   in Loop: Header=BB6_25823 Depth=3
	v_or_b32_e32 v16, 0x7b, v5
; %bb.27206:                            ;   in Loop: Header=BB6_25823 Depth=3
	s_or_b64 exec, exec, s[28:29]
                                        ; implicit-def: $vgpr7
                                        ; implicit-def: $vgpr1_vgpr2
.LBB6_27207:                            ;   in Loop: Header=BB6_25823 Depth=3
	s_andn2_saveexec_b64 s[28:29], s[34:35]
	s_cbranch_execz .LBB6_27213
; %bb.27208:                            ;   in Loop: Header=BB6_25823 Depth=3
	v_cmp_ne_u64_e32 vcc, 0, v[1:2]
                                        ; implicit-def: $vgpr16
	s_and_saveexec_b64 s[62:63], vcc
	s_xor_b64 vcc, exec, s[62:63]
; %bb.27209:                            ;   in Loop: Header=BB6_25823 Depth=3
	v_or_b32_sdwa v16, v7, s44 dst_sel:DWORD dst_unused:UNUSED_PAD src0_sel:BYTE_3 src1_sel:DWORD
                                        ; implicit-def: $vgpr7
; %bb.27210:                            ;   in Loop: Header=BB6_25823 Depth=3
	s_andn2_saveexec_b64 s[34:35], vcc
; %bb.27211:                            ;   in Loop: Header=BB6_25823 Depth=3
	v_cmp_lt_i32_e32 vcc, -1, v7
	v_mov_b32_e32 v1, 0x7c
	v_cndmask_b32_e32 v16, -4, v1, vcc
; %bb.27212:                            ;   in Loop: Header=BB6_25823 Depth=3
	s_or_b64 exec, exec, s[34:35]
.LBB6_27213:                            ;   in Loop: Header=BB6_25823 Depth=3
	s_or_b64 exec, exec, s[28:29]
	v_and_b32_e32 v7, 0xff, v0
	v_cmp_ne_u16_e32 vcc, 0, v7
	v_mov_b32_e32 v2, 0
	v_mov_b32_e32 v1, 0
	s_and_saveexec_b64 s[28:29], vcc
	s_cbranch_execz .LBB6_27221
; %bb.27214:                            ;   in Loop: Header=BB6_25823 Depth=3
	v_cmp_ne_u16_e32 vcc, s97, v7
	v_bfrev_b32_e32 v1, 1
	s_and_saveexec_b64 s[34:35], vcc
	s_cbranch_execz .LBB6_27220
; %bb.27215:                            ;   in Loop: Header=BB6_25823 Depth=3
	v_and_b32_e32 v1, 0x7c, v0
	v_and_b32_e32 v5, 3, v0
	v_cmp_ne_u32_e32 vcc, s86, v1
                                        ; implicit-def: $vgpr1
	s_and_saveexec_b64 s[62:63], vcc
	s_xor_b64 s[36:37], exec, s[62:63]
	s_cbranch_execz .LBB6_27217
; %bb.27216:                            ;   in Loop: Header=BB6_25823 Depth=3
	v_ffbh_u32_e32 v15, v5
	v_min_u32_e32 v15, 32, v15
	v_mov_b32_e32 v1, v33
	v_subrev_u32_e32 v23, 29, v15
	v_bfe_u32 v7, v7, 2, 5
	s_waitcnt vmcnt(0)
	v_lshlrev_b64 v[35:36], v23, v[0:1]
	v_sub_u32_e32 v1, 30, v15
	v_cmp_eq_u32_e32 vcc, 0, v7
	v_lshlrev_b32_e32 v0, 24, v0
	v_and_b32_e32 v15, 3, v35
	v_cndmask_b32_e32 v1, v7, v1, vcc
	v_and_b32_e32 v0, 0x80000000, v0
	v_cndmask_b32_e32 v5, v5, v15, vcc
	v_lshl_add_u32 v0, v1, 23, v0
	v_lshl_or_b32 v0, v5, 21, v0
	v_add_u32_e32 v1, 0x38000000, v0
                                        ; implicit-def: $vgpr5
                                        ; implicit-def: $vgpr0
.LBB6_27217:                            ;   in Loop: Header=BB6_25823 Depth=3
	s_andn2_saveexec_b64 s[36:37], s[36:37]
; %bb.27218:                            ;   in Loop: Header=BB6_25823 Depth=3
	v_mov_b32_e32 v1, -1
	v_cmp_gt_i16_sdwa vcc, sext(v0), v1 src0_sel:BYTE_0 src1_sel:DWORD
	v_mov_b32_e32 v0, 0xff800000
	v_mov_b32_e32 v1, 0x7f800000
	v_cndmask_b32_e32 v0, v0, v1, vcc
	v_cmp_eq_u32_e32 vcc, 0, v5
	v_mov_b32_e32 v1, 0x7f800001
	v_cndmask_b32_e32 v1, v1, v0, vcc
; %bb.27219:                            ;   in Loop: Header=BB6_25823 Depth=3
	s_or_b64 exec, exec, s[36:37]
.LBB6_27220:                            ;   in Loop: Header=BB6_25823 Depth=3
	s_or_b64 exec, exec, s[34:35]
.LBB6_27221:                            ;   in Loop: Header=BB6_25823 Depth=3
	s_or_b64 exec, exec, s[28:29]
	v_cmp_ne_u16_e32 vcc, 0, v59
	s_and_saveexec_b64 s[28:29], vcc
	s_cbranch_execz .LBB6_27229
; %bb.27222:                            ;   in Loop: Header=BB6_25823 Depth=3
	v_cmp_ne_u16_e32 vcc, s46, v59
	v_bfrev_b32_e32 v2, 1
	s_and_saveexec_b64 s[34:35], vcc
	s_cbranch_execz .LBB6_27228
; %bb.27223:                            ;   in Loop: Header=BB6_25823 Depth=3
	v_and_b32_e32 v2, 0x7c, v59
	v_and_b32_e32 v0, 3, v59
	v_cmp_ne_u32_e32 vcc, s86, v2
                                        ; implicit-def: $vgpr2
	s_and_saveexec_b64 s[62:63], vcc
	s_xor_b64 s[36:37], exec, s[62:63]
	s_cbranch_execz .LBB6_27225
; %bb.27224:                            ;   in Loop: Header=BB6_25823 Depth=3
	v_ffbh_u32_e32 v5, v0
	v_min_u32_e32 v5, 32, v5
	v_and_b32_e32 v2, 0xff, v59
	v_mov_b32_e32 v60, v33
	v_subrev_u32_e32 v7, 29, v5
	v_bfe_u32 v2, v2, 2, 5
	s_waitcnt vmcnt(0)
	v_lshlrev_b64 v[35:36], v7, v[59:60]
	v_sub_u32_e32 v5, 30, v5
	v_cmp_eq_u32_e32 vcc, 0, v2
	v_and_b32_e32 v7, 3, v35
	v_cndmask_b32_e32 v2, v2, v5, vcc
	v_and_b32_sdwa v5, sext(v59), s87 dst_sel:DWORD dst_unused:UNUSED_PAD src0_sel:WORD_0 src1_sel:DWORD
	v_cndmask_b32_e32 v0, v0, v7, vcc
	v_lshl_add_u32 v2, v2, 23, v5
	v_lshl_or_b32 v0, v0, 21, v2
	v_add_u32_e32 v2, 0x38000000, v0
                                        ; implicit-def: $vgpr0
                                        ; implicit-def: $vgpr59
.LBB6_27225:                            ;   in Loop: Header=BB6_25823 Depth=3
	s_andn2_saveexec_b64 s[36:37], s[36:37]
; %bb.27226:                            ;   in Loop: Header=BB6_25823 Depth=3
	v_cmp_lt_i16_e32 vcc, -1, v59
	v_mov_b32_e32 v2, 0xff800000
	v_mov_b32_e32 v5, 0x7f800000
	v_cndmask_b32_e32 v2, v2, v5, vcc
	v_cmp_eq_u32_e32 vcc, 0, v0
	v_mov_b32_e32 v0, 0x7f800001
	v_cndmask_b32_e32 v2, v0, v2, vcc
; %bb.27227:                            ;   in Loop: Header=BB6_25823 Depth=3
	s_or_b64 exec, exec, s[36:37]
.LBB6_27228:                            ;   in Loop: Header=BB6_25823 Depth=3
	s_or_b64 exec, exec, s[34:35]
.LBB6_27229:                            ;   in Loop: Header=BB6_25823 Depth=3
	s_or_b64 exec, exec, s[28:29]
	v_add_f32_e32 v2, v1, v2
	v_and_b32_e32 v35, 0x7f800000, v2
	s_waitcnt vmcnt(0)
	v_mov_b32_e32 v36, v33
	v_cmp_ne_u64_e32 vcc, s[76:77], v[35:36]
	v_and_b32_e32 v0, 0x7fffff, v2
	v_mov_b32_e32 v1, v33
                                        ; implicit-def: $vgpr35
	s_and_saveexec_b64 s[28:29], vcc
	s_xor_b64 s[34:35], exec, s[28:29]
	s_cbranch_execz .LBB6_27247
; %bb.27230:                            ;   in Loop: Header=BB6_25823 Depth=3
	v_and_b32_e32 v35, 0x7fffffff, v2
	v_mov_b32_e32 v36, v33
	v_cmp_gt_u64_e32 vcc, s[78:79], v[35:36]
	v_and_b32_sdwa v5, v2, s97 dst_sel:DWORD dst_unused:UNUSED_PAD src0_sel:BYTE_3 src1_sel:DWORD
                                        ; implicit-def: $vgpr35
	s_and_saveexec_b64 s[28:29], vcc
	s_xor_b64 s[36:37], exec, s[28:29]
	s_cbranch_execz .LBB6_27244
; %bb.27231:                            ;   in Loop: Header=BB6_25823 Depth=3
	v_cmp_ne_u32_e32 vcc, 0, v2
	v_mov_b32_e32 v35, 0
	s_and_saveexec_b64 s[38:39], vcc
	s_cbranch_execz .LBB6_27243
; %bb.27232:                            ;   in Loop: Header=BB6_25823 Depth=3
	v_bfe_u32 v7, v2, 23, 8
	v_cmp_gt_u32_e64 s[28:29], s47, v7
	v_sub_u32_e32 v2, 0x71, v7
	v_cmp_eq_u32_e32 vcc, 0, v7
	v_cndmask_b32_e64 v2, 0, v2, s[28:29]
	v_mov_b32_e32 v15, 0x70
	v_cndmask_b32_e32 v15, v2, v15, vcc
	v_add_u32_e32 v2, 21, v15
	v_or_b32_e32 v23, 0x800000, v0
	v_lshlrev_b64 v[35:36], v2, -1
	v_cndmask_b32_e32 v0, v23, v0, vcc
	v_add_u32_e32 v2, 20, v15
	v_bfi_b32 v35, v35, 0, v0
	v_lshlrev_b64 v[40:41], v2, 1
	v_lshrrev_b64 v[0:1], v15, v[0:1]
	v_bfi_b32 v36, v36, 0, 0
	v_cmp_eq_u64_e64 s[28:29], v[35:36], v[40:41]
	v_mov_b32_e32 v2, v1
	v_mov_b32_e32 v1, v0
	s_and_saveexec_b64 s[48:49], s[28:29]
; %bb.27233:                            ;   in Loop: Header=BB6_25823 Depth=3
	v_bfe_u32 v1, v0, 21, 1
	v_add_co_u32_e64 v1, s[28:29], v0, v1
	v_add_co_u32_e64 v1, s[28:29], -1, v1
; %bb.27234:                            ;   in Loop: Header=BB6_25823 Depth=3
	s_or_b64 exec, exec, s[48:49]
	v_add_u32_e32 v2, 0xffffff81, v7
	v_mov_b32_e32 v7, 0xffffff82
	v_cndmask_b32_e32 v2, v2, v7, vcc
	v_lshrrev_b32_e32 v7, 23, v0
	v_add3_u32 v15, v15, v2, v7
	v_add_u32_e32 v7, 14, v15
	v_and_b32_e32 v1, 0x1fffff, v1
	v_add_u32_e32 v0, v1, v0
	v_mov_b32_e32 v1, v33
	v_cmp_ne_u32_e32 vcc, 0, v7
                                        ; implicit-def: $vgpr2
	s_and_saveexec_b64 s[28:29], vcc
	s_xor_b64 s[28:29], exec, s[28:29]
; %bb.27235:                            ;   in Loop: Header=BB6_25823 Depth=3
	v_cmp_lt_u64_e32 vcc, s[88:89], v[0:1]
	v_add_u32_e32 v2, 15, v15
	v_cndmask_b32_e32 v2, v7, v2, vcc
	v_cndmask_b32_e64 v7, 0, 1, vcc
	v_lshrrev_b64 v[0:1], v7, v[0:1]
; %bb.27236:                            ;   in Loop: Header=BB6_25823 Depth=3
	s_andn2_saveexec_b64 s[28:29], s[28:29]
; %bb.27237:                            ;   in Loop: Header=BB6_25823 Depth=3
	v_bfe_u32 v2, v0, 23, 1
; %bb.27238:                            ;   in Loop: Header=BB6_25823 Depth=3
	s_or_b64 exec, exec, s[28:29]
	v_lshrrev_b64 v[0:1], 21, v[0:1]
	v_cmp_gt_i32_e32 vcc, 32, v2
	v_cndmask_b32_e32 v1, 0, v1, vcc
	v_cndmask_b32_e32 v0, 3, v0, vcc
	v_cmp_ne_u64_e32 vcc, 0, v[0:1]
	v_cmp_ne_u32_e64 s[28:29], 0, v2
	s_or_b64 s[28:29], s[28:29], vcc
                                        ; implicit-def: $vgpr35
	s_and_saveexec_b64 s[62:63], s[28:29]
	s_xor_b64 s[28:29], exec, s[62:63]
; %bb.27239:                            ;   in Loop: Header=BB6_25823 Depth=3
	v_min_i32_e32 v1, 31, v2
	v_lshl_or_b32 v1, v1, 2, v5
	v_and_or_b32 v35, v0, 3, v1
                                        ; implicit-def: $vgpr5
; %bb.27240:                            ;   in Loop: Header=BB6_25823 Depth=3
	s_andn2_saveexec_b64 s[28:29], s[28:29]
; %bb.27241:                            ;   in Loop: Header=BB6_25823 Depth=3
	v_mov_b32_e32 v35, v5
; %bb.27242:                            ;   in Loop: Header=BB6_25823 Depth=3
	s_or_b64 exec, exec, s[28:29]
.LBB6_27243:                            ;   in Loop: Header=BB6_25823 Depth=3
	s_or_b64 exec, exec, s[38:39]
                                        ; implicit-def: $vgpr5
.LBB6_27244:                            ;   in Loop: Header=BB6_25823 Depth=3
	s_andn2_saveexec_b64 s[28:29], s[36:37]
; %bb.27245:                            ;   in Loop: Header=BB6_25823 Depth=3
	v_or_b32_e32 v35, 0x7b, v5
; %bb.27246:                            ;   in Loop: Header=BB6_25823 Depth=3
	s_or_b64 exec, exec, s[28:29]
                                        ; implicit-def: $vgpr2
                                        ; implicit-def: $vgpr0_vgpr1
.LBB6_27247:                            ;   in Loop: Header=BB6_25823 Depth=3
	s_andn2_saveexec_b64 s[28:29], s[34:35]
	s_cbranch_execz .LBB6_27253
; %bb.27248:                            ;   in Loop: Header=BB6_25823 Depth=3
	v_cmp_ne_u64_e32 vcc, 0, v[0:1]
                                        ; implicit-def: $vgpr35
	s_and_saveexec_b64 s[62:63], vcc
	s_xor_b64 vcc, exec, s[62:63]
; %bb.27249:                            ;   in Loop: Header=BB6_25823 Depth=3
	v_or_b32_sdwa v35, v2, s44 dst_sel:DWORD dst_unused:UNUSED_PAD src0_sel:BYTE_3 src1_sel:DWORD
                                        ; implicit-def: $vgpr2
; %bb.27250:                            ;   in Loop: Header=BB6_25823 Depth=3
	s_andn2_saveexec_b64 s[34:35], vcc
; %bb.27251:                            ;   in Loop: Header=BB6_25823 Depth=3
	v_cmp_lt_i32_e32 vcc, -1, v2
	v_mov_b32_e32 v0, 0x7c
	v_cndmask_b32_e32 v35, -4, v0, vcc
; %bb.27252:                            ;   in Loop: Header=BB6_25823 Depth=3
	s_or_b64 exec, exec, s[34:35]
.LBB6_27253:                            ;   in Loop: Header=BB6_25823 Depth=3
	s_or_b64 exec, exec, s[28:29]
	buffer_load_dword v0, off, s[0:3], s33 offset:236 ; 4-byte Folded Reload
	buffer_load_dword v1, off, s[0:3], s33 offset:240 ; 4-byte Folded Reload
	s_waitcnt vmcnt(0)
	v_mov_b32_e32 v1, 0
	v_and_b32_e32 v5, 0xff, v0
	v_cmp_ne_u16_e32 vcc, 0, v5
	v_mov_b32_e32 v0, 0
	s_and_saveexec_b64 s[28:29], vcc
	s_cbranch_execz .LBB6_27261
; %bb.27254:                            ;   in Loop: Header=BB6_25823 Depth=3
	v_cmp_ne_u16_e32 vcc, s97, v5
	v_bfrev_b32_e32 v1, 1
	s_and_saveexec_b64 s[34:35], vcc
	s_cbranch_execz .LBB6_27260
; %bb.27255:                            ;   in Loop: Header=BB6_25823 Depth=3
	buffer_load_dword v1, off, s[0:3], s33 offset:236 ; 4-byte Folded Reload
	buffer_load_dword v2, off, s[0:3], s33 offset:240 ; 4-byte Folded Reload
	s_waitcnt vmcnt(0)
	v_and_b32_e32 v2, 3, v1
	v_and_b32_e32 v1, 0x7c, v1
	v_cmp_ne_u32_e32 vcc, s86, v1
                                        ; implicit-def: $vgpr1
	s_and_saveexec_b64 s[62:63], vcc
	s_xor_b64 s[36:37], exec, s[62:63]
	s_cbranch_execz .LBB6_27257
; %bb.27256:                            ;   in Loop: Header=BB6_25823 Depth=3
	buffer_load_dword v42, off, s[0:3], s33 offset:236 ; 4-byte Folded Reload
	buffer_load_dword v43, off, s[0:3], s33 offset:240 ; 4-byte Folded Reload
	v_bfe_u32 v1, v5, 2, 5
	v_ffbh_u32_e32 v5, v2
	v_min_u32_e32 v5, 32, v5
	s_waitcnt vmcnt(0)
	v_mov_b32_e32 v43, v33
	v_subrev_u32_e32 v7, 29, v5
	v_sub_u32_e32 v5, 30, v5
	v_cmp_eq_u32_e32 vcc, 0, v1
	v_cndmask_b32_e32 v1, v1, v5, vcc
	v_lshlrev_b32_e32 v5, 24, v42
	v_lshlrev_b64 v[40:41], v7, v[42:43]
	v_and_b32_e32 v5, 0x80000000, v5
	v_and_b32_e32 v7, 3, v40
	v_cndmask_b32_e32 v2, v2, v7, vcc
	v_lshl_add_u32 v1, v1, 23, v5
	v_lshl_or_b32 v1, v2, 21, v1
	v_add_u32_e32 v1, 0x38000000, v1
                                        ; implicit-def: $vgpr5
                                        ; implicit-def: $vgpr2
	buffer_store_dword v5, off, s[0:3], s33 offset:236 ; 4-byte Folded Spill
	s_nop 0
	buffer_store_dword v6, off, s[0:3], s33 offset:240 ; 4-byte Folded Spill
.LBB6_27257:                            ;   in Loop: Header=BB6_25823 Depth=3
	s_andn2_saveexec_b64 s[36:37], s[36:37]
	s_cbranch_execz .LBB6_27259
; %bb.27258:                            ;   in Loop: Header=BB6_25823 Depth=3
	buffer_load_dword v40, off, s[0:3], s33 offset:236 ; 4-byte Folded Reload
	buffer_load_dword v41, off, s[0:3], s33 offset:240 ; 4-byte Folded Reload
	v_mov_b32_e32 v1, -1
	v_mov_b32_e32 v5, 0x7f800000
	s_waitcnt vmcnt(1)
	v_cmp_gt_i16_sdwa vcc, sext(v40), v1 src0_sel:BYTE_0 src1_sel:DWORD
	v_mov_b32_e32 v1, 0xff800000
	v_cndmask_b32_e32 v1, v1, v5, vcc
	v_cmp_eq_u32_e32 vcc, 0, v2
	v_mov_b32_e32 v2, 0x7f800001
	v_cndmask_b32_e32 v1, v2, v1, vcc
.LBB6_27259:                            ;   in Loop: Header=BB6_25823 Depth=3
	s_or_b64 exec, exec, s[36:37]
.LBB6_27260:                            ;   in Loop: Header=BB6_25823 Depth=3
	s_or_b64 exec, exec, s[34:35]
.LBB6_27261:                            ;   in Loop: Header=BB6_25823 Depth=3
	s_or_b64 exec, exec, s[28:29]
	v_cmp_ne_u16_e32 vcc, 0, v52
	s_and_saveexec_b64 s[28:29], vcc
	s_cbranch_execz .LBB6_27269
; %bb.27262:                            ;   in Loop: Header=BB6_25823 Depth=3
	v_cmp_ne_u16_e32 vcc, s46, v52
	v_bfrev_b32_e32 v0, 1
	s_and_saveexec_b64 s[34:35], vcc
	s_cbranch_execz .LBB6_27268
; %bb.27263:                            ;   in Loop: Header=BB6_25823 Depth=3
	v_and_b32_e32 v0, 0x7c, v52
	v_and_b32_e32 v2, 3, v52
	v_cmp_ne_u32_e32 vcc, s86, v0
                                        ; implicit-def: $vgpr0
	s_and_saveexec_b64 s[62:63], vcc
	s_xor_b64 s[36:37], exec, s[62:63]
	s_cbranch_execz .LBB6_27265
; %bb.27264:                            ;   in Loop: Header=BB6_25823 Depth=3
	v_ffbh_u32_e32 v5, v2
	v_min_u32_e32 v5, 32, v5
	v_and_b32_e32 v0, 0xff, v52
	v_mov_b32_e32 v53, v33
	v_subrev_u32_e32 v7, 29, v5
	v_bfe_u32 v0, v0, 2, 5
	s_waitcnt vmcnt(0)
	v_lshlrev_b64 v[40:41], v7, v[52:53]
	v_sub_u32_e32 v5, 30, v5
	v_cmp_eq_u32_e32 vcc, 0, v0
	v_and_b32_e32 v7, 3, v40
	v_cndmask_b32_e32 v0, v0, v5, vcc
	v_and_b32_sdwa v5, sext(v52), s87 dst_sel:DWORD dst_unused:UNUSED_PAD src0_sel:WORD_0 src1_sel:DWORD
	v_cndmask_b32_e32 v2, v2, v7, vcc
	v_lshl_add_u32 v0, v0, 23, v5
	v_lshl_or_b32 v0, v2, 21, v0
	v_add_u32_e32 v0, 0x38000000, v0
                                        ; implicit-def: $vgpr2
                                        ; implicit-def: $vgpr52
.LBB6_27265:                            ;   in Loop: Header=BB6_25823 Depth=3
	s_andn2_saveexec_b64 s[36:37], s[36:37]
; %bb.27266:                            ;   in Loop: Header=BB6_25823 Depth=3
	v_cmp_lt_i16_e32 vcc, -1, v52
	v_mov_b32_e32 v0, 0xff800000
	v_mov_b32_e32 v5, 0x7f800000
	v_cndmask_b32_e32 v0, v0, v5, vcc
	v_cmp_eq_u32_e32 vcc, 0, v2
	v_mov_b32_e32 v2, 0x7f800001
	v_cndmask_b32_e32 v0, v2, v0, vcc
; %bb.27267:                            ;   in Loop: Header=BB6_25823 Depth=3
	s_or_b64 exec, exec, s[36:37]
.LBB6_27268:                            ;   in Loop: Header=BB6_25823 Depth=3
	s_or_b64 exec, exec, s[34:35]
.LBB6_27269:                            ;   in Loop: Header=BB6_25823 Depth=3
	s_or_b64 exec, exec, s[28:29]
	v_add_f32_e32 v2, v1, v0
	v_and_b32_e32 v52, 0x7f800000, v2
	v_mov_b32_e32 v53, v33
	v_cmp_ne_u64_e32 vcc, s[76:77], v[52:53]
	v_and_b32_e32 v0, 0x7fffff, v2
	v_mov_b32_e32 v1, v33
                                        ; implicit-def: $vgpr36
	s_and_saveexec_b64 s[28:29], vcc
	s_xor_b64 s[34:35], exec, s[28:29]
	s_cbranch_execz .LBB6_27287
; %bb.27270:                            ;   in Loop: Header=BB6_25823 Depth=3
	v_and_b32_e32 v52, 0x7fffffff, v2
	v_mov_b32_e32 v53, v33
	v_cmp_gt_u64_e32 vcc, s[78:79], v[52:53]
	v_and_b32_sdwa v5, v2, s97 dst_sel:DWORD dst_unused:UNUSED_PAD src0_sel:BYTE_3 src1_sel:DWORD
                                        ; implicit-def: $vgpr36
	s_and_saveexec_b64 s[28:29], vcc
	s_xor_b64 s[36:37], exec, s[28:29]
	s_cbranch_execz .LBB6_27284
; %bb.27271:                            ;   in Loop: Header=BB6_25823 Depth=3
	v_cmp_ne_u32_e32 vcc, 0, v2
	v_mov_b32_e32 v36, 0
	s_and_saveexec_b64 s[38:39], vcc
	s_cbranch_execz .LBB6_27283
; %bb.27272:                            ;   in Loop: Header=BB6_25823 Depth=3
	v_bfe_u32 v7, v2, 23, 8
	v_cmp_gt_u32_e64 s[28:29], s47, v7
	v_sub_u32_e32 v2, 0x71, v7
	v_cmp_eq_u32_e32 vcc, 0, v7
	v_cndmask_b32_e64 v2, 0, v2, s[28:29]
	v_mov_b32_e32 v15, 0x70
	v_cndmask_b32_e32 v15, v2, v15, vcc
	v_add_u32_e32 v2, 21, v15
	v_or_b32_e32 v23, 0x800000, v0
	v_lshlrev_b64 v[52:53], v2, -1
	v_cndmask_b32_e32 v0, v23, v0, vcc
	v_add_u32_e32 v2, 20, v15
	v_bfi_b32 v52, v52, 0, v0
	s_waitcnt vmcnt(0)
	v_lshlrev_b64 v[40:41], v2, 1
	v_lshrrev_b64 v[0:1], v15, v[0:1]
	v_bfi_b32 v53, v53, 0, 0
	v_cmp_eq_u64_e64 s[28:29], v[52:53], v[40:41]
	v_mov_b32_e32 v2, v1
	v_mov_b32_e32 v1, v0
	s_and_saveexec_b64 s[48:49], s[28:29]
; %bb.27273:                            ;   in Loop: Header=BB6_25823 Depth=3
	v_bfe_u32 v1, v0, 21, 1
	v_add_co_u32_e64 v1, s[28:29], v0, v1
	v_add_co_u32_e64 v1, s[28:29], -1, v1
; %bb.27274:                            ;   in Loop: Header=BB6_25823 Depth=3
	s_or_b64 exec, exec, s[48:49]
	v_add_u32_e32 v2, 0xffffff81, v7
	v_mov_b32_e32 v7, 0xffffff82
	v_cndmask_b32_e32 v2, v2, v7, vcc
	v_lshrrev_b32_e32 v7, 23, v0
	v_add3_u32 v15, v15, v2, v7
	v_add_u32_e32 v7, 14, v15
	v_and_b32_e32 v1, 0x1fffff, v1
	v_add_u32_e32 v0, v1, v0
	v_mov_b32_e32 v1, v33
	v_cmp_ne_u32_e32 vcc, 0, v7
                                        ; implicit-def: $vgpr2
	s_and_saveexec_b64 s[28:29], vcc
	s_xor_b64 s[28:29], exec, s[28:29]
; %bb.27275:                            ;   in Loop: Header=BB6_25823 Depth=3
	v_cmp_lt_u64_e32 vcc, s[88:89], v[0:1]
	v_add_u32_e32 v2, 15, v15
	v_cndmask_b32_e32 v2, v7, v2, vcc
	v_cndmask_b32_e64 v7, 0, 1, vcc
	v_lshrrev_b64 v[0:1], v7, v[0:1]
; %bb.27276:                            ;   in Loop: Header=BB6_25823 Depth=3
	s_andn2_saveexec_b64 s[28:29], s[28:29]
; %bb.27277:                            ;   in Loop: Header=BB6_25823 Depth=3
	v_bfe_u32 v2, v0, 23, 1
; %bb.27278:                            ;   in Loop: Header=BB6_25823 Depth=3
	s_or_b64 exec, exec, s[28:29]
	v_lshrrev_b64 v[0:1], 21, v[0:1]
	v_cmp_gt_i32_e32 vcc, 32, v2
	v_cndmask_b32_e32 v1, 0, v1, vcc
	v_cndmask_b32_e32 v0, 3, v0, vcc
	v_cmp_ne_u64_e32 vcc, 0, v[0:1]
	v_cmp_ne_u32_e64 s[28:29], 0, v2
	s_or_b64 s[28:29], s[28:29], vcc
                                        ; implicit-def: $vgpr36
	s_and_saveexec_b64 s[62:63], s[28:29]
	s_xor_b64 s[28:29], exec, s[62:63]
; %bb.27279:                            ;   in Loop: Header=BB6_25823 Depth=3
	v_min_i32_e32 v1, 31, v2
	v_lshl_or_b32 v1, v1, 2, v5
	v_and_or_b32 v36, v0, 3, v1
                                        ; implicit-def: $vgpr5
; %bb.27280:                            ;   in Loop: Header=BB6_25823 Depth=3
	s_andn2_saveexec_b64 s[28:29], s[28:29]
; %bb.27281:                            ;   in Loop: Header=BB6_25823 Depth=3
	v_mov_b32_e32 v36, v5
; %bb.27282:                            ;   in Loop: Header=BB6_25823 Depth=3
	s_or_b64 exec, exec, s[28:29]
.LBB6_27283:                            ;   in Loop: Header=BB6_25823 Depth=3
	s_or_b64 exec, exec, s[38:39]
                                        ; implicit-def: $vgpr5
.LBB6_27284:                            ;   in Loop: Header=BB6_25823 Depth=3
	s_andn2_saveexec_b64 s[28:29], s[36:37]
; %bb.27285:                            ;   in Loop: Header=BB6_25823 Depth=3
	v_or_b32_e32 v36, 0x7b, v5
; %bb.27286:                            ;   in Loop: Header=BB6_25823 Depth=3
	s_or_b64 exec, exec, s[28:29]
                                        ; implicit-def: $vgpr2
                                        ; implicit-def: $vgpr0_vgpr1
.LBB6_27287:                            ;   in Loop: Header=BB6_25823 Depth=3
	s_andn2_saveexec_b64 s[28:29], s[34:35]
	s_cbranch_execz .LBB6_27293
; %bb.27288:                            ;   in Loop: Header=BB6_25823 Depth=3
	v_cmp_ne_u64_e32 vcc, 0, v[0:1]
                                        ; implicit-def: $vgpr36
	s_and_saveexec_b64 s[62:63], vcc
	s_xor_b64 vcc, exec, s[62:63]
; %bb.27289:                            ;   in Loop: Header=BB6_25823 Depth=3
	v_or_b32_sdwa v36, v2, s44 dst_sel:DWORD dst_unused:UNUSED_PAD src0_sel:BYTE_3 src1_sel:DWORD
                                        ; implicit-def: $vgpr2
; %bb.27290:                            ;   in Loop: Header=BB6_25823 Depth=3
	s_andn2_saveexec_b64 s[34:35], vcc
; %bb.27291:                            ;   in Loop: Header=BB6_25823 Depth=3
	v_cmp_lt_i32_e32 vcc, -1, v2
	v_mov_b32_e32 v0, 0x7c
	v_cndmask_b32_e32 v36, -4, v0, vcc
; %bb.27292:                            ;   in Loop: Header=BB6_25823 Depth=3
	s_or_b64 exec, exec, s[34:35]
.LBB6_27293:                            ;   in Loop: Header=BB6_25823 Depth=3
	s_or_b64 exec, exec, s[28:29]
	v_and_b32_e32 v5, 0xff, v57
	v_cmp_ne_u16_e32 vcc, 0, v5
	v_mov_b32_e32 v0, 0
	v_mov_b32_e32 v1, 0
	s_and_saveexec_b64 s[28:29], vcc
	s_cbranch_execz .LBB6_27301
; %bb.27294:                            ;   in Loop: Header=BB6_25823 Depth=3
	v_cmp_ne_u16_e32 vcc, s97, v5
	v_bfrev_b32_e32 v1, 1
	s_and_saveexec_b64 s[34:35], vcc
	s_cbranch_execz .LBB6_27300
; %bb.27295:                            ;   in Loop: Header=BB6_25823 Depth=3
	v_mov_b32_e32 v1, v57
	v_and_b32_e32 v2, 3, v1
	v_and_b32_e32 v1, 0x7c, v1
	v_cmp_ne_u32_e32 vcc, s86, v1
                                        ; implicit-def: $vgpr1
	s_and_saveexec_b64 s[62:63], vcc
	s_xor_b64 s[36:37], exec, s[62:63]
	s_cbranch_execz .LBB6_27297
; %bb.27296:                            ;   in Loop: Header=BB6_25823 Depth=3
	v_bfe_u32 v1, v5, 2, 5
	v_ffbh_u32_e32 v5, v2
	v_min_u32_e32 v5, 32, v5
	v_mov_b32_e32 v40, v57
	s_waitcnt vmcnt(0)
	v_mov_b32_e32 v41, v33
	v_subrev_u32_e32 v7, 29, v5
	v_lshlrev_b64 v[52:53], v7, v[40:41]
	v_sub_u32_e32 v5, 30, v5
	v_cmp_eq_u32_e32 vcc, 0, v1
	v_cndmask_b32_e32 v1, v1, v5, vcc
	v_lshlrev_b32_e32 v5, 24, v40
	v_and_b32_e32 v7, 3, v52
	v_and_b32_e32 v5, 0x80000000, v5
	v_cndmask_b32_e32 v2, v2, v7, vcc
	v_lshl_add_u32 v1, v1, 23, v5
	v_lshl_or_b32 v1, v2, 21, v1
	v_add_u32_e32 v1, 0x38000000, v1
                                        ; implicit-def: $vgpr2
                                        ; implicit-def: $vgpr57
.LBB6_27297:                            ;   in Loop: Header=BB6_25823 Depth=3
	s_andn2_saveexec_b64 s[36:37], s[36:37]
; %bb.27298:                            ;   in Loop: Header=BB6_25823 Depth=3
	v_mov_b32_e32 v1, -1
	v_cmp_gt_i16_sdwa vcc, sext(v57), v1 src0_sel:BYTE_0 src1_sel:DWORD
	v_mov_b32_e32 v1, 0xff800000
	v_mov_b32_e32 v5, 0x7f800000
	v_cndmask_b32_e32 v1, v1, v5, vcc
	v_cmp_eq_u32_e32 vcc, 0, v2
	v_mov_b32_e32 v2, 0x7f800001
	v_cndmask_b32_e32 v1, v2, v1, vcc
; %bb.27299:                            ;   in Loop: Header=BB6_25823 Depth=3
	s_or_b64 exec, exec, s[36:37]
.LBB6_27300:                            ;   in Loop: Header=BB6_25823 Depth=3
	s_or_b64 exec, exec, s[34:35]
.LBB6_27301:                            ;   in Loop: Header=BB6_25823 Depth=3
	s_or_b64 exec, exec, s[28:29]
	v_cmp_ne_u16_e32 vcc, 0, v56
	s_and_saveexec_b64 s[28:29], vcc
	s_cbranch_execz .LBB6_27309
; %bb.27302:                            ;   in Loop: Header=BB6_25823 Depth=3
	v_cmp_ne_u16_e32 vcc, s46, v56
	v_bfrev_b32_e32 v0, 1
	s_and_saveexec_b64 s[34:35], vcc
	s_cbranch_execz .LBB6_27308
; %bb.27303:                            ;   in Loop: Header=BB6_25823 Depth=3
	v_and_b32_e32 v0, 0x7c, v56
	v_and_b32_e32 v2, 3, v56
	v_cmp_ne_u32_e32 vcc, s86, v0
                                        ; implicit-def: $vgpr0
	s_and_saveexec_b64 s[62:63], vcc
	s_xor_b64 s[36:37], exec, s[62:63]
	s_cbranch_execz .LBB6_27305
; %bb.27304:                            ;   in Loop: Header=BB6_25823 Depth=3
	v_ffbh_u32_e32 v5, v2
	v_min_u32_e32 v5, 32, v5
	v_and_b32_e32 v0, 0xff, v56
	v_mov_b32_e32 v57, v33
	v_subrev_u32_e32 v7, 29, v5
	v_bfe_u32 v0, v0, 2, 5
	v_lshlrev_b64 v[52:53], v7, v[56:57]
	v_sub_u32_e32 v5, 30, v5
	v_cmp_eq_u32_e32 vcc, 0, v0
	v_and_b32_e32 v7, 3, v52
	v_cndmask_b32_e32 v0, v0, v5, vcc
	v_and_b32_sdwa v5, sext(v56), s87 dst_sel:DWORD dst_unused:UNUSED_PAD src0_sel:WORD_0 src1_sel:DWORD
	v_cndmask_b32_e32 v2, v2, v7, vcc
	v_lshl_add_u32 v0, v0, 23, v5
	v_lshl_or_b32 v0, v2, 21, v0
	v_add_u32_e32 v0, 0x38000000, v0
                                        ; implicit-def: $vgpr2
                                        ; implicit-def: $vgpr56
.LBB6_27305:                            ;   in Loop: Header=BB6_25823 Depth=3
	s_andn2_saveexec_b64 s[36:37], s[36:37]
; %bb.27306:                            ;   in Loop: Header=BB6_25823 Depth=3
	v_cmp_lt_i16_e32 vcc, -1, v56
	v_mov_b32_e32 v0, 0xff800000
	v_mov_b32_e32 v5, 0x7f800000
	v_cndmask_b32_e32 v0, v0, v5, vcc
	v_cmp_eq_u32_e32 vcc, 0, v2
	v_mov_b32_e32 v2, 0x7f800001
	v_cndmask_b32_e32 v0, v2, v0, vcc
; %bb.27307:                            ;   in Loop: Header=BB6_25823 Depth=3
	s_or_b64 exec, exec, s[36:37]
.LBB6_27308:                            ;   in Loop: Header=BB6_25823 Depth=3
	s_or_b64 exec, exec, s[34:35]
.LBB6_27309:                            ;   in Loop: Header=BB6_25823 Depth=3
	s_or_b64 exec, exec, s[28:29]
	v_add_f32_e32 v2, v1, v0
	v_and_b32_e32 v52, 0x7f800000, v2
	v_mov_b32_e32 v53, v33
	v_cmp_ne_u64_e32 vcc, s[76:77], v[52:53]
	v_and_b32_e32 v0, 0x7fffff, v2
	v_mov_b32_e32 v1, v33
                                        ; implicit-def: $vgpr52
	s_and_saveexec_b64 s[28:29], vcc
	s_xor_b64 s[34:35], exec, s[28:29]
	s_cbranch_execz .LBB6_27327
; %bb.27310:                            ;   in Loop: Header=BB6_25823 Depth=3
	v_and_b32_e32 v52, 0x7fffffff, v2
	v_mov_b32_e32 v53, v33
	v_cmp_gt_u64_e32 vcc, s[78:79], v[52:53]
	v_and_b32_sdwa v5, v2, s97 dst_sel:DWORD dst_unused:UNUSED_PAD src0_sel:BYTE_3 src1_sel:DWORD
                                        ; implicit-def: $vgpr52
	s_and_saveexec_b64 s[28:29], vcc
	s_xor_b64 s[36:37], exec, s[28:29]
	s_cbranch_execz .LBB6_27324
; %bb.27311:                            ;   in Loop: Header=BB6_25823 Depth=3
	v_cmp_ne_u32_e32 vcc, 0, v2
	v_mov_b32_e32 v52, 0
	s_and_saveexec_b64 s[38:39], vcc
	s_cbranch_execz .LBB6_27323
; %bb.27312:                            ;   in Loop: Header=BB6_25823 Depth=3
	v_bfe_u32 v7, v2, 23, 8
	v_cmp_gt_u32_e64 s[28:29], s47, v7
	v_sub_u32_e32 v2, 0x71, v7
	v_cmp_eq_u32_e32 vcc, 0, v7
	v_cndmask_b32_e64 v2, 0, v2, s[28:29]
	v_mov_b32_e32 v15, 0x70
	v_cndmask_b32_e32 v15, v2, v15, vcc
	v_add_u32_e32 v2, 21, v15
	v_or_b32_e32 v23, 0x800000, v0
	v_lshlrev_b64 v[52:53], v2, -1
	v_cndmask_b32_e32 v0, v23, v0, vcc
	v_add_u32_e32 v2, 20, v15
	v_bfi_b32 v52, v52, 0, v0
	s_waitcnt vmcnt(0)
	v_lshlrev_b64 v[40:41], v2, 1
	v_lshrrev_b64 v[0:1], v15, v[0:1]
	v_bfi_b32 v53, v53, 0, 0
	v_cmp_eq_u64_e64 s[28:29], v[52:53], v[40:41]
	v_mov_b32_e32 v2, v1
	v_mov_b32_e32 v1, v0
	s_and_saveexec_b64 s[48:49], s[28:29]
; %bb.27313:                            ;   in Loop: Header=BB6_25823 Depth=3
	v_bfe_u32 v1, v0, 21, 1
	v_add_co_u32_e64 v1, s[28:29], v0, v1
	v_add_co_u32_e64 v1, s[28:29], -1, v1
; %bb.27314:                            ;   in Loop: Header=BB6_25823 Depth=3
	s_or_b64 exec, exec, s[48:49]
	v_add_u32_e32 v2, 0xffffff81, v7
	v_mov_b32_e32 v7, 0xffffff82
	v_cndmask_b32_e32 v2, v2, v7, vcc
	v_lshrrev_b32_e32 v7, 23, v0
	v_add3_u32 v15, v15, v2, v7
	v_add_u32_e32 v7, 14, v15
	v_and_b32_e32 v1, 0x1fffff, v1
	v_add_u32_e32 v0, v1, v0
	v_mov_b32_e32 v1, v33
	v_cmp_ne_u32_e32 vcc, 0, v7
                                        ; implicit-def: $vgpr2
	s_and_saveexec_b64 s[28:29], vcc
	s_xor_b64 s[28:29], exec, s[28:29]
; %bb.27315:                            ;   in Loop: Header=BB6_25823 Depth=3
	v_cmp_lt_u64_e32 vcc, s[88:89], v[0:1]
	v_add_u32_e32 v2, 15, v15
	v_cndmask_b32_e32 v2, v7, v2, vcc
	v_cndmask_b32_e64 v7, 0, 1, vcc
	v_lshrrev_b64 v[0:1], v7, v[0:1]
; %bb.27316:                            ;   in Loop: Header=BB6_25823 Depth=3
	s_andn2_saveexec_b64 s[28:29], s[28:29]
; %bb.27317:                            ;   in Loop: Header=BB6_25823 Depth=3
	v_bfe_u32 v2, v0, 23, 1
; %bb.27318:                            ;   in Loop: Header=BB6_25823 Depth=3
	s_or_b64 exec, exec, s[28:29]
	v_lshrrev_b64 v[0:1], 21, v[0:1]
	v_cmp_gt_i32_e32 vcc, 32, v2
	v_cndmask_b32_e32 v1, 0, v1, vcc
	v_cndmask_b32_e32 v0, 3, v0, vcc
	v_cmp_ne_u64_e32 vcc, 0, v[0:1]
	v_cmp_ne_u32_e64 s[28:29], 0, v2
	s_or_b64 s[28:29], s[28:29], vcc
                                        ; implicit-def: $vgpr52
	s_and_saveexec_b64 s[62:63], s[28:29]
	s_xor_b64 s[28:29], exec, s[62:63]
; %bb.27319:                            ;   in Loop: Header=BB6_25823 Depth=3
	v_min_i32_e32 v1, 31, v2
	v_lshl_or_b32 v1, v1, 2, v5
	v_and_or_b32 v52, v0, 3, v1
                                        ; implicit-def: $vgpr5
; %bb.27320:                            ;   in Loop: Header=BB6_25823 Depth=3
	s_andn2_saveexec_b64 s[28:29], s[28:29]
; %bb.27321:                            ;   in Loop: Header=BB6_25823 Depth=3
	v_mov_b32_e32 v52, v5
; %bb.27322:                            ;   in Loop: Header=BB6_25823 Depth=3
	s_or_b64 exec, exec, s[28:29]
.LBB6_27323:                            ;   in Loop: Header=BB6_25823 Depth=3
	s_or_b64 exec, exec, s[38:39]
                                        ; implicit-def: $vgpr5
.LBB6_27324:                            ;   in Loop: Header=BB6_25823 Depth=3
	s_andn2_saveexec_b64 s[28:29], s[36:37]
; %bb.27325:                            ;   in Loop: Header=BB6_25823 Depth=3
	v_or_b32_e32 v52, 0x7b, v5
; %bb.27326:                            ;   in Loop: Header=BB6_25823 Depth=3
	s_or_b64 exec, exec, s[28:29]
                                        ; implicit-def: $vgpr2
                                        ; implicit-def: $vgpr0_vgpr1
.LBB6_27327:                            ;   in Loop: Header=BB6_25823 Depth=3
	s_andn2_saveexec_b64 s[28:29], s[34:35]
	s_cbranch_execz .LBB6_27333
; %bb.27328:                            ;   in Loop: Header=BB6_25823 Depth=3
	v_cmp_ne_u64_e32 vcc, 0, v[0:1]
                                        ; implicit-def: $vgpr52
	s_and_saveexec_b64 s[62:63], vcc
	s_xor_b64 vcc, exec, s[62:63]
; %bb.27329:                            ;   in Loop: Header=BB6_25823 Depth=3
	v_or_b32_sdwa v52, v2, s44 dst_sel:DWORD dst_unused:UNUSED_PAD src0_sel:BYTE_3 src1_sel:DWORD
                                        ; implicit-def: $vgpr2
; %bb.27330:                            ;   in Loop: Header=BB6_25823 Depth=3
	s_andn2_saveexec_b64 s[34:35], vcc
; %bb.27331:                            ;   in Loop: Header=BB6_25823 Depth=3
	v_cmp_lt_i32_e32 vcc, -1, v2
	v_mov_b32_e32 v0, 0x7c
	v_cndmask_b32_e32 v52, -4, v0, vcc
; %bb.27332:                            ;   in Loop: Header=BB6_25823 Depth=3
	s_or_b64 exec, exec, s[34:35]
.LBB6_27333:                            ;   in Loop: Header=BB6_25823 Depth=3
	s_or_b64 exec, exec, s[28:29]
	v_and_b32_e32 v5, 0xff, v46
	v_cmp_ne_u16_e32 vcc, 0, v5
	v_mov_b32_e32 v0, 0
	v_mov_b32_e32 v1, 0
	s_and_saveexec_b64 s[28:29], vcc
	s_cbranch_execz .LBB6_27341
; %bb.27334:                            ;   in Loop: Header=BB6_25823 Depth=3
	v_cmp_ne_u16_e32 vcc, s97, v5
	v_bfrev_b32_e32 v1, 1
	s_and_saveexec_b64 s[34:35], vcc
	s_cbranch_execz .LBB6_27340
; %bb.27335:                            ;   in Loop: Header=BB6_25823 Depth=3
	v_mov_b32_e32 v1, v46
	v_and_b32_e32 v2, 3, v1
	v_and_b32_e32 v1, 0x7c, v1
	v_cmp_ne_u32_e32 vcc, s86, v1
                                        ; implicit-def: $vgpr1
	s_and_saveexec_b64 s[62:63], vcc
	s_xor_b64 s[36:37], exec, s[62:63]
	s_cbranch_execz .LBB6_27337
; %bb.27336:                            ;   in Loop: Header=BB6_25823 Depth=3
	v_bfe_u32 v1, v5, 2, 5
	v_ffbh_u32_e32 v5, v2
	v_min_u32_e32 v5, 32, v5
	v_mov_b32_e32 v42, v46
	v_mov_b32_e32 v43, v33
	v_subrev_u32_e32 v7, 29, v5
	s_waitcnt vmcnt(0)
	v_lshlrev_b64 v[40:41], v7, v[42:43]
	v_sub_u32_e32 v5, 30, v5
	v_cmp_eq_u32_e32 vcc, 0, v1
	v_cndmask_b32_e32 v1, v1, v5, vcc
	v_lshlrev_b32_e32 v5, 24, v42
	v_and_b32_e32 v7, 3, v40
	v_and_b32_e32 v5, 0x80000000, v5
	v_cndmask_b32_e32 v2, v2, v7, vcc
	v_lshl_add_u32 v1, v1, 23, v5
	v_lshl_or_b32 v1, v2, 21, v1
	v_add_u32_e32 v1, 0x38000000, v1
                                        ; implicit-def: $vgpr2
                                        ; implicit-def: $vgpr46
.LBB6_27337:                            ;   in Loop: Header=BB6_25823 Depth=3
	s_andn2_saveexec_b64 s[36:37], s[36:37]
; %bb.27338:                            ;   in Loop: Header=BB6_25823 Depth=3
	v_mov_b32_e32 v1, -1
	v_cmp_gt_i16_sdwa vcc, sext(v46), v1 src0_sel:BYTE_0 src1_sel:DWORD
	v_mov_b32_e32 v1, 0xff800000
	v_mov_b32_e32 v5, 0x7f800000
	v_cndmask_b32_e32 v1, v1, v5, vcc
	v_cmp_eq_u32_e32 vcc, 0, v2
	v_mov_b32_e32 v2, 0x7f800001
	v_cndmask_b32_e32 v1, v2, v1, vcc
; %bb.27339:                            ;   in Loop: Header=BB6_25823 Depth=3
	s_or_b64 exec, exec, s[36:37]
.LBB6_27340:                            ;   in Loop: Header=BB6_25823 Depth=3
	s_or_b64 exec, exec, s[34:35]
.LBB6_27341:                            ;   in Loop: Header=BB6_25823 Depth=3
	s_or_b64 exec, exec, s[28:29]
	v_cmp_ne_u16_e32 vcc, 0, v45
	s_and_saveexec_b64 s[28:29], vcc
	s_cbranch_execz .LBB6_27349
; %bb.27342:                            ;   in Loop: Header=BB6_25823 Depth=3
	v_cmp_ne_u16_e32 vcc, s46, v45
	v_bfrev_b32_e32 v0, 1
	s_and_saveexec_b64 s[34:35], vcc
	s_cbranch_execz .LBB6_27348
; %bb.27343:                            ;   in Loop: Header=BB6_25823 Depth=3
	v_and_b32_e32 v0, 0x7c, v45
	v_and_b32_e32 v2, 3, v45
	v_cmp_ne_u32_e32 vcc, s86, v0
                                        ; implicit-def: $vgpr0
	s_and_saveexec_b64 s[62:63], vcc
	s_xor_b64 s[36:37], exec, s[62:63]
	s_cbranch_execz .LBB6_27345
; %bb.27344:                            ;   in Loop: Header=BB6_25823 Depth=3
	v_ffbh_u32_e32 v5, v2
	v_min_u32_e32 v5, 32, v5
	v_and_b32_e32 v0, 0xff, v45
	v_mov_b32_e32 v46, v33
	v_subrev_u32_e32 v7, 29, v5
	v_bfe_u32 v0, v0, 2, 5
	s_waitcnt vmcnt(0)
	v_lshlrev_b64 v[40:41], v7, v[45:46]
	v_sub_u32_e32 v5, 30, v5
	v_cmp_eq_u32_e32 vcc, 0, v0
	v_and_b32_e32 v7, 3, v40
	v_cndmask_b32_e32 v0, v0, v5, vcc
	v_and_b32_sdwa v5, sext(v45), s87 dst_sel:DWORD dst_unused:UNUSED_PAD src0_sel:WORD_0 src1_sel:DWORD
	v_cndmask_b32_e32 v2, v2, v7, vcc
	v_lshl_add_u32 v0, v0, 23, v5
	v_lshl_or_b32 v0, v2, 21, v0
	v_add_u32_e32 v0, 0x38000000, v0
                                        ; implicit-def: $vgpr2
                                        ; implicit-def: $vgpr45
.LBB6_27345:                            ;   in Loop: Header=BB6_25823 Depth=3
	s_andn2_saveexec_b64 s[36:37], s[36:37]
; %bb.27346:                            ;   in Loop: Header=BB6_25823 Depth=3
	v_cmp_lt_i16_e32 vcc, -1, v45
	v_mov_b32_e32 v0, 0xff800000
	v_mov_b32_e32 v5, 0x7f800000
	v_cndmask_b32_e32 v0, v0, v5, vcc
	v_cmp_eq_u32_e32 vcc, 0, v2
	v_mov_b32_e32 v2, 0x7f800001
	v_cndmask_b32_e32 v0, v2, v0, vcc
; %bb.27347:                            ;   in Loop: Header=BB6_25823 Depth=3
	s_or_b64 exec, exec, s[36:37]
.LBB6_27348:                            ;   in Loop: Header=BB6_25823 Depth=3
	s_or_b64 exec, exec, s[34:35]
.LBB6_27349:                            ;   in Loop: Header=BB6_25823 Depth=3
	s_or_b64 exec, exec, s[28:29]
	v_add_f32_e32 v2, v1, v0
	v_and_b32_e32 v40, 0x7f800000, v2
	s_waitcnt vmcnt(0)
	v_mov_b32_e32 v41, v33
	v_cmp_ne_u64_e32 vcc, s[76:77], v[40:41]
	v_and_b32_e32 v0, 0x7fffff, v2
	v_mov_b32_e32 v1, v33
                                        ; implicit-def: $vgpr53
	s_and_saveexec_b64 s[28:29], vcc
	s_xor_b64 s[34:35], exec, s[28:29]
	s_cbranch_execz .LBB6_27367
; %bb.27350:                            ;   in Loop: Header=BB6_25823 Depth=3
	v_and_b32_e32 v40, 0x7fffffff, v2
	v_mov_b32_e32 v41, v33
	v_cmp_gt_u64_e32 vcc, s[78:79], v[40:41]
	v_and_b32_sdwa v5, v2, s97 dst_sel:DWORD dst_unused:UNUSED_PAD src0_sel:BYTE_3 src1_sel:DWORD
                                        ; implicit-def: $vgpr53
	s_and_saveexec_b64 s[28:29], vcc
	s_xor_b64 s[36:37], exec, s[28:29]
	s_cbranch_execz .LBB6_27364
; %bb.27351:                            ;   in Loop: Header=BB6_25823 Depth=3
	v_cmp_ne_u32_e32 vcc, 0, v2
	v_mov_b32_e32 v53, 0
	s_and_saveexec_b64 s[38:39], vcc
	s_cbranch_execz .LBB6_27363
; %bb.27352:                            ;   in Loop: Header=BB6_25823 Depth=3
	v_bfe_u32 v7, v2, 23, 8
	v_cmp_gt_u32_e64 s[28:29], s47, v7
	v_sub_u32_e32 v2, 0x71, v7
	v_cmp_eq_u32_e32 vcc, 0, v7
	v_cndmask_b32_e64 v2, 0, v2, s[28:29]
	v_mov_b32_e32 v15, 0x70
	v_cndmask_b32_e32 v15, v2, v15, vcc
	v_add_u32_e32 v2, 21, v15
	v_or_b32_e32 v23, 0x800000, v0
	v_lshlrev_b64 v[40:41], v2, -1
	v_cndmask_b32_e32 v0, v23, v0, vcc
	v_add_u32_e32 v2, 20, v15
	v_bfi_b32 v40, v40, 0, v0
	v_lshlrev_b64 v[42:43], v2, 1
	v_lshrrev_b64 v[0:1], v15, v[0:1]
	v_bfi_b32 v41, v41, 0, 0
	v_cmp_eq_u64_e64 s[28:29], v[40:41], v[42:43]
	v_mov_b32_e32 v2, v1
	v_mov_b32_e32 v1, v0
	s_and_saveexec_b64 s[48:49], s[28:29]
; %bb.27353:                            ;   in Loop: Header=BB6_25823 Depth=3
	v_bfe_u32 v1, v0, 21, 1
	v_add_co_u32_e64 v1, s[28:29], v0, v1
	v_add_co_u32_e64 v1, s[28:29], -1, v1
; %bb.27354:                            ;   in Loop: Header=BB6_25823 Depth=3
	s_or_b64 exec, exec, s[48:49]
	v_add_u32_e32 v2, 0xffffff81, v7
	v_mov_b32_e32 v7, 0xffffff82
	v_cndmask_b32_e32 v2, v2, v7, vcc
	v_lshrrev_b32_e32 v7, 23, v0
	v_add3_u32 v15, v15, v2, v7
	v_add_u32_e32 v7, 14, v15
	v_and_b32_e32 v1, 0x1fffff, v1
	v_add_u32_e32 v0, v1, v0
	v_mov_b32_e32 v1, v33
	v_cmp_ne_u32_e32 vcc, 0, v7
                                        ; implicit-def: $vgpr2
	s_and_saveexec_b64 s[28:29], vcc
	s_xor_b64 s[28:29], exec, s[28:29]
; %bb.27355:                            ;   in Loop: Header=BB6_25823 Depth=3
	v_cmp_lt_u64_e32 vcc, s[88:89], v[0:1]
	v_add_u32_e32 v2, 15, v15
	v_cndmask_b32_e32 v2, v7, v2, vcc
	v_cndmask_b32_e64 v7, 0, 1, vcc
	v_lshrrev_b64 v[0:1], v7, v[0:1]
; %bb.27356:                            ;   in Loop: Header=BB6_25823 Depth=3
	s_andn2_saveexec_b64 s[28:29], s[28:29]
; %bb.27357:                            ;   in Loop: Header=BB6_25823 Depth=3
	v_bfe_u32 v2, v0, 23, 1
; %bb.27358:                            ;   in Loop: Header=BB6_25823 Depth=3
	s_or_b64 exec, exec, s[28:29]
	v_lshrrev_b64 v[0:1], 21, v[0:1]
	v_cmp_gt_i32_e32 vcc, 32, v2
	v_cndmask_b32_e32 v1, 0, v1, vcc
	v_cndmask_b32_e32 v0, 3, v0, vcc
	v_cmp_ne_u64_e32 vcc, 0, v[0:1]
	v_cmp_ne_u32_e64 s[28:29], 0, v2
	s_or_b64 s[28:29], s[28:29], vcc
                                        ; implicit-def: $vgpr53
	s_and_saveexec_b64 s[62:63], s[28:29]
	s_xor_b64 s[28:29], exec, s[62:63]
; %bb.27359:                            ;   in Loop: Header=BB6_25823 Depth=3
	v_min_i32_e32 v1, 31, v2
	v_lshl_or_b32 v1, v1, 2, v5
	v_and_or_b32 v53, v0, 3, v1
                                        ; implicit-def: $vgpr5
; %bb.27360:                            ;   in Loop: Header=BB6_25823 Depth=3
	s_andn2_saveexec_b64 s[28:29], s[28:29]
; %bb.27361:                            ;   in Loop: Header=BB6_25823 Depth=3
	v_mov_b32_e32 v53, v5
; %bb.27362:                            ;   in Loop: Header=BB6_25823 Depth=3
	s_or_b64 exec, exec, s[28:29]
.LBB6_27363:                            ;   in Loop: Header=BB6_25823 Depth=3
	s_or_b64 exec, exec, s[38:39]
                                        ; implicit-def: $vgpr5
.LBB6_27364:                            ;   in Loop: Header=BB6_25823 Depth=3
	s_andn2_saveexec_b64 s[28:29], s[36:37]
; %bb.27365:                            ;   in Loop: Header=BB6_25823 Depth=3
	v_or_b32_e32 v53, 0x7b, v5
; %bb.27366:                            ;   in Loop: Header=BB6_25823 Depth=3
	s_or_b64 exec, exec, s[28:29]
                                        ; implicit-def: $vgpr2
                                        ; implicit-def: $vgpr0_vgpr1
.LBB6_27367:                            ;   in Loop: Header=BB6_25823 Depth=3
	s_andn2_saveexec_b64 s[28:29], s[34:35]
	s_cbranch_execz .LBB6_27373
; %bb.27368:                            ;   in Loop: Header=BB6_25823 Depth=3
	v_cmp_ne_u64_e32 vcc, 0, v[0:1]
                                        ; implicit-def: $vgpr53
	s_and_saveexec_b64 s[62:63], vcc
	s_xor_b64 vcc, exec, s[62:63]
; %bb.27369:                            ;   in Loop: Header=BB6_25823 Depth=3
	v_or_b32_sdwa v53, v2, s44 dst_sel:DWORD dst_unused:UNUSED_PAD src0_sel:BYTE_3 src1_sel:DWORD
                                        ; implicit-def: $vgpr2
; %bb.27370:                            ;   in Loop: Header=BB6_25823 Depth=3
	s_andn2_saveexec_b64 s[34:35], vcc
; %bb.27371:                            ;   in Loop: Header=BB6_25823 Depth=3
	v_cmp_lt_i32_e32 vcc, -1, v2
	v_mov_b32_e32 v0, 0x7c
	v_cndmask_b32_e32 v53, -4, v0, vcc
; %bb.27372:                            ;   in Loop: Header=BB6_25823 Depth=3
	s_or_b64 exec, exec, s[34:35]
.LBB6_27373:                            ;   in Loop: Header=BB6_25823 Depth=3
	s_or_b64 exec, exec, s[28:29]
	buffer_load_dword v0, off, s[0:3], s33 offset:228 ; 4-byte Folded Reload
	buffer_load_dword v1, off, s[0:3], s33 offset:232 ; 4-byte Folded Reload
	s_waitcnt vmcnt(0)
	v_mov_b32_e32 v1, 0
	v_and_b32_e32 v5, 0xff, v0
	v_cmp_ne_u16_e32 vcc, 0, v5
	v_mov_b32_e32 v0, 0
	s_and_saveexec_b64 s[28:29], vcc
	s_cbranch_execz .LBB6_27381
; %bb.27374:                            ;   in Loop: Header=BB6_25823 Depth=3
	v_cmp_ne_u16_e32 vcc, s97, v5
	v_bfrev_b32_e32 v1, 1
	s_and_saveexec_b64 s[34:35], vcc
	s_cbranch_execz .LBB6_27380
; %bb.27375:                            ;   in Loop: Header=BB6_25823 Depth=3
	buffer_load_dword v1, off, s[0:3], s33 offset:228 ; 4-byte Folded Reload
	buffer_load_dword v2, off, s[0:3], s33 offset:232 ; 4-byte Folded Reload
	s_waitcnt vmcnt(0)
	v_and_b32_e32 v2, 3, v1
	v_and_b32_e32 v1, 0x7c, v1
	v_cmp_ne_u32_e32 vcc, s86, v1
                                        ; implicit-def: $vgpr1
	s_and_saveexec_b64 s[62:63], vcc
	s_xor_b64 s[36:37], exec, s[62:63]
	s_cbranch_execz .LBB6_27377
; %bb.27376:                            ;   in Loop: Header=BB6_25823 Depth=3
	buffer_load_dword v42, off, s[0:3], s33 offset:228 ; 4-byte Folded Reload
	buffer_load_dword v43, off, s[0:3], s33 offset:232 ; 4-byte Folded Reload
	v_bfe_u32 v1, v5, 2, 5
	v_ffbh_u32_e32 v5, v2
	v_min_u32_e32 v5, 32, v5
	s_waitcnt vmcnt(0)
	v_mov_b32_e32 v43, v33
	v_subrev_u32_e32 v7, 29, v5
	v_sub_u32_e32 v5, 30, v5
	v_cmp_eq_u32_e32 vcc, 0, v1
	v_cndmask_b32_e32 v1, v1, v5, vcc
	v_lshlrev_b32_e32 v5, 24, v42
	v_lshlrev_b64 v[40:41], v7, v[42:43]
	v_and_b32_e32 v5, 0x80000000, v5
	v_and_b32_e32 v7, 3, v40
	v_cndmask_b32_e32 v2, v2, v7, vcc
	v_lshl_add_u32 v1, v1, 23, v5
	v_lshl_or_b32 v1, v2, 21, v1
	v_add_u32_e32 v1, 0x38000000, v1
                                        ; implicit-def: $vgpr5
                                        ; implicit-def: $vgpr2
	buffer_store_dword v5, off, s[0:3], s33 offset:228 ; 4-byte Folded Spill
	s_nop 0
	buffer_store_dword v6, off, s[0:3], s33 offset:232 ; 4-byte Folded Spill
.LBB6_27377:                            ;   in Loop: Header=BB6_25823 Depth=3
	s_andn2_saveexec_b64 s[36:37], s[36:37]
	s_cbranch_execz .LBB6_27379
; %bb.27378:                            ;   in Loop: Header=BB6_25823 Depth=3
	buffer_load_dword v40, off, s[0:3], s33 offset:228 ; 4-byte Folded Reload
	buffer_load_dword v41, off, s[0:3], s33 offset:232 ; 4-byte Folded Reload
	v_mov_b32_e32 v1, -1
	v_mov_b32_e32 v5, 0x7f800000
	s_waitcnt vmcnt(1)
	v_cmp_gt_i16_sdwa vcc, sext(v40), v1 src0_sel:BYTE_0 src1_sel:DWORD
	v_mov_b32_e32 v1, 0xff800000
	v_cndmask_b32_e32 v1, v1, v5, vcc
	v_cmp_eq_u32_e32 vcc, 0, v2
	v_mov_b32_e32 v2, 0x7f800001
	v_cndmask_b32_e32 v1, v2, v1, vcc
.LBB6_27379:                            ;   in Loop: Header=BB6_25823 Depth=3
	s_or_b64 exec, exec, s[36:37]
.LBB6_27380:                            ;   in Loop: Header=BB6_25823 Depth=3
	s_or_b64 exec, exec, s[34:35]
.LBB6_27381:                            ;   in Loop: Header=BB6_25823 Depth=3
	s_or_b64 exec, exec, s[28:29]
	v_cmp_ne_u16_e32 vcc, 0, v4
	s_and_saveexec_b64 s[28:29], vcc
	s_cbranch_execz .LBB6_27389
; %bb.27382:                            ;   in Loop: Header=BB6_25823 Depth=3
	v_cmp_ne_u16_e32 vcc, s46, v4
	v_bfrev_b32_e32 v0, 1
	s_and_saveexec_b64 s[34:35], vcc
	s_cbranch_execz .LBB6_27388
; %bb.27383:                            ;   in Loop: Header=BB6_25823 Depth=3
	v_and_b32_e32 v0, 0x7c, v4
	v_and_b32_e32 v2, 3, v4
	v_cmp_ne_u32_e32 vcc, s86, v0
                                        ; implicit-def: $vgpr0
	s_and_saveexec_b64 s[62:63], vcc
	s_xor_b64 s[36:37], exec, s[62:63]
	s_cbranch_execz .LBB6_27385
; %bb.27384:                            ;   in Loop: Header=BB6_25823 Depth=3
	v_ffbh_u32_e32 v7, v2
	v_min_u32_e32 v7, 32, v7
	v_and_b32_e32 v0, 0xff, v4
	v_mov_b32_e32 v5, v33
	v_subrev_u32_e32 v15, 29, v7
	v_bfe_u32 v0, v0, 2, 5
	s_waitcnt vmcnt(0)
	v_lshlrev_b64 v[40:41], v15, v[4:5]
	v_sub_u32_e32 v5, 30, v7
	v_cmp_eq_u32_e32 vcc, 0, v0
	v_and_b32_e32 v7, 3, v40
	v_cndmask_b32_e32 v0, v0, v5, vcc
	v_and_b32_sdwa v4, sext(v4), s87 dst_sel:DWORD dst_unused:UNUSED_PAD src0_sel:WORD_0 src1_sel:DWORD
	v_cndmask_b32_e32 v2, v2, v7, vcc
	v_lshl_add_u32 v0, v0, 23, v4
	v_lshl_or_b32 v0, v2, 21, v0
	v_add_u32_e32 v0, 0x38000000, v0
                                        ; implicit-def: $vgpr2
                                        ; implicit-def: $vgpr4
.LBB6_27385:                            ;   in Loop: Header=BB6_25823 Depth=3
	s_andn2_saveexec_b64 s[36:37], s[36:37]
; %bb.27386:                            ;   in Loop: Header=BB6_25823 Depth=3
	v_cmp_lt_i16_e32 vcc, -1, v4
	v_mov_b32_e32 v0, 0xff800000
	v_mov_b32_e32 v4, 0x7f800000
	v_cndmask_b32_e32 v0, v0, v4, vcc
	v_cmp_eq_u32_e32 vcc, 0, v2
	v_mov_b32_e32 v2, 0x7f800001
	v_cndmask_b32_e32 v0, v2, v0, vcc
; %bb.27387:                            ;   in Loop: Header=BB6_25823 Depth=3
	s_or_b64 exec, exec, s[36:37]
.LBB6_27388:                            ;   in Loop: Header=BB6_25823 Depth=3
	s_or_b64 exec, exec, s[34:35]
.LBB6_27389:                            ;   in Loop: Header=BB6_25823 Depth=3
	s_or_b64 exec, exec, s[28:29]
	v_add_f32_e32 v2, v1, v0
	v_and_b32_e32 v4, 0x7f800000, v2
	v_mov_b32_e32 v5, v33
	v_cmp_ne_u64_e32 vcc, s[76:77], v[4:5]
	v_and_b32_e32 v0, 0x7fffff, v2
	v_mov_b32_e32 v1, v33
                                        ; implicit-def: $vgpr5
	s_and_saveexec_b64 s[28:29], vcc
	s_xor_b64 s[34:35], exec, s[28:29]
	s_cbranch_execz .LBB6_27407
; %bb.27390:                            ;   in Loop: Header=BB6_25823 Depth=3
	v_and_b32_e32 v4, 0x7fffffff, v2
	v_mov_b32_e32 v5, v33
	v_cmp_gt_u64_e32 vcc, s[78:79], v[4:5]
	v_and_b32_sdwa v4, v2, s97 dst_sel:DWORD dst_unused:UNUSED_PAD src0_sel:BYTE_3 src1_sel:DWORD
                                        ; implicit-def: $vgpr5
	s_and_saveexec_b64 s[28:29], vcc
	s_xor_b64 s[36:37], exec, s[28:29]
	s_cbranch_execz .LBB6_27404
; %bb.27391:                            ;   in Loop: Header=BB6_25823 Depth=3
	v_cmp_ne_u32_e32 vcc, 0, v2
	v_mov_b32_e32 v5, 0
	s_and_saveexec_b64 s[38:39], vcc
	s_cbranch_execz .LBB6_27403
; %bb.27392:                            ;   in Loop: Header=BB6_25823 Depth=3
	v_bfe_u32 v5, v2, 23, 8
	v_cmp_gt_u32_e64 s[28:29], s47, v5
	v_sub_u32_e32 v2, 0x71, v5
	v_cmp_eq_u32_e32 vcc, 0, v5
	v_cndmask_b32_e64 v2, 0, v2, s[28:29]
	v_mov_b32_e32 v7, 0x70
	v_cndmask_b32_e32 v7, v2, v7, vcc
	v_add_u32_e32 v2, 21, v7
	v_or_b32_e32 v15, 0x800000, v0
	s_waitcnt vmcnt(0)
	v_lshlrev_b64 v[40:41], v2, -1
	v_cndmask_b32_e32 v0, v15, v0, vcc
	v_add_u32_e32 v2, 20, v7
	v_bfi_b32 v40, v40, 0, v0
	v_lshlrev_b64 v[42:43], v2, 1
	v_lshrrev_b64 v[0:1], v7, v[0:1]
	v_bfi_b32 v41, v41, 0, 0
	v_cmp_eq_u64_e64 s[28:29], v[40:41], v[42:43]
	v_mov_b32_e32 v2, v1
	v_mov_b32_e32 v1, v0
	s_and_saveexec_b64 s[48:49], s[28:29]
; %bb.27393:                            ;   in Loop: Header=BB6_25823 Depth=3
	v_bfe_u32 v1, v0, 21, 1
	v_add_co_u32_e64 v1, s[28:29], v0, v1
	v_add_co_u32_e64 v1, s[28:29], -1, v1
; %bb.27394:                            ;   in Loop: Header=BB6_25823 Depth=3
	s_or_b64 exec, exec, s[48:49]
	v_add_u32_e32 v2, 0xffffff81, v5
	v_mov_b32_e32 v5, 0xffffff82
	v_cndmask_b32_e32 v2, v2, v5, vcc
	v_lshrrev_b32_e32 v5, 23, v0
	v_add3_u32 v7, v7, v2, v5
	v_add_u32_e32 v5, 14, v7
	v_and_b32_e32 v1, 0x1fffff, v1
	v_add_u32_e32 v0, v1, v0
	v_mov_b32_e32 v1, v33
	v_cmp_ne_u32_e32 vcc, 0, v5
                                        ; implicit-def: $vgpr2
	s_and_saveexec_b64 s[28:29], vcc
	s_xor_b64 s[28:29], exec, s[28:29]
; %bb.27395:                            ;   in Loop: Header=BB6_25823 Depth=3
	v_cmp_lt_u64_e32 vcc, s[88:89], v[0:1]
	v_add_u32_e32 v2, 15, v7
	v_cndmask_b32_e32 v2, v5, v2, vcc
	v_cndmask_b32_e64 v5, 0, 1, vcc
	v_lshrrev_b64 v[0:1], v5, v[0:1]
; %bb.27396:                            ;   in Loop: Header=BB6_25823 Depth=3
	s_andn2_saveexec_b64 s[28:29], s[28:29]
; %bb.27397:                            ;   in Loop: Header=BB6_25823 Depth=3
	v_bfe_u32 v2, v0, 23, 1
; %bb.27398:                            ;   in Loop: Header=BB6_25823 Depth=3
	s_or_b64 exec, exec, s[28:29]
	v_lshrrev_b64 v[0:1], 21, v[0:1]
	v_cmp_gt_i32_e32 vcc, 32, v2
	v_cndmask_b32_e32 v1, 0, v1, vcc
	v_cndmask_b32_e32 v0, 3, v0, vcc
	v_cmp_ne_u64_e32 vcc, 0, v[0:1]
	v_cmp_ne_u32_e64 s[28:29], 0, v2
	s_or_b64 s[28:29], s[28:29], vcc
                                        ; implicit-def: $vgpr5
	s_and_saveexec_b64 s[62:63], s[28:29]
	s_xor_b64 s[28:29], exec, s[62:63]
; %bb.27399:                            ;   in Loop: Header=BB6_25823 Depth=3
	v_min_i32_e32 v1, 31, v2
	v_lshl_or_b32 v1, v1, 2, v4
	v_and_or_b32 v5, v0, 3, v1
                                        ; implicit-def: $vgpr4
; %bb.27400:                            ;   in Loop: Header=BB6_25823 Depth=3
	s_andn2_saveexec_b64 s[28:29], s[28:29]
; %bb.27401:                            ;   in Loop: Header=BB6_25823 Depth=3
	v_mov_b32_e32 v5, v4
; %bb.27402:                            ;   in Loop: Header=BB6_25823 Depth=3
	s_or_b64 exec, exec, s[28:29]
.LBB6_27403:                            ;   in Loop: Header=BB6_25823 Depth=3
	s_or_b64 exec, exec, s[38:39]
                                        ; implicit-def: $vgpr4
.LBB6_27404:                            ;   in Loop: Header=BB6_25823 Depth=3
	s_andn2_saveexec_b64 s[28:29], s[36:37]
; %bb.27405:                            ;   in Loop: Header=BB6_25823 Depth=3
	v_or_b32_e32 v5, 0x7b, v4
; %bb.27406:                            ;   in Loop: Header=BB6_25823 Depth=3
	s_or_b64 exec, exec, s[28:29]
                                        ; implicit-def: $vgpr2
                                        ; implicit-def: $vgpr0_vgpr1
.LBB6_27407:                            ;   in Loop: Header=BB6_25823 Depth=3
	s_andn2_saveexec_b64 s[28:29], s[34:35]
	s_cbranch_execz .LBB6_27413
; %bb.27408:                            ;   in Loop: Header=BB6_25823 Depth=3
	v_cmp_ne_u64_e32 vcc, 0, v[0:1]
                                        ; implicit-def: $vgpr5
	s_and_saveexec_b64 s[62:63], vcc
	s_xor_b64 vcc, exec, s[62:63]
; %bb.27409:                            ;   in Loop: Header=BB6_25823 Depth=3
	v_or_b32_sdwa v5, v2, s44 dst_sel:DWORD dst_unused:UNUSED_PAD src0_sel:BYTE_3 src1_sel:DWORD
                                        ; implicit-def: $vgpr2
; %bb.27410:                            ;   in Loop: Header=BB6_25823 Depth=3
	s_andn2_saveexec_b64 s[34:35], vcc
; %bb.27411:                            ;   in Loop: Header=BB6_25823 Depth=3
	v_cmp_lt_i32_e32 vcc, -1, v2
	v_mov_b32_e32 v0, 0x7c
	v_cndmask_b32_e32 v5, -4, v0, vcc
; %bb.27412:                            ;   in Loop: Header=BB6_25823 Depth=3
	s_or_b64 exec, exec, s[34:35]
.LBB6_27413:                            ;   in Loop: Header=BB6_25823 Depth=3
	s_or_b64 exec, exec, s[28:29]
	buffer_load_dword v0, off, s[0:3], s33 offset:220 ; 4-byte Folded Reload
	buffer_load_dword v1, off, s[0:3], s33 offset:224 ; 4-byte Folded Reload
	s_waitcnt vmcnt(0)
	v_mov_b32_e32 v1, 0
	v_and_b32_e32 v4, 0xff, v0
	v_cmp_ne_u16_e32 vcc, 0, v4
	v_mov_b32_e32 v0, 0
	s_and_saveexec_b64 s[28:29], vcc
	s_cbranch_execz .LBB6_27421
; %bb.27414:                            ;   in Loop: Header=BB6_25823 Depth=3
	v_cmp_ne_u16_e32 vcc, s97, v4
	v_bfrev_b32_e32 v1, 1
	s_and_saveexec_b64 s[34:35], vcc
	s_cbranch_execz .LBB6_27420
; %bb.27415:                            ;   in Loop: Header=BB6_25823 Depth=3
	buffer_load_dword v1, off, s[0:3], s33 offset:220 ; 4-byte Folded Reload
	buffer_load_dword v2, off, s[0:3], s33 offset:224 ; 4-byte Folded Reload
	s_waitcnt vmcnt(0)
	v_and_b32_e32 v2, 3, v1
	v_and_b32_e32 v1, 0x7c, v1
	v_cmp_ne_u32_e32 vcc, s86, v1
                                        ; implicit-def: $vgpr1
	s_and_saveexec_b64 s[62:63], vcc
	s_xor_b64 s[36:37], exec, s[62:63]
	s_cbranch_execz .LBB6_27417
; %bb.27416:                            ;   in Loop: Header=BB6_25823 Depth=3
	buffer_load_dword v42, off, s[0:3], s33 offset:220 ; 4-byte Folded Reload
	buffer_load_dword v43, off, s[0:3], s33 offset:224 ; 4-byte Folded Reload
	v_bfe_u32 v1, v4, 2, 5
	v_ffbh_u32_e32 v4, v2
	v_min_u32_e32 v4, 32, v4
	s_waitcnt vmcnt(0)
	v_mov_b32_e32 v43, v33
	v_subrev_u32_e32 v7, 29, v4
	v_sub_u32_e32 v4, 30, v4
	v_cmp_eq_u32_e32 vcc, 0, v1
	v_cndmask_b32_e32 v1, v1, v4, vcc
	v_lshlrev_b32_e32 v4, 24, v42
	v_lshlrev_b64 v[40:41], v7, v[42:43]
	v_and_b32_e32 v4, 0x80000000, v4
	v_and_b32_e32 v7, 3, v40
	v_cndmask_b32_e32 v2, v2, v7, vcc
	v_lshl_add_u32 v1, v1, 23, v4
	v_lshl_or_b32 v1, v2, 21, v1
	v_add_u32_e32 v1, 0x38000000, v1
                                        ; implicit-def: $vgpr4
                                        ; implicit-def: $vgpr2
	buffer_store_dword v4, off, s[0:3], s33 offset:220 ; 4-byte Folded Spill
	s_nop 0
	buffer_store_dword v5, off, s[0:3], s33 offset:224 ; 4-byte Folded Spill
.LBB6_27417:                            ;   in Loop: Header=BB6_25823 Depth=3
	s_andn2_saveexec_b64 s[36:37], s[36:37]
	s_cbranch_execz .LBB6_27419
; %bb.27418:                            ;   in Loop: Header=BB6_25823 Depth=3
	buffer_load_dword v40, off, s[0:3], s33 offset:220 ; 4-byte Folded Reload
	buffer_load_dword v41, off, s[0:3], s33 offset:224 ; 4-byte Folded Reload
	v_mov_b32_e32 v1, -1
	v_mov_b32_e32 v4, 0x7f800000
	s_waitcnt vmcnt(1)
	v_cmp_gt_i16_sdwa vcc, sext(v40), v1 src0_sel:BYTE_0 src1_sel:DWORD
	v_mov_b32_e32 v1, 0xff800000
	v_cndmask_b32_e32 v1, v1, v4, vcc
	v_cmp_eq_u32_e32 vcc, 0, v2
	v_mov_b32_e32 v2, 0x7f800001
	v_cndmask_b32_e32 v1, v2, v1, vcc
.LBB6_27419:                            ;   in Loop: Header=BB6_25823 Depth=3
	s_or_b64 exec, exec, s[36:37]
.LBB6_27420:                            ;   in Loop: Header=BB6_25823 Depth=3
	s_or_b64 exec, exec, s[34:35]
.LBB6_27421:                            ;   in Loop: Header=BB6_25823 Depth=3
	s_or_b64 exec, exec, s[28:29]
	v_cmp_ne_u16_e32 vcc, 0, v3
	s_and_saveexec_b64 s[28:29], vcc
	s_cbranch_execz .LBB6_27429
; %bb.27422:                            ;   in Loop: Header=BB6_25823 Depth=3
	v_cmp_ne_u16_e32 vcc, s46, v3
	v_bfrev_b32_e32 v0, 1
	s_and_saveexec_b64 s[34:35], vcc
	s_cbranch_execz .LBB6_27428
; %bb.27423:                            ;   in Loop: Header=BB6_25823 Depth=3
	v_and_b32_e32 v0, 0x7c, v3
	v_and_b32_e32 v2, 3, v3
	v_cmp_ne_u32_e32 vcc, s86, v0
                                        ; implicit-def: $vgpr0
	s_and_saveexec_b64 s[62:63], vcc
	s_xor_b64 s[36:37], exec, s[62:63]
	s_cbranch_execz .LBB6_27425
; %bb.27424:                            ;   in Loop: Header=BB6_25823 Depth=3
	v_ffbh_u32_e32 v7, v2
	v_min_u32_e32 v7, 32, v7
	v_and_b32_e32 v0, 0xff, v3
	v_mov_b32_e32 v4, v33
	v_subrev_u32_e32 v15, 29, v7
	v_bfe_u32 v0, v0, 2, 5
	s_waitcnt vmcnt(0)
	v_lshlrev_b64 v[40:41], v15, v[3:4]
	v_sub_u32_e32 v4, 30, v7
	v_cmp_eq_u32_e32 vcc, 0, v0
	v_and_b32_e32 v7, 3, v40
	v_cndmask_b32_e32 v0, v0, v4, vcc
	v_and_b32_sdwa v3, sext(v3), s87 dst_sel:DWORD dst_unused:UNUSED_PAD src0_sel:WORD_0 src1_sel:DWORD
	v_cndmask_b32_e32 v2, v2, v7, vcc
	v_lshl_add_u32 v0, v0, 23, v3
	v_lshl_or_b32 v0, v2, 21, v0
	v_add_u32_e32 v0, 0x38000000, v0
                                        ; implicit-def: $vgpr2
                                        ; implicit-def: $vgpr3
.LBB6_27425:                            ;   in Loop: Header=BB6_25823 Depth=3
	s_andn2_saveexec_b64 s[36:37], s[36:37]
; %bb.27426:                            ;   in Loop: Header=BB6_25823 Depth=3
	v_cmp_lt_i16_e32 vcc, -1, v3
	v_mov_b32_e32 v0, 0xff800000
	v_mov_b32_e32 v3, 0x7f800000
	v_cndmask_b32_e32 v0, v0, v3, vcc
	v_cmp_eq_u32_e32 vcc, 0, v2
	v_mov_b32_e32 v2, 0x7f800001
	v_cndmask_b32_e32 v0, v2, v0, vcc
; %bb.27427:                            ;   in Loop: Header=BB6_25823 Depth=3
	s_or_b64 exec, exec, s[36:37]
.LBB6_27428:                            ;   in Loop: Header=BB6_25823 Depth=3
	s_or_b64 exec, exec, s[34:35]
.LBB6_27429:                            ;   in Loop: Header=BB6_25823 Depth=3
	s_or_b64 exec, exec, s[28:29]
	v_add_f32_e32 v2, v1, v0
	v_and_b32_e32 v3, 0x7f800000, v2
	v_mov_b32_e32 v4, v33
	v_cmp_ne_u64_e32 vcc, s[76:77], v[3:4]
	v_and_b32_e32 v0, 0x7fffff, v2
	v_mov_b32_e32 v1, v33
                                        ; implicit-def: $vgpr3
	s_and_saveexec_b64 s[28:29], vcc
	s_xor_b64 s[34:35], exec, s[28:29]
	s_cbranch_execz .LBB6_27447
; %bb.27430:                            ;   in Loop: Header=BB6_25823 Depth=3
	v_and_b32_e32 v3, 0x7fffffff, v2
	v_mov_b32_e32 v4, v33
	v_cmp_gt_u64_e32 vcc, s[78:79], v[3:4]
	v_and_b32_sdwa v4, v2, s97 dst_sel:DWORD dst_unused:UNUSED_PAD src0_sel:BYTE_3 src1_sel:DWORD
                                        ; implicit-def: $vgpr3
	s_and_saveexec_b64 s[28:29], vcc
	s_xor_b64 s[36:37], exec, s[28:29]
	s_cbranch_execz .LBB6_27444
; %bb.27431:                            ;   in Loop: Header=BB6_25823 Depth=3
	v_cmp_ne_u32_e32 vcc, 0, v2
	v_mov_b32_e32 v3, 0
	s_and_saveexec_b64 s[38:39], vcc
	s_cbranch_execz .LBB6_27443
; %bb.27432:                            ;   in Loop: Header=BB6_25823 Depth=3
	v_bfe_u32 v3, v2, 23, 8
	v_cmp_gt_u32_e64 s[28:29], s47, v3
	v_sub_u32_e32 v2, 0x71, v3
	v_cmp_eq_u32_e32 vcc, 0, v3
	v_cndmask_b32_e64 v2, 0, v2, s[28:29]
	v_mov_b32_e32 v7, 0x70
	v_cndmask_b32_e32 v7, v2, v7, vcc
	v_add_u32_e32 v2, 21, v7
	v_or_b32_e32 v15, 0x800000, v0
	s_waitcnt vmcnt(0)
	v_lshlrev_b64 v[40:41], v2, -1
	v_cndmask_b32_e32 v0, v15, v0, vcc
	v_add_u32_e32 v2, 20, v7
	v_bfi_b32 v40, v40, 0, v0
	v_lshlrev_b64 v[42:43], v2, 1
	v_lshrrev_b64 v[0:1], v7, v[0:1]
	v_bfi_b32 v41, v41, 0, 0
	v_cmp_eq_u64_e64 s[28:29], v[40:41], v[42:43]
	v_mov_b32_e32 v2, v1
	v_mov_b32_e32 v1, v0
	s_and_saveexec_b64 s[48:49], s[28:29]
; %bb.27433:                            ;   in Loop: Header=BB6_25823 Depth=3
	v_bfe_u32 v1, v0, 21, 1
	v_add_co_u32_e64 v1, s[28:29], v0, v1
	v_add_co_u32_e64 v1, s[28:29], -1, v1
; %bb.27434:                            ;   in Loop: Header=BB6_25823 Depth=3
	s_or_b64 exec, exec, s[48:49]
	v_add_u32_e32 v2, 0xffffff81, v3
	v_mov_b32_e32 v3, 0xffffff82
	v_cndmask_b32_e32 v2, v2, v3, vcc
	v_lshrrev_b32_e32 v3, 23, v0
	v_add3_u32 v7, v7, v2, v3
	v_add_u32_e32 v3, 14, v7
	v_and_b32_e32 v1, 0x1fffff, v1
	v_add_u32_e32 v0, v1, v0
	v_mov_b32_e32 v1, v33
	v_cmp_ne_u32_e32 vcc, 0, v3
                                        ; implicit-def: $vgpr2
	s_and_saveexec_b64 s[28:29], vcc
	s_xor_b64 s[28:29], exec, s[28:29]
; %bb.27435:                            ;   in Loop: Header=BB6_25823 Depth=3
	v_cmp_lt_u64_e32 vcc, s[88:89], v[0:1]
	v_add_u32_e32 v2, 15, v7
	v_cndmask_b32_e32 v2, v3, v2, vcc
	v_cndmask_b32_e64 v3, 0, 1, vcc
	v_lshrrev_b64 v[0:1], v3, v[0:1]
; %bb.27436:                            ;   in Loop: Header=BB6_25823 Depth=3
	s_andn2_saveexec_b64 s[28:29], s[28:29]
; %bb.27437:                            ;   in Loop: Header=BB6_25823 Depth=3
	v_bfe_u32 v2, v0, 23, 1
; %bb.27438:                            ;   in Loop: Header=BB6_25823 Depth=3
	s_or_b64 exec, exec, s[28:29]
	v_lshrrev_b64 v[0:1], 21, v[0:1]
	v_cmp_gt_i32_e32 vcc, 32, v2
	v_cndmask_b32_e32 v1, 0, v1, vcc
	v_cndmask_b32_e32 v0, 3, v0, vcc
	v_cmp_ne_u64_e32 vcc, 0, v[0:1]
	v_cmp_ne_u32_e64 s[28:29], 0, v2
	s_or_b64 s[28:29], s[28:29], vcc
                                        ; implicit-def: $vgpr3
	s_and_saveexec_b64 s[62:63], s[28:29]
	s_xor_b64 s[28:29], exec, s[62:63]
; %bb.27439:                            ;   in Loop: Header=BB6_25823 Depth=3
	v_min_i32_e32 v1, 31, v2
	v_lshl_or_b32 v1, v1, 2, v4
	v_and_or_b32 v3, v0, 3, v1
                                        ; implicit-def: $vgpr4
; %bb.27440:                            ;   in Loop: Header=BB6_25823 Depth=3
	s_andn2_saveexec_b64 s[28:29], s[28:29]
; %bb.27441:                            ;   in Loop: Header=BB6_25823 Depth=3
	v_mov_b32_e32 v3, v4
; %bb.27442:                            ;   in Loop: Header=BB6_25823 Depth=3
	s_or_b64 exec, exec, s[28:29]
.LBB6_27443:                            ;   in Loop: Header=BB6_25823 Depth=3
	s_or_b64 exec, exec, s[38:39]
                                        ; implicit-def: $vgpr4
.LBB6_27444:                            ;   in Loop: Header=BB6_25823 Depth=3
	s_andn2_saveexec_b64 s[28:29], s[36:37]
; %bb.27445:                            ;   in Loop: Header=BB6_25823 Depth=3
	v_or_b32_e32 v3, 0x7b, v4
; %bb.27446:                            ;   in Loop: Header=BB6_25823 Depth=3
	s_or_b64 exec, exec, s[28:29]
                                        ; implicit-def: $vgpr2
                                        ; implicit-def: $vgpr0_vgpr1
.LBB6_27447:                            ;   in Loop: Header=BB6_25823 Depth=3
	s_andn2_saveexec_b64 s[28:29], s[34:35]
	s_cbranch_execz .LBB6_27453
; %bb.27448:                            ;   in Loop: Header=BB6_25823 Depth=3
	v_cmp_ne_u64_e32 vcc, 0, v[0:1]
                                        ; implicit-def: $vgpr3
	s_and_saveexec_b64 s[62:63], vcc
	s_xor_b64 vcc, exec, s[62:63]
; %bb.27449:                            ;   in Loop: Header=BB6_25823 Depth=3
	v_or_b32_sdwa v3, v2, s44 dst_sel:DWORD dst_unused:UNUSED_PAD src0_sel:BYTE_3 src1_sel:DWORD
                                        ; implicit-def: $vgpr2
; %bb.27450:                            ;   in Loop: Header=BB6_25823 Depth=3
	s_andn2_saveexec_b64 s[34:35], vcc
; %bb.27451:                            ;   in Loop: Header=BB6_25823 Depth=3
	v_cmp_lt_i32_e32 vcc, -1, v2
	v_mov_b32_e32 v0, 0x7c
	v_cndmask_b32_e32 v3, -4, v0, vcc
; %bb.27452:                            ;   in Loop: Header=BB6_25823 Depth=3
	s_or_b64 exec, exec, s[34:35]
.LBB6_27453:                            ;   in Loop: Header=BB6_25823 Depth=3
	s_or_b64 exec, exec, s[28:29]
	buffer_load_dword v0, off, s[0:3], s33 offset:212 ; 4-byte Folded Reload
	buffer_load_dword v1, off, s[0:3], s33 offset:216 ; 4-byte Folded Reload
	s_waitcnt vmcnt(0)
	v_mov_b32_e32 v1, 0
	v_and_b32_e32 v4, 0xff, v0
	v_cmp_ne_u16_e32 vcc, 0, v4
	v_mov_b32_e32 v0, 0
	s_and_saveexec_b64 s[28:29], vcc
	s_cbranch_execz .LBB6_27461
; %bb.27454:                            ;   in Loop: Header=BB6_25823 Depth=3
	v_cmp_ne_u16_e32 vcc, s97, v4
	v_bfrev_b32_e32 v1, 1
	s_and_saveexec_b64 s[34:35], vcc
	s_cbranch_execz .LBB6_27460
; %bb.27455:                            ;   in Loop: Header=BB6_25823 Depth=3
	buffer_load_dword v1, off, s[0:3], s33 offset:212 ; 4-byte Folded Reload
	buffer_load_dword v2, off, s[0:3], s33 offset:216 ; 4-byte Folded Reload
	s_waitcnt vmcnt(0)
	v_and_b32_e32 v2, 3, v1
	v_and_b32_e32 v1, 0x7c, v1
	v_cmp_ne_u32_e32 vcc, s86, v1
                                        ; implicit-def: $vgpr1
	s_and_saveexec_b64 s[62:63], vcc
	s_xor_b64 s[36:37], exec, s[62:63]
	s_cbranch_execz .LBB6_27457
; %bb.27456:                            ;   in Loop: Header=BB6_25823 Depth=3
	buffer_load_dword v42, off, s[0:3], s33 offset:212 ; 4-byte Folded Reload
	buffer_load_dword v43, off, s[0:3], s33 offset:216 ; 4-byte Folded Reload
	v_bfe_u32 v1, v4, 2, 5
	v_ffbh_u32_e32 v4, v2
	v_min_u32_e32 v4, 32, v4
	s_waitcnt vmcnt(0)
	v_mov_b32_e32 v43, v33
	v_subrev_u32_e32 v7, 29, v4
	v_sub_u32_e32 v4, 30, v4
	v_cmp_eq_u32_e32 vcc, 0, v1
	v_cndmask_b32_e32 v1, v1, v4, vcc
	v_lshlrev_b32_e32 v4, 24, v42
	v_lshlrev_b64 v[40:41], v7, v[42:43]
	v_and_b32_e32 v4, 0x80000000, v4
	v_and_b32_e32 v7, 3, v40
	v_cndmask_b32_e32 v2, v2, v7, vcc
	v_lshl_add_u32 v1, v1, 23, v4
	v_lshl_or_b32 v1, v2, 21, v1
	v_add_u32_e32 v1, 0x38000000, v1
                                        ; implicit-def: $vgpr4
                                        ; implicit-def: $vgpr2
	buffer_store_dword v4, off, s[0:3], s33 offset:212 ; 4-byte Folded Spill
	s_nop 0
	buffer_store_dword v5, off, s[0:3], s33 offset:216 ; 4-byte Folded Spill
.LBB6_27457:                            ;   in Loop: Header=BB6_25823 Depth=3
	s_andn2_saveexec_b64 s[36:37], s[36:37]
	s_cbranch_execz .LBB6_27459
; %bb.27458:                            ;   in Loop: Header=BB6_25823 Depth=3
	buffer_load_dword v40, off, s[0:3], s33 offset:212 ; 4-byte Folded Reload
	buffer_load_dword v41, off, s[0:3], s33 offset:216 ; 4-byte Folded Reload
	v_mov_b32_e32 v1, -1
	v_mov_b32_e32 v4, 0x7f800000
	s_waitcnt vmcnt(1)
	v_cmp_gt_i16_sdwa vcc, sext(v40), v1 src0_sel:BYTE_0 src1_sel:DWORD
	v_mov_b32_e32 v1, 0xff800000
	v_cndmask_b32_e32 v1, v1, v4, vcc
	v_cmp_eq_u32_e32 vcc, 0, v2
	v_mov_b32_e32 v2, 0x7f800001
	v_cndmask_b32_e32 v1, v2, v1, vcc
.LBB6_27459:                            ;   in Loop: Header=BB6_25823 Depth=3
	s_or_b64 exec, exec, s[36:37]
.LBB6_27460:                            ;   in Loop: Header=BB6_25823 Depth=3
	s_or_b64 exec, exec, s[34:35]
.LBB6_27461:                            ;   in Loop: Header=BB6_25823 Depth=3
	s_or_b64 exec, exec, s[28:29]
	v_cmp_ne_u16_e32 vcc, 0, v47
	s_and_saveexec_b64 s[28:29], vcc
	s_cbranch_execz .LBB6_27469
; %bb.27462:                            ;   in Loop: Header=BB6_25823 Depth=3
	v_cmp_ne_u16_e32 vcc, s46, v47
	v_bfrev_b32_e32 v0, 1
	s_and_saveexec_b64 s[34:35], vcc
	s_cbranch_execz .LBB6_27468
; %bb.27463:                            ;   in Loop: Header=BB6_25823 Depth=3
	v_and_b32_e32 v0, 0x7c, v47
	v_and_b32_e32 v2, 3, v47
	v_cmp_ne_u32_e32 vcc, s86, v0
                                        ; implicit-def: $vgpr0
	s_and_saveexec_b64 s[62:63], vcc
	s_xor_b64 s[36:37], exec, s[62:63]
	s_cbranch_execz .LBB6_27465
; %bb.27464:                            ;   in Loop: Header=BB6_25823 Depth=3
	v_ffbh_u32_e32 v4, v2
	v_min_u32_e32 v4, 32, v4
	v_and_b32_e32 v0, 0xff, v47
	v_mov_b32_e32 v48, v33
	v_subrev_u32_e32 v7, 29, v4
	v_bfe_u32 v0, v0, 2, 5
	s_waitcnt vmcnt(0)
	v_lshlrev_b64 v[40:41], v7, v[47:48]
	v_sub_u32_e32 v4, 30, v4
	v_cmp_eq_u32_e32 vcc, 0, v0
	v_and_b32_e32 v7, 3, v40
	v_cndmask_b32_e32 v0, v0, v4, vcc
	v_and_b32_sdwa v4, sext(v47), s87 dst_sel:DWORD dst_unused:UNUSED_PAD src0_sel:WORD_0 src1_sel:DWORD
	v_cndmask_b32_e32 v2, v2, v7, vcc
	v_lshl_add_u32 v0, v0, 23, v4
	v_lshl_or_b32 v0, v2, 21, v0
	v_add_u32_e32 v0, 0x38000000, v0
                                        ; implicit-def: $vgpr2
                                        ; implicit-def: $vgpr47
.LBB6_27465:                            ;   in Loop: Header=BB6_25823 Depth=3
	s_andn2_saveexec_b64 s[36:37], s[36:37]
; %bb.27466:                            ;   in Loop: Header=BB6_25823 Depth=3
	v_cmp_lt_i16_e32 vcc, -1, v47
	v_mov_b32_e32 v0, 0xff800000
	v_mov_b32_e32 v4, 0x7f800000
	v_cndmask_b32_e32 v0, v0, v4, vcc
	v_cmp_eq_u32_e32 vcc, 0, v2
	v_mov_b32_e32 v2, 0x7f800001
	v_cndmask_b32_e32 v0, v2, v0, vcc
; %bb.27467:                            ;   in Loop: Header=BB6_25823 Depth=3
	s_or_b64 exec, exec, s[36:37]
.LBB6_27468:                            ;   in Loop: Header=BB6_25823 Depth=3
	s_or_b64 exec, exec, s[34:35]
.LBB6_27469:                            ;   in Loop: Header=BB6_25823 Depth=3
	s_or_b64 exec, exec, s[28:29]
	v_add_f32_e32 v2, v1, v0
	v_and_b32_e32 v40, 0x7f800000, v2
	s_waitcnt vmcnt(0)
	v_mov_b32_e32 v41, v33
	v_cmp_ne_u64_e32 vcc, s[76:77], v[40:41]
	v_and_b32_e32 v0, 0x7fffff, v2
	v_mov_b32_e32 v1, v33
                                        ; implicit-def: $vgpr4
	s_and_saveexec_b64 s[28:29], vcc
	s_xor_b64 s[34:35], exec, s[28:29]
	s_cbranch_execz .LBB6_27487
; %bb.27470:                            ;   in Loop: Header=BB6_25823 Depth=3
	v_and_b32_e32 v40, 0x7fffffff, v2
	v_mov_b32_e32 v41, v33
	v_cmp_gt_u64_e32 vcc, s[78:79], v[40:41]
	v_and_b32_sdwa v7, v2, s97 dst_sel:DWORD dst_unused:UNUSED_PAD src0_sel:BYTE_3 src1_sel:DWORD
                                        ; implicit-def: $vgpr4
	s_and_saveexec_b64 s[28:29], vcc
	s_xor_b64 s[36:37], exec, s[28:29]
	s_cbranch_execz .LBB6_27484
; %bb.27471:                            ;   in Loop: Header=BB6_25823 Depth=3
	v_cmp_ne_u32_e32 vcc, 0, v2
	v_mov_b32_e32 v4, 0
	s_and_saveexec_b64 s[38:39], vcc
	s_cbranch_execz .LBB6_27483
; %bb.27472:                            ;   in Loop: Header=BB6_25823 Depth=3
	v_bfe_u32 v4, v2, 23, 8
	v_cmp_gt_u32_e64 s[28:29], s47, v4
	v_sub_u32_e32 v2, 0x71, v4
	v_cmp_eq_u32_e32 vcc, 0, v4
	v_cndmask_b32_e64 v2, 0, v2, s[28:29]
	v_mov_b32_e32 v15, 0x70
	v_cndmask_b32_e32 v15, v2, v15, vcc
	v_add_u32_e32 v2, 21, v15
	v_or_b32_e32 v23, 0x800000, v0
	v_lshlrev_b64 v[40:41], v2, -1
	v_cndmask_b32_e32 v0, v23, v0, vcc
	v_add_u32_e32 v2, 20, v15
	v_bfi_b32 v40, v40, 0, v0
	v_lshlrev_b64 v[42:43], v2, 1
	v_lshrrev_b64 v[0:1], v15, v[0:1]
	v_bfi_b32 v41, v41, 0, 0
	v_cmp_eq_u64_e64 s[28:29], v[40:41], v[42:43]
	v_mov_b32_e32 v2, v1
	v_mov_b32_e32 v1, v0
	s_and_saveexec_b64 s[48:49], s[28:29]
; %bb.27473:                            ;   in Loop: Header=BB6_25823 Depth=3
	v_bfe_u32 v1, v0, 21, 1
	v_add_co_u32_e64 v1, s[28:29], v0, v1
	v_add_co_u32_e64 v1, s[28:29], -1, v1
; %bb.27474:                            ;   in Loop: Header=BB6_25823 Depth=3
	s_or_b64 exec, exec, s[48:49]
	v_add_u32_e32 v2, 0xffffff81, v4
	v_mov_b32_e32 v4, 0xffffff82
	v_cndmask_b32_e32 v2, v2, v4, vcc
	v_lshrrev_b32_e32 v4, 23, v0
	v_add3_u32 v15, v15, v2, v4
	v_add_u32_e32 v4, 14, v15
	v_and_b32_e32 v1, 0x1fffff, v1
	v_add_u32_e32 v0, v1, v0
	v_mov_b32_e32 v1, v33
	v_cmp_ne_u32_e32 vcc, 0, v4
                                        ; implicit-def: $vgpr2
	s_and_saveexec_b64 s[28:29], vcc
	s_xor_b64 s[28:29], exec, s[28:29]
; %bb.27475:                            ;   in Loop: Header=BB6_25823 Depth=3
	v_cmp_lt_u64_e32 vcc, s[88:89], v[0:1]
	v_add_u32_e32 v2, 15, v15
	v_cndmask_b32_e32 v2, v4, v2, vcc
	v_cndmask_b32_e64 v4, 0, 1, vcc
	v_lshrrev_b64 v[0:1], v4, v[0:1]
; %bb.27476:                            ;   in Loop: Header=BB6_25823 Depth=3
	s_andn2_saveexec_b64 s[28:29], s[28:29]
; %bb.27477:                            ;   in Loop: Header=BB6_25823 Depth=3
	v_bfe_u32 v2, v0, 23, 1
; %bb.27478:                            ;   in Loop: Header=BB6_25823 Depth=3
	s_or_b64 exec, exec, s[28:29]
	v_lshrrev_b64 v[0:1], 21, v[0:1]
	v_cmp_gt_i32_e32 vcc, 32, v2
	v_cndmask_b32_e32 v1, 0, v1, vcc
	v_cndmask_b32_e32 v0, 3, v0, vcc
	v_cmp_ne_u64_e32 vcc, 0, v[0:1]
	v_cmp_ne_u32_e64 s[28:29], 0, v2
	s_or_b64 s[28:29], s[28:29], vcc
                                        ; implicit-def: $vgpr4
	s_and_saveexec_b64 s[62:63], s[28:29]
	s_xor_b64 s[28:29], exec, s[62:63]
; %bb.27479:                            ;   in Loop: Header=BB6_25823 Depth=3
	v_min_i32_e32 v1, 31, v2
	v_lshl_or_b32 v1, v1, 2, v7
	v_and_or_b32 v4, v0, 3, v1
                                        ; implicit-def: $vgpr7
; %bb.27480:                            ;   in Loop: Header=BB6_25823 Depth=3
	s_andn2_saveexec_b64 s[28:29], s[28:29]
; %bb.27481:                            ;   in Loop: Header=BB6_25823 Depth=3
	v_mov_b32_e32 v4, v7
; %bb.27482:                            ;   in Loop: Header=BB6_25823 Depth=3
	s_or_b64 exec, exec, s[28:29]
.LBB6_27483:                            ;   in Loop: Header=BB6_25823 Depth=3
	s_or_b64 exec, exec, s[38:39]
                                        ; implicit-def: $vgpr7
.LBB6_27484:                            ;   in Loop: Header=BB6_25823 Depth=3
	s_andn2_saveexec_b64 s[28:29], s[36:37]
; %bb.27485:                            ;   in Loop: Header=BB6_25823 Depth=3
	v_or_b32_e32 v4, 0x7b, v7
; %bb.27486:                            ;   in Loop: Header=BB6_25823 Depth=3
	s_or_b64 exec, exec, s[28:29]
                                        ; implicit-def: $vgpr2
                                        ; implicit-def: $vgpr0_vgpr1
.LBB6_27487:                            ;   in Loop: Header=BB6_25823 Depth=3
	s_andn2_saveexec_b64 s[28:29], s[34:35]
	s_cbranch_execz .LBB6_27493
; %bb.27488:                            ;   in Loop: Header=BB6_25823 Depth=3
	v_cmp_ne_u64_e32 vcc, 0, v[0:1]
                                        ; implicit-def: $vgpr4
	s_and_saveexec_b64 s[62:63], vcc
	s_xor_b64 vcc, exec, s[62:63]
; %bb.27489:                            ;   in Loop: Header=BB6_25823 Depth=3
	v_or_b32_sdwa v4, v2, s44 dst_sel:DWORD dst_unused:UNUSED_PAD src0_sel:BYTE_3 src1_sel:DWORD
                                        ; implicit-def: $vgpr2
; %bb.27490:                            ;   in Loop: Header=BB6_25823 Depth=3
	s_andn2_saveexec_b64 s[34:35], vcc
; %bb.27491:                            ;   in Loop: Header=BB6_25823 Depth=3
	v_cmp_lt_i32_e32 vcc, -1, v2
	v_mov_b32_e32 v0, 0x7c
	v_cndmask_b32_e32 v4, -4, v0, vcc
; %bb.27492:                            ;   in Loop: Header=BB6_25823 Depth=3
	s_or_b64 exec, exec, s[34:35]
.LBB6_27493:                            ;   in Loop: Header=BB6_25823 Depth=3
	s_or_b64 exec, exec, s[28:29]
	buffer_load_dword v0, off, s[0:3], s33 offset:204 ; 4-byte Folded Reload
	buffer_load_dword v1, off, s[0:3], s33 offset:208 ; 4-byte Folded Reload
	s_waitcnt vmcnt(0)
	v_mov_b32_e32 v1, 0
	v_and_b32_e32 v7, 0xff, v0
	v_cmp_ne_u16_e32 vcc, 0, v7
	v_mov_b32_e32 v0, 0
	s_and_saveexec_b64 s[28:29], vcc
	s_cbranch_execz .LBB6_27501
; %bb.27494:                            ;   in Loop: Header=BB6_25823 Depth=3
	v_cmp_ne_u16_e32 vcc, s97, v7
	v_bfrev_b32_e32 v1, 1
	s_and_saveexec_b64 s[34:35], vcc
	s_cbranch_execz .LBB6_27500
; %bb.27495:                            ;   in Loop: Header=BB6_25823 Depth=3
	buffer_load_dword v1, off, s[0:3], s33 offset:204 ; 4-byte Folded Reload
	buffer_load_dword v2, off, s[0:3], s33 offset:208 ; 4-byte Folded Reload
	s_waitcnt vmcnt(0)
	v_and_b32_e32 v2, 3, v1
	v_and_b32_e32 v1, 0x7c, v1
	v_cmp_ne_u32_e32 vcc, s86, v1
                                        ; implicit-def: $vgpr1
	s_and_saveexec_b64 s[62:63], vcc
	s_xor_b64 s[36:37], exec, s[62:63]
	s_cbranch_execz .LBB6_27497
; %bb.27496:                            ;   in Loop: Header=BB6_25823 Depth=3
	buffer_load_dword v42, off, s[0:3], s33 offset:204 ; 4-byte Folded Reload
	buffer_load_dword v43, off, s[0:3], s33 offset:208 ; 4-byte Folded Reload
	v_bfe_u32 v1, v7, 2, 5
	v_ffbh_u32_e32 v7, v2
	v_min_u32_e32 v7, 32, v7
	s_waitcnt vmcnt(0)
	v_mov_b32_e32 v43, v33
	v_subrev_u32_e32 v15, 29, v7
	v_sub_u32_e32 v7, 30, v7
	v_cmp_eq_u32_e32 vcc, 0, v1
	v_cndmask_b32_e32 v1, v1, v7, vcc
	v_lshlrev_b32_e32 v7, 24, v42
	v_lshlrev_b64 v[40:41], v15, v[42:43]
	v_and_b32_e32 v7, 0x80000000, v7
	v_and_b32_e32 v15, 3, v40
	v_cndmask_b32_e32 v2, v2, v15, vcc
	v_lshl_add_u32 v1, v1, 23, v7
	v_lshl_or_b32 v1, v2, 21, v1
	v_add_u32_e32 v1, 0x38000000, v1
                                        ; implicit-def: $vgpr7
                                        ; implicit-def: $vgpr2
	buffer_store_dword v7, off, s[0:3], s33 offset:204 ; 4-byte Folded Spill
	s_nop 0
	buffer_store_dword v8, off, s[0:3], s33 offset:208 ; 4-byte Folded Spill
.LBB6_27497:                            ;   in Loop: Header=BB6_25823 Depth=3
	s_andn2_saveexec_b64 s[36:37], s[36:37]
	s_cbranch_execz .LBB6_27499
; %bb.27498:                            ;   in Loop: Header=BB6_25823 Depth=3
	buffer_load_dword v40, off, s[0:3], s33 offset:204 ; 4-byte Folded Reload
	buffer_load_dword v41, off, s[0:3], s33 offset:208 ; 4-byte Folded Reload
	v_mov_b32_e32 v1, -1
	v_mov_b32_e32 v7, 0x7f800000
	s_waitcnt vmcnt(1)
	v_cmp_gt_i16_sdwa vcc, sext(v40), v1 src0_sel:BYTE_0 src1_sel:DWORD
	v_mov_b32_e32 v1, 0xff800000
	v_cndmask_b32_e32 v1, v1, v7, vcc
	v_cmp_eq_u32_e32 vcc, 0, v2
	v_mov_b32_e32 v2, 0x7f800001
	v_cndmask_b32_e32 v1, v2, v1, vcc
.LBB6_27499:                            ;   in Loop: Header=BB6_25823 Depth=3
	s_or_b64 exec, exec, s[36:37]
.LBB6_27500:                            ;   in Loop: Header=BB6_25823 Depth=3
	s_or_b64 exec, exec, s[34:35]
.LBB6_27501:                            ;   in Loop: Header=BB6_25823 Depth=3
	s_or_b64 exec, exec, s[28:29]
	v_cmp_ne_u16_e32 vcc, 0, v30
	s_and_saveexec_b64 s[28:29], vcc
	s_cbranch_execz .LBB6_27509
; %bb.27502:                            ;   in Loop: Header=BB6_25823 Depth=3
	v_cmp_ne_u16_e32 vcc, s46, v30
	v_bfrev_b32_e32 v0, 1
	s_and_saveexec_b64 s[34:35], vcc
	s_cbranch_execz .LBB6_27508
; %bb.27503:                            ;   in Loop: Header=BB6_25823 Depth=3
	v_and_b32_e32 v0, 0x7c, v30
	v_and_b32_e32 v2, 3, v30
	v_cmp_ne_u32_e32 vcc, s86, v0
                                        ; implicit-def: $vgpr0
	s_and_saveexec_b64 s[62:63], vcc
	s_xor_b64 s[36:37], exec, s[62:63]
	s_cbranch_execz .LBB6_27505
; %bb.27504:                            ;   in Loop: Header=BB6_25823 Depth=3
	v_ffbh_u32_e32 v7, v2
	v_min_u32_e32 v7, 32, v7
	v_and_b32_e32 v0, 0xff, v30
	v_mov_b32_e32 v31, v33
	v_subrev_u32_e32 v15, 29, v7
	v_bfe_u32 v0, v0, 2, 5
	s_waitcnt vmcnt(0)
	v_lshlrev_b64 v[40:41], v15, v[30:31]
	v_sub_u32_e32 v7, 30, v7
	v_cmp_eq_u32_e32 vcc, 0, v0
	v_and_b32_e32 v15, 3, v40
	v_cndmask_b32_e32 v0, v0, v7, vcc
	v_and_b32_sdwa v7, sext(v30), s87 dst_sel:DWORD dst_unused:UNUSED_PAD src0_sel:WORD_0 src1_sel:DWORD
	v_cndmask_b32_e32 v2, v2, v15, vcc
	v_lshl_add_u32 v0, v0, 23, v7
	v_lshl_or_b32 v0, v2, 21, v0
	v_add_u32_e32 v0, 0x38000000, v0
                                        ; implicit-def: $vgpr2
                                        ; implicit-def: $vgpr30
.LBB6_27505:                            ;   in Loop: Header=BB6_25823 Depth=3
	s_andn2_saveexec_b64 s[36:37], s[36:37]
; %bb.27506:                            ;   in Loop: Header=BB6_25823 Depth=3
	v_cmp_lt_i16_e32 vcc, -1, v30
	v_mov_b32_e32 v0, 0xff800000
	v_mov_b32_e32 v7, 0x7f800000
	v_cndmask_b32_e32 v0, v0, v7, vcc
	v_cmp_eq_u32_e32 vcc, 0, v2
	v_mov_b32_e32 v2, 0x7f800001
	v_cndmask_b32_e32 v0, v2, v0, vcc
; %bb.27507:                            ;   in Loop: Header=BB6_25823 Depth=3
	s_or_b64 exec, exec, s[36:37]
.LBB6_27508:                            ;   in Loop: Header=BB6_25823 Depth=3
	s_or_b64 exec, exec, s[34:35]
.LBB6_27509:                            ;   in Loop: Header=BB6_25823 Depth=3
	s_or_b64 exec, exec, s[28:29]
	v_add_f32_e32 v2, v1, v0
	v_and_b32_e32 v30, 0x7f800000, v2
	v_mov_b32_e32 v31, v33
	v_cmp_ne_u64_e32 vcc, s[76:77], v[30:31]
	v_and_b32_e32 v0, 0x7fffff, v2
	v_mov_b32_e32 v1, v33
                                        ; implicit-def: $vgpr31
	s_and_saveexec_b64 s[28:29], vcc
	s_xor_b64 s[34:35], exec, s[28:29]
	s_cbranch_execz .LBB6_27527
; %bb.27510:                            ;   in Loop: Header=BB6_25823 Depth=3
	v_and_b32_e32 v30, 0x7fffffff, v2
	v_mov_b32_e32 v31, v33
	v_cmp_gt_u64_e32 vcc, s[78:79], v[30:31]
	v_and_b32_sdwa v7, v2, s97 dst_sel:DWORD dst_unused:UNUSED_PAD src0_sel:BYTE_3 src1_sel:DWORD
                                        ; implicit-def: $vgpr31
	s_and_saveexec_b64 s[28:29], vcc
	s_xor_b64 s[36:37], exec, s[28:29]
	s_cbranch_execz .LBB6_27524
; %bb.27511:                            ;   in Loop: Header=BB6_25823 Depth=3
	v_cmp_ne_u32_e32 vcc, 0, v2
	v_mov_b32_e32 v31, 0
	s_and_saveexec_b64 s[38:39], vcc
	s_cbranch_execz .LBB6_27523
; %bb.27512:                            ;   in Loop: Header=BB6_25823 Depth=3
	v_bfe_u32 v15, v2, 23, 8
	v_cmp_gt_u32_e64 s[28:29], s47, v15
	v_sub_u32_e32 v2, 0x71, v15
	v_cmp_eq_u32_e32 vcc, 0, v15
	v_cndmask_b32_e64 v2, 0, v2, s[28:29]
	v_mov_b32_e32 v23, 0x70
	v_cndmask_b32_e32 v23, v2, v23, vcc
	v_add_u32_e32 v2, 21, v23
	v_or_b32_e32 v25, 0x800000, v0
	v_lshlrev_b64 v[30:31], v2, -1
	v_cndmask_b32_e32 v0, v25, v0, vcc
	v_add_u32_e32 v2, 20, v23
	v_bfi_b32 v30, v30, 0, v0
	s_waitcnt vmcnt(0)
	v_lshlrev_b64 v[40:41], v2, 1
	v_lshrrev_b64 v[0:1], v23, v[0:1]
	v_bfi_b32 v31, v31, 0, 0
	v_cmp_eq_u64_e64 s[28:29], v[30:31], v[40:41]
	v_mov_b32_e32 v2, v1
	v_mov_b32_e32 v1, v0
	s_and_saveexec_b64 s[48:49], s[28:29]
; %bb.27513:                            ;   in Loop: Header=BB6_25823 Depth=3
	v_bfe_u32 v1, v0, 21, 1
	v_add_co_u32_e64 v1, s[28:29], v0, v1
	v_add_co_u32_e64 v1, s[28:29], -1, v1
; %bb.27514:                            ;   in Loop: Header=BB6_25823 Depth=3
	s_or_b64 exec, exec, s[48:49]
	v_add_u32_e32 v2, 0xffffff81, v15
	v_mov_b32_e32 v15, 0xffffff82
	v_cndmask_b32_e32 v2, v2, v15, vcc
	v_lshrrev_b32_e32 v15, 23, v0
	v_add3_u32 v23, v23, v2, v15
	v_add_u32_e32 v15, 14, v23
	v_and_b32_e32 v1, 0x1fffff, v1
	v_add_u32_e32 v0, v1, v0
	v_mov_b32_e32 v1, v33
	v_cmp_ne_u32_e32 vcc, 0, v15
                                        ; implicit-def: $vgpr2
	s_and_saveexec_b64 s[28:29], vcc
	s_xor_b64 s[28:29], exec, s[28:29]
; %bb.27515:                            ;   in Loop: Header=BB6_25823 Depth=3
	v_cmp_lt_u64_e32 vcc, s[88:89], v[0:1]
	v_add_u32_e32 v2, 15, v23
	v_cndmask_b32_e32 v2, v15, v2, vcc
	v_cndmask_b32_e64 v15, 0, 1, vcc
	v_lshrrev_b64 v[0:1], v15, v[0:1]
; %bb.27516:                            ;   in Loop: Header=BB6_25823 Depth=3
	s_andn2_saveexec_b64 s[28:29], s[28:29]
; %bb.27517:                            ;   in Loop: Header=BB6_25823 Depth=3
	v_bfe_u32 v2, v0, 23, 1
; %bb.27518:                            ;   in Loop: Header=BB6_25823 Depth=3
	s_or_b64 exec, exec, s[28:29]
	v_lshrrev_b64 v[0:1], 21, v[0:1]
	v_cmp_gt_i32_e32 vcc, 32, v2
	v_cndmask_b32_e32 v1, 0, v1, vcc
	v_cndmask_b32_e32 v0, 3, v0, vcc
	v_cmp_ne_u64_e32 vcc, 0, v[0:1]
	v_cmp_ne_u32_e64 s[28:29], 0, v2
	s_or_b64 s[28:29], s[28:29], vcc
                                        ; implicit-def: $vgpr31
	s_and_saveexec_b64 s[62:63], s[28:29]
	s_xor_b64 s[28:29], exec, s[62:63]
; %bb.27519:                            ;   in Loop: Header=BB6_25823 Depth=3
	v_min_i32_e32 v1, 31, v2
	v_lshl_or_b32 v1, v1, 2, v7
	v_and_or_b32 v31, v0, 3, v1
                                        ; implicit-def: $vgpr7
; %bb.27520:                            ;   in Loop: Header=BB6_25823 Depth=3
	s_andn2_saveexec_b64 s[28:29], s[28:29]
; %bb.27521:                            ;   in Loop: Header=BB6_25823 Depth=3
	v_mov_b32_e32 v31, v7
; %bb.27522:                            ;   in Loop: Header=BB6_25823 Depth=3
	s_or_b64 exec, exec, s[28:29]
.LBB6_27523:                            ;   in Loop: Header=BB6_25823 Depth=3
	s_or_b64 exec, exec, s[38:39]
                                        ; implicit-def: $vgpr7
.LBB6_27524:                            ;   in Loop: Header=BB6_25823 Depth=3
	s_andn2_saveexec_b64 s[28:29], s[36:37]
; %bb.27525:                            ;   in Loop: Header=BB6_25823 Depth=3
	v_or_b32_e32 v31, 0x7b, v7
; %bb.27526:                            ;   in Loop: Header=BB6_25823 Depth=3
	s_or_b64 exec, exec, s[28:29]
                                        ; implicit-def: $vgpr2
                                        ; implicit-def: $vgpr0_vgpr1
.LBB6_27527:                            ;   in Loop: Header=BB6_25823 Depth=3
	s_andn2_saveexec_b64 s[28:29], s[34:35]
	s_cbranch_execz .LBB6_27533
; %bb.27528:                            ;   in Loop: Header=BB6_25823 Depth=3
	v_cmp_ne_u64_e32 vcc, 0, v[0:1]
                                        ; implicit-def: $vgpr31
	s_and_saveexec_b64 s[62:63], vcc
	s_xor_b64 vcc, exec, s[62:63]
; %bb.27529:                            ;   in Loop: Header=BB6_25823 Depth=3
	v_or_b32_sdwa v31, v2, s44 dst_sel:DWORD dst_unused:UNUSED_PAD src0_sel:BYTE_3 src1_sel:DWORD
                                        ; implicit-def: $vgpr2
; %bb.27530:                            ;   in Loop: Header=BB6_25823 Depth=3
	s_andn2_saveexec_b64 s[34:35], vcc
; %bb.27531:                            ;   in Loop: Header=BB6_25823 Depth=3
	v_cmp_lt_i32_e32 vcc, -1, v2
	v_mov_b32_e32 v0, 0x7c
	v_cndmask_b32_e32 v31, -4, v0, vcc
; %bb.27532:                            ;   in Loop: Header=BB6_25823 Depth=3
	s_or_b64 exec, exec, s[34:35]
.LBB6_27533:                            ;   in Loop: Header=BB6_25823 Depth=3
	s_or_b64 exec, exec, s[28:29]
	buffer_load_dword v0, off, s[0:3], s33 offset:196 ; 4-byte Folded Reload
	buffer_load_dword v1, off, s[0:3], s33 offset:200 ; 4-byte Folded Reload
	s_waitcnt vmcnt(0)
	v_mov_b32_e32 v1, 0
	v_and_b32_e32 v7, 0xff, v0
	v_cmp_ne_u16_e32 vcc, 0, v7
	v_mov_b32_e32 v0, 0
	s_and_saveexec_b64 s[28:29], vcc
	s_cbranch_execz .LBB6_27541
; %bb.27534:                            ;   in Loop: Header=BB6_25823 Depth=3
	v_cmp_ne_u16_e32 vcc, s97, v7
	v_bfrev_b32_e32 v1, 1
	s_and_saveexec_b64 s[34:35], vcc
	s_cbranch_execz .LBB6_27540
; %bb.27535:                            ;   in Loop: Header=BB6_25823 Depth=3
	buffer_load_dword v1, off, s[0:3], s33 offset:196 ; 4-byte Folded Reload
	buffer_load_dword v2, off, s[0:3], s33 offset:200 ; 4-byte Folded Reload
	s_waitcnt vmcnt(0)
	v_and_b32_e32 v2, 3, v1
	v_and_b32_e32 v1, 0x7c, v1
	v_cmp_ne_u32_e32 vcc, s86, v1
                                        ; implicit-def: $vgpr1
	s_and_saveexec_b64 s[62:63], vcc
	s_xor_b64 s[36:37], exec, s[62:63]
	s_cbranch_execz .LBB6_27537
; %bb.27536:                            ;   in Loop: Header=BB6_25823 Depth=3
	buffer_load_dword v42, off, s[0:3], s33 offset:196 ; 4-byte Folded Reload
	buffer_load_dword v43, off, s[0:3], s33 offset:200 ; 4-byte Folded Reload
	v_bfe_u32 v1, v7, 2, 5
	v_ffbh_u32_e32 v7, v2
	v_min_u32_e32 v7, 32, v7
	s_waitcnt vmcnt(0)
	v_mov_b32_e32 v43, v33
	v_subrev_u32_e32 v15, 29, v7
	v_sub_u32_e32 v7, 30, v7
	v_cmp_eq_u32_e32 vcc, 0, v1
	v_cndmask_b32_e32 v1, v1, v7, vcc
	v_lshlrev_b32_e32 v7, 24, v42
	v_lshlrev_b64 v[40:41], v15, v[42:43]
	v_and_b32_e32 v7, 0x80000000, v7
	v_and_b32_e32 v15, 3, v40
	v_cndmask_b32_e32 v2, v2, v15, vcc
	v_lshl_add_u32 v1, v1, 23, v7
	v_lshl_or_b32 v1, v2, 21, v1
	v_add_u32_e32 v1, 0x38000000, v1
                                        ; implicit-def: $vgpr7
                                        ; implicit-def: $vgpr2
	buffer_store_dword v7, off, s[0:3], s33 offset:196 ; 4-byte Folded Spill
	s_nop 0
	buffer_store_dword v8, off, s[0:3], s33 offset:200 ; 4-byte Folded Spill
.LBB6_27537:                            ;   in Loop: Header=BB6_25823 Depth=3
	s_andn2_saveexec_b64 s[36:37], s[36:37]
	s_cbranch_execz .LBB6_27539
; %bb.27538:                            ;   in Loop: Header=BB6_25823 Depth=3
	buffer_load_dword v40, off, s[0:3], s33 offset:196 ; 4-byte Folded Reload
	buffer_load_dword v41, off, s[0:3], s33 offset:200 ; 4-byte Folded Reload
	v_mov_b32_e32 v1, -1
	v_mov_b32_e32 v7, 0x7f800000
	s_waitcnt vmcnt(1)
	v_cmp_gt_i16_sdwa vcc, sext(v40), v1 src0_sel:BYTE_0 src1_sel:DWORD
	v_mov_b32_e32 v1, 0xff800000
	v_cndmask_b32_e32 v1, v1, v7, vcc
	v_cmp_eq_u32_e32 vcc, 0, v2
	v_mov_b32_e32 v2, 0x7f800001
	v_cndmask_b32_e32 v1, v2, v1, vcc
.LBB6_27539:                            ;   in Loop: Header=BB6_25823 Depth=3
	s_or_b64 exec, exec, s[36:37]
.LBB6_27540:                            ;   in Loop: Header=BB6_25823 Depth=3
	s_or_b64 exec, exec, s[34:35]
.LBB6_27541:                            ;   in Loop: Header=BB6_25823 Depth=3
	s_or_b64 exec, exec, s[28:29]
	v_cmp_ne_u16_e32 vcc, 0, v29
	s_and_saveexec_b64 s[28:29], vcc
	s_cbranch_execz .LBB6_27549
; %bb.27542:                            ;   in Loop: Header=BB6_25823 Depth=3
	v_cmp_ne_u16_e32 vcc, s46, v29
	v_bfrev_b32_e32 v0, 1
	s_and_saveexec_b64 s[34:35], vcc
	s_cbranch_execz .LBB6_27548
; %bb.27543:                            ;   in Loop: Header=BB6_25823 Depth=3
	v_and_b32_e32 v0, 0x7c, v29
	v_and_b32_e32 v2, 3, v29
	v_cmp_ne_u32_e32 vcc, s86, v0
                                        ; implicit-def: $vgpr0
	s_and_saveexec_b64 s[62:63], vcc
	s_xor_b64 s[36:37], exec, s[62:63]
	s_cbranch_execz .LBB6_27545
; %bb.27544:                            ;   in Loop: Header=BB6_25823 Depth=3
	v_ffbh_u32_e32 v7, v2
	v_min_u32_e32 v7, 32, v7
	v_and_b32_e32 v0, 0xff, v29
	v_mov_b32_e32 v30, v33
	v_subrev_u32_e32 v15, 29, v7
	v_bfe_u32 v0, v0, 2, 5
	s_waitcnt vmcnt(0)
	v_lshlrev_b64 v[40:41], v15, v[29:30]
	v_sub_u32_e32 v7, 30, v7
	v_cmp_eq_u32_e32 vcc, 0, v0
	v_and_b32_e32 v15, 3, v40
	v_cndmask_b32_e32 v0, v0, v7, vcc
	v_and_b32_sdwa v7, sext(v29), s87 dst_sel:DWORD dst_unused:UNUSED_PAD src0_sel:WORD_0 src1_sel:DWORD
	v_cndmask_b32_e32 v2, v2, v15, vcc
	v_lshl_add_u32 v0, v0, 23, v7
	v_lshl_or_b32 v0, v2, 21, v0
	v_add_u32_e32 v0, 0x38000000, v0
                                        ; implicit-def: $vgpr2
                                        ; implicit-def: $vgpr29
.LBB6_27545:                            ;   in Loop: Header=BB6_25823 Depth=3
	s_andn2_saveexec_b64 s[36:37], s[36:37]
; %bb.27546:                            ;   in Loop: Header=BB6_25823 Depth=3
	v_cmp_lt_i16_e32 vcc, -1, v29
	v_mov_b32_e32 v0, 0xff800000
	v_mov_b32_e32 v7, 0x7f800000
	v_cndmask_b32_e32 v0, v0, v7, vcc
	v_cmp_eq_u32_e32 vcc, 0, v2
	v_mov_b32_e32 v2, 0x7f800001
	v_cndmask_b32_e32 v0, v2, v0, vcc
; %bb.27547:                            ;   in Loop: Header=BB6_25823 Depth=3
	s_or_b64 exec, exec, s[36:37]
.LBB6_27548:                            ;   in Loop: Header=BB6_25823 Depth=3
	s_or_b64 exec, exec, s[34:35]
.LBB6_27549:                            ;   in Loop: Header=BB6_25823 Depth=3
	s_or_b64 exec, exec, s[28:29]
	v_add_f32_e32 v2, v1, v0
	v_and_b32_e32 v29, 0x7f800000, v2
	v_mov_b32_e32 v30, v33
	v_cmp_ne_u64_e32 vcc, s[76:77], v[29:30]
	v_and_b32_e32 v0, 0x7fffff, v2
	v_mov_b32_e32 v1, v33
                                        ; implicit-def: $vgpr30
	s_and_saveexec_b64 s[28:29], vcc
	s_xor_b64 s[34:35], exec, s[28:29]
	s_cbranch_execz .LBB6_27567
; %bb.27550:                            ;   in Loop: Header=BB6_25823 Depth=3
	v_and_b32_e32 v29, 0x7fffffff, v2
	v_mov_b32_e32 v30, v33
	v_cmp_gt_u64_e32 vcc, s[78:79], v[29:30]
	v_and_b32_sdwa v7, v2, s97 dst_sel:DWORD dst_unused:UNUSED_PAD src0_sel:BYTE_3 src1_sel:DWORD
                                        ; implicit-def: $vgpr30
	s_and_saveexec_b64 s[28:29], vcc
	s_xor_b64 s[36:37], exec, s[28:29]
	s_cbranch_execz .LBB6_27564
; %bb.27551:                            ;   in Loop: Header=BB6_25823 Depth=3
	v_cmp_ne_u32_e32 vcc, 0, v2
	v_mov_b32_e32 v30, 0
	s_and_saveexec_b64 s[38:39], vcc
	s_cbranch_execz .LBB6_27563
; %bb.27552:                            ;   in Loop: Header=BB6_25823 Depth=3
	v_bfe_u32 v15, v2, 23, 8
	v_cmp_gt_u32_e64 s[28:29], s47, v15
	v_sub_u32_e32 v2, 0x71, v15
	v_cmp_eq_u32_e32 vcc, 0, v15
	v_cndmask_b32_e64 v2, 0, v2, s[28:29]
	v_mov_b32_e32 v23, 0x70
	v_cndmask_b32_e32 v23, v2, v23, vcc
	v_add_u32_e32 v2, 21, v23
	v_or_b32_e32 v25, 0x800000, v0
	v_lshlrev_b64 v[29:30], v2, -1
	v_cndmask_b32_e32 v0, v25, v0, vcc
	v_add_u32_e32 v2, 20, v23
	v_bfi_b32 v29, v29, 0, v0
	s_waitcnt vmcnt(0)
	v_lshlrev_b64 v[40:41], v2, 1
	v_lshrrev_b64 v[0:1], v23, v[0:1]
	v_bfi_b32 v30, v30, 0, 0
	v_cmp_eq_u64_e64 s[28:29], v[29:30], v[40:41]
	v_mov_b32_e32 v2, v1
	v_mov_b32_e32 v1, v0
	s_and_saveexec_b64 s[48:49], s[28:29]
; %bb.27553:                            ;   in Loop: Header=BB6_25823 Depth=3
	v_bfe_u32 v1, v0, 21, 1
	v_add_co_u32_e64 v1, s[28:29], v0, v1
	v_add_co_u32_e64 v1, s[28:29], -1, v1
; %bb.27554:                            ;   in Loop: Header=BB6_25823 Depth=3
	s_or_b64 exec, exec, s[48:49]
	v_add_u32_e32 v2, 0xffffff81, v15
	v_mov_b32_e32 v15, 0xffffff82
	v_cndmask_b32_e32 v2, v2, v15, vcc
	v_lshrrev_b32_e32 v15, 23, v0
	v_add3_u32 v23, v23, v2, v15
	v_add_u32_e32 v15, 14, v23
	v_and_b32_e32 v1, 0x1fffff, v1
	v_add_u32_e32 v0, v1, v0
	v_mov_b32_e32 v1, v33
	v_cmp_ne_u32_e32 vcc, 0, v15
                                        ; implicit-def: $vgpr2
	s_and_saveexec_b64 s[28:29], vcc
	s_xor_b64 s[28:29], exec, s[28:29]
; %bb.27555:                            ;   in Loop: Header=BB6_25823 Depth=3
	v_cmp_lt_u64_e32 vcc, s[88:89], v[0:1]
	v_add_u32_e32 v2, 15, v23
	v_cndmask_b32_e32 v2, v15, v2, vcc
	v_cndmask_b32_e64 v15, 0, 1, vcc
	v_lshrrev_b64 v[0:1], v15, v[0:1]
; %bb.27556:                            ;   in Loop: Header=BB6_25823 Depth=3
	s_andn2_saveexec_b64 s[28:29], s[28:29]
; %bb.27557:                            ;   in Loop: Header=BB6_25823 Depth=3
	v_bfe_u32 v2, v0, 23, 1
; %bb.27558:                            ;   in Loop: Header=BB6_25823 Depth=3
	s_or_b64 exec, exec, s[28:29]
	v_lshrrev_b64 v[0:1], 21, v[0:1]
	v_cmp_gt_i32_e32 vcc, 32, v2
	v_cndmask_b32_e32 v1, 0, v1, vcc
	v_cndmask_b32_e32 v0, 3, v0, vcc
	v_cmp_ne_u64_e32 vcc, 0, v[0:1]
	v_cmp_ne_u32_e64 s[28:29], 0, v2
	s_or_b64 s[28:29], s[28:29], vcc
                                        ; implicit-def: $vgpr30
	s_and_saveexec_b64 s[62:63], s[28:29]
	s_xor_b64 s[28:29], exec, s[62:63]
; %bb.27559:                            ;   in Loop: Header=BB6_25823 Depth=3
	v_min_i32_e32 v1, 31, v2
	v_lshl_or_b32 v1, v1, 2, v7
	v_and_or_b32 v30, v0, 3, v1
                                        ; implicit-def: $vgpr7
; %bb.27560:                            ;   in Loop: Header=BB6_25823 Depth=3
	s_andn2_saveexec_b64 s[28:29], s[28:29]
; %bb.27561:                            ;   in Loop: Header=BB6_25823 Depth=3
	v_mov_b32_e32 v30, v7
; %bb.27562:                            ;   in Loop: Header=BB6_25823 Depth=3
	s_or_b64 exec, exec, s[28:29]
.LBB6_27563:                            ;   in Loop: Header=BB6_25823 Depth=3
	s_or_b64 exec, exec, s[38:39]
                                        ; implicit-def: $vgpr7
.LBB6_27564:                            ;   in Loop: Header=BB6_25823 Depth=3
	s_andn2_saveexec_b64 s[28:29], s[36:37]
; %bb.27565:                            ;   in Loop: Header=BB6_25823 Depth=3
	v_or_b32_e32 v30, 0x7b, v7
; %bb.27566:                            ;   in Loop: Header=BB6_25823 Depth=3
	s_or_b64 exec, exec, s[28:29]
                                        ; implicit-def: $vgpr2
                                        ; implicit-def: $vgpr0_vgpr1
.LBB6_27567:                            ;   in Loop: Header=BB6_25823 Depth=3
	s_andn2_saveexec_b64 s[28:29], s[34:35]
	s_cbranch_execz .LBB6_27573
; %bb.27568:                            ;   in Loop: Header=BB6_25823 Depth=3
	v_cmp_ne_u64_e32 vcc, 0, v[0:1]
                                        ; implicit-def: $vgpr30
	s_and_saveexec_b64 s[62:63], vcc
	s_xor_b64 vcc, exec, s[62:63]
; %bb.27569:                            ;   in Loop: Header=BB6_25823 Depth=3
	v_or_b32_sdwa v30, v2, s44 dst_sel:DWORD dst_unused:UNUSED_PAD src0_sel:BYTE_3 src1_sel:DWORD
                                        ; implicit-def: $vgpr2
; %bb.27570:                            ;   in Loop: Header=BB6_25823 Depth=3
	s_andn2_saveexec_b64 s[34:35], vcc
; %bb.27571:                            ;   in Loop: Header=BB6_25823 Depth=3
	v_cmp_lt_i32_e32 vcc, -1, v2
	v_mov_b32_e32 v0, 0x7c
	v_cndmask_b32_e32 v30, -4, v0, vcc
; %bb.27572:                            ;   in Loop: Header=BB6_25823 Depth=3
	s_or_b64 exec, exec, s[34:35]
.LBB6_27573:                            ;   in Loop: Header=BB6_25823 Depth=3
	s_or_b64 exec, exec, s[28:29]
	buffer_load_dword v0, off, s[0:3], s33 offset:188 ; 4-byte Folded Reload
	buffer_load_dword v1, off, s[0:3], s33 offset:192 ; 4-byte Folded Reload
	s_waitcnt vmcnt(0)
	v_mov_b32_e32 v1, 0
	v_and_b32_e32 v7, 0xff, v0
	v_cmp_ne_u16_e32 vcc, 0, v7
	v_mov_b32_e32 v0, 0
	s_and_saveexec_b64 s[28:29], vcc
	s_cbranch_execz .LBB6_27581
; %bb.27574:                            ;   in Loop: Header=BB6_25823 Depth=3
	v_cmp_ne_u16_e32 vcc, s97, v7
	v_bfrev_b32_e32 v1, 1
	s_and_saveexec_b64 s[34:35], vcc
	s_cbranch_execz .LBB6_27580
; %bb.27575:                            ;   in Loop: Header=BB6_25823 Depth=3
	buffer_load_dword v1, off, s[0:3], s33 offset:188 ; 4-byte Folded Reload
	buffer_load_dword v2, off, s[0:3], s33 offset:192 ; 4-byte Folded Reload
	s_waitcnt vmcnt(0)
	v_and_b32_e32 v2, 3, v1
	v_and_b32_e32 v1, 0x7c, v1
	v_cmp_ne_u32_e32 vcc, s86, v1
                                        ; implicit-def: $vgpr1
	s_and_saveexec_b64 s[62:63], vcc
	s_xor_b64 s[36:37], exec, s[62:63]
	s_cbranch_execz .LBB6_27577
; %bb.27576:                            ;   in Loop: Header=BB6_25823 Depth=3
	buffer_load_dword v42, off, s[0:3], s33 offset:188 ; 4-byte Folded Reload
	buffer_load_dword v43, off, s[0:3], s33 offset:192 ; 4-byte Folded Reload
	v_bfe_u32 v1, v7, 2, 5
	v_ffbh_u32_e32 v7, v2
	v_min_u32_e32 v7, 32, v7
	s_waitcnt vmcnt(0)
	v_mov_b32_e32 v43, v33
	v_subrev_u32_e32 v15, 29, v7
	v_sub_u32_e32 v7, 30, v7
	v_cmp_eq_u32_e32 vcc, 0, v1
	v_cndmask_b32_e32 v1, v1, v7, vcc
	v_lshlrev_b32_e32 v7, 24, v42
	v_lshlrev_b64 v[40:41], v15, v[42:43]
	v_and_b32_e32 v7, 0x80000000, v7
	v_and_b32_e32 v15, 3, v40
	v_cndmask_b32_e32 v2, v2, v15, vcc
	v_lshl_add_u32 v1, v1, 23, v7
	v_lshl_or_b32 v1, v2, 21, v1
	v_add_u32_e32 v1, 0x38000000, v1
                                        ; implicit-def: $vgpr7
                                        ; implicit-def: $vgpr2
	buffer_store_dword v7, off, s[0:3], s33 offset:188 ; 4-byte Folded Spill
	s_nop 0
	buffer_store_dword v8, off, s[0:3], s33 offset:192 ; 4-byte Folded Spill
.LBB6_27577:                            ;   in Loop: Header=BB6_25823 Depth=3
	s_andn2_saveexec_b64 s[36:37], s[36:37]
	s_cbranch_execz .LBB6_27579
; %bb.27578:                            ;   in Loop: Header=BB6_25823 Depth=3
	buffer_load_dword v40, off, s[0:3], s33 offset:188 ; 4-byte Folded Reload
	buffer_load_dword v41, off, s[0:3], s33 offset:192 ; 4-byte Folded Reload
	v_mov_b32_e32 v1, -1
	v_mov_b32_e32 v7, 0x7f800000
	s_waitcnt vmcnt(1)
	v_cmp_gt_i16_sdwa vcc, sext(v40), v1 src0_sel:BYTE_0 src1_sel:DWORD
	v_mov_b32_e32 v1, 0xff800000
	v_cndmask_b32_e32 v1, v1, v7, vcc
	v_cmp_eq_u32_e32 vcc, 0, v2
	v_mov_b32_e32 v2, 0x7f800001
	v_cndmask_b32_e32 v1, v2, v1, vcc
.LBB6_27579:                            ;   in Loop: Header=BB6_25823 Depth=3
	s_or_b64 exec, exec, s[36:37]
.LBB6_27580:                            ;   in Loop: Header=BB6_25823 Depth=3
	s_or_b64 exec, exec, s[34:35]
.LBB6_27581:                            ;   in Loop: Header=BB6_25823 Depth=3
	s_or_b64 exec, exec, s[28:29]
	v_cmp_ne_u16_e32 vcc, 0, v28
	s_and_saveexec_b64 s[28:29], vcc
	s_cbranch_execz .LBB6_27589
; %bb.27582:                            ;   in Loop: Header=BB6_25823 Depth=3
	v_cmp_ne_u16_e32 vcc, s46, v28
	v_bfrev_b32_e32 v0, 1
	s_and_saveexec_b64 s[34:35], vcc
	s_cbranch_execz .LBB6_27588
; %bb.27583:                            ;   in Loop: Header=BB6_25823 Depth=3
	v_and_b32_e32 v0, 0x7c, v28
	v_and_b32_e32 v2, 3, v28
	v_cmp_ne_u32_e32 vcc, s86, v0
                                        ; implicit-def: $vgpr0
	s_and_saveexec_b64 s[62:63], vcc
	s_xor_b64 s[36:37], exec, s[62:63]
	s_cbranch_execz .LBB6_27585
; %bb.27584:                            ;   in Loop: Header=BB6_25823 Depth=3
	v_ffbh_u32_e32 v7, v2
	v_min_u32_e32 v7, 32, v7
	v_and_b32_e32 v0, 0xff, v28
	v_mov_b32_e32 v29, v33
	v_subrev_u32_e32 v15, 29, v7
	v_bfe_u32 v0, v0, 2, 5
	s_waitcnt vmcnt(0)
	v_lshlrev_b64 v[40:41], v15, v[28:29]
	v_sub_u32_e32 v7, 30, v7
	v_cmp_eq_u32_e32 vcc, 0, v0
	v_and_b32_e32 v15, 3, v40
	v_cndmask_b32_e32 v0, v0, v7, vcc
	v_and_b32_sdwa v7, sext(v28), s87 dst_sel:DWORD dst_unused:UNUSED_PAD src0_sel:WORD_0 src1_sel:DWORD
	v_cndmask_b32_e32 v2, v2, v15, vcc
	v_lshl_add_u32 v0, v0, 23, v7
	v_lshl_or_b32 v0, v2, 21, v0
	v_add_u32_e32 v0, 0x38000000, v0
                                        ; implicit-def: $vgpr2
                                        ; implicit-def: $vgpr28
.LBB6_27585:                            ;   in Loop: Header=BB6_25823 Depth=3
	s_andn2_saveexec_b64 s[36:37], s[36:37]
; %bb.27586:                            ;   in Loop: Header=BB6_25823 Depth=3
	v_cmp_lt_i16_e32 vcc, -1, v28
	v_mov_b32_e32 v0, 0xff800000
	v_mov_b32_e32 v7, 0x7f800000
	v_cndmask_b32_e32 v0, v0, v7, vcc
	v_cmp_eq_u32_e32 vcc, 0, v2
	v_mov_b32_e32 v2, 0x7f800001
	v_cndmask_b32_e32 v0, v2, v0, vcc
; %bb.27587:                            ;   in Loop: Header=BB6_25823 Depth=3
	s_or_b64 exec, exec, s[36:37]
.LBB6_27588:                            ;   in Loop: Header=BB6_25823 Depth=3
	s_or_b64 exec, exec, s[34:35]
.LBB6_27589:                            ;   in Loop: Header=BB6_25823 Depth=3
	s_or_b64 exec, exec, s[28:29]
	v_add_f32_e32 v2, v1, v0
	v_and_b32_e32 v28, 0x7f800000, v2
	v_mov_b32_e32 v29, v33
	v_cmp_ne_u64_e32 vcc, s[76:77], v[28:29]
	v_and_b32_e32 v0, 0x7fffff, v2
	v_mov_b32_e32 v1, v33
                                        ; implicit-def: $vgpr29
	s_and_saveexec_b64 s[28:29], vcc
	s_xor_b64 s[34:35], exec, s[28:29]
	s_cbranch_execz .LBB6_27607
; %bb.27590:                            ;   in Loop: Header=BB6_25823 Depth=3
	v_and_b32_e32 v28, 0x7fffffff, v2
	v_mov_b32_e32 v29, v33
	v_cmp_gt_u64_e32 vcc, s[78:79], v[28:29]
	v_and_b32_sdwa v7, v2, s97 dst_sel:DWORD dst_unused:UNUSED_PAD src0_sel:BYTE_3 src1_sel:DWORD
                                        ; implicit-def: $vgpr29
	s_and_saveexec_b64 s[28:29], vcc
	s_xor_b64 s[36:37], exec, s[28:29]
	s_cbranch_execz .LBB6_27604
; %bb.27591:                            ;   in Loop: Header=BB6_25823 Depth=3
	v_cmp_ne_u32_e32 vcc, 0, v2
	v_mov_b32_e32 v29, 0
	s_and_saveexec_b64 s[38:39], vcc
	s_cbranch_execz .LBB6_27603
; %bb.27592:                            ;   in Loop: Header=BB6_25823 Depth=3
	v_bfe_u32 v15, v2, 23, 8
	v_cmp_gt_u32_e64 s[28:29], s47, v15
	v_sub_u32_e32 v2, 0x71, v15
	v_cmp_eq_u32_e32 vcc, 0, v15
	v_cndmask_b32_e64 v2, 0, v2, s[28:29]
	v_mov_b32_e32 v23, 0x70
	v_cndmask_b32_e32 v23, v2, v23, vcc
	v_add_u32_e32 v2, 21, v23
	v_or_b32_e32 v25, 0x800000, v0
	v_lshlrev_b64 v[28:29], v2, -1
	v_cndmask_b32_e32 v0, v25, v0, vcc
	v_add_u32_e32 v2, 20, v23
	v_bfi_b32 v28, v28, 0, v0
	s_waitcnt vmcnt(0)
	v_lshlrev_b64 v[40:41], v2, 1
	v_lshrrev_b64 v[0:1], v23, v[0:1]
	v_bfi_b32 v29, v29, 0, 0
	v_cmp_eq_u64_e64 s[28:29], v[28:29], v[40:41]
	v_mov_b32_e32 v2, v1
	v_mov_b32_e32 v1, v0
	s_and_saveexec_b64 s[48:49], s[28:29]
; %bb.27593:                            ;   in Loop: Header=BB6_25823 Depth=3
	v_bfe_u32 v1, v0, 21, 1
	v_add_co_u32_e64 v1, s[28:29], v0, v1
	v_add_co_u32_e64 v1, s[28:29], -1, v1
; %bb.27594:                            ;   in Loop: Header=BB6_25823 Depth=3
	s_or_b64 exec, exec, s[48:49]
	v_add_u32_e32 v2, 0xffffff81, v15
	v_mov_b32_e32 v15, 0xffffff82
	v_cndmask_b32_e32 v2, v2, v15, vcc
	v_lshrrev_b32_e32 v15, 23, v0
	v_add3_u32 v23, v23, v2, v15
	v_add_u32_e32 v15, 14, v23
	v_and_b32_e32 v1, 0x1fffff, v1
	v_add_u32_e32 v0, v1, v0
	v_mov_b32_e32 v1, v33
	v_cmp_ne_u32_e32 vcc, 0, v15
                                        ; implicit-def: $vgpr2
	s_and_saveexec_b64 s[28:29], vcc
	s_xor_b64 s[28:29], exec, s[28:29]
; %bb.27595:                            ;   in Loop: Header=BB6_25823 Depth=3
	v_cmp_lt_u64_e32 vcc, s[88:89], v[0:1]
	v_add_u32_e32 v2, 15, v23
	v_cndmask_b32_e32 v2, v15, v2, vcc
	v_cndmask_b32_e64 v15, 0, 1, vcc
	v_lshrrev_b64 v[0:1], v15, v[0:1]
; %bb.27596:                            ;   in Loop: Header=BB6_25823 Depth=3
	s_andn2_saveexec_b64 s[28:29], s[28:29]
; %bb.27597:                            ;   in Loop: Header=BB6_25823 Depth=3
	v_bfe_u32 v2, v0, 23, 1
; %bb.27598:                            ;   in Loop: Header=BB6_25823 Depth=3
	s_or_b64 exec, exec, s[28:29]
	v_lshrrev_b64 v[0:1], 21, v[0:1]
	v_cmp_gt_i32_e32 vcc, 32, v2
	v_cndmask_b32_e32 v1, 0, v1, vcc
	v_cndmask_b32_e32 v0, 3, v0, vcc
	v_cmp_ne_u64_e32 vcc, 0, v[0:1]
	v_cmp_ne_u32_e64 s[28:29], 0, v2
	s_or_b64 s[28:29], s[28:29], vcc
                                        ; implicit-def: $vgpr29
	s_and_saveexec_b64 s[62:63], s[28:29]
	s_xor_b64 s[28:29], exec, s[62:63]
; %bb.27599:                            ;   in Loop: Header=BB6_25823 Depth=3
	v_min_i32_e32 v1, 31, v2
	v_lshl_or_b32 v1, v1, 2, v7
	v_and_or_b32 v29, v0, 3, v1
                                        ; implicit-def: $vgpr7
; %bb.27600:                            ;   in Loop: Header=BB6_25823 Depth=3
	s_andn2_saveexec_b64 s[28:29], s[28:29]
; %bb.27601:                            ;   in Loop: Header=BB6_25823 Depth=3
	v_mov_b32_e32 v29, v7
; %bb.27602:                            ;   in Loop: Header=BB6_25823 Depth=3
	s_or_b64 exec, exec, s[28:29]
.LBB6_27603:                            ;   in Loop: Header=BB6_25823 Depth=3
	s_or_b64 exec, exec, s[38:39]
                                        ; implicit-def: $vgpr7
.LBB6_27604:                            ;   in Loop: Header=BB6_25823 Depth=3
	s_andn2_saveexec_b64 s[28:29], s[36:37]
; %bb.27605:                            ;   in Loop: Header=BB6_25823 Depth=3
	v_or_b32_e32 v29, 0x7b, v7
; %bb.27606:                            ;   in Loop: Header=BB6_25823 Depth=3
	s_or_b64 exec, exec, s[28:29]
                                        ; implicit-def: $vgpr2
                                        ; implicit-def: $vgpr0_vgpr1
.LBB6_27607:                            ;   in Loop: Header=BB6_25823 Depth=3
	s_andn2_saveexec_b64 s[28:29], s[34:35]
	s_cbranch_execz .LBB6_27613
; %bb.27608:                            ;   in Loop: Header=BB6_25823 Depth=3
	v_cmp_ne_u64_e32 vcc, 0, v[0:1]
                                        ; implicit-def: $vgpr29
	s_and_saveexec_b64 s[62:63], vcc
	s_xor_b64 vcc, exec, s[62:63]
; %bb.27609:                            ;   in Loop: Header=BB6_25823 Depth=3
	v_or_b32_sdwa v29, v2, s44 dst_sel:DWORD dst_unused:UNUSED_PAD src0_sel:BYTE_3 src1_sel:DWORD
                                        ; implicit-def: $vgpr2
; %bb.27610:                            ;   in Loop: Header=BB6_25823 Depth=3
	s_andn2_saveexec_b64 s[34:35], vcc
; %bb.27611:                            ;   in Loop: Header=BB6_25823 Depth=3
	v_cmp_lt_i32_e32 vcc, -1, v2
	v_mov_b32_e32 v0, 0x7c
	v_cndmask_b32_e32 v29, -4, v0, vcc
; %bb.27612:                            ;   in Loop: Header=BB6_25823 Depth=3
	s_or_b64 exec, exec, s[34:35]
.LBB6_27613:                            ;   in Loop: Header=BB6_25823 Depth=3
	s_or_b64 exec, exec, s[28:29]
	buffer_load_dword v0, off, s[0:3], s33 offset:180 ; 4-byte Folded Reload
	buffer_load_dword v1, off, s[0:3], s33 offset:184 ; 4-byte Folded Reload
	s_waitcnt vmcnt(0)
	v_mov_b32_e32 v1, 0
	v_and_b32_e32 v7, 0xff, v0
	v_cmp_ne_u16_e32 vcc, 0, v7
	v_mov_b32_e32 v0, 0
	s_and_saveexec_b64 s[28:29], vcc
	s_cbranch_execz .LBB6_27621
; %bb.27614:                            ;   in Loop: Header=BB6_25823 Depth=3
	v_cmp_ne_u16_e32 vcc, s97, v7
	v_bfrev_b32_e32 v1, 1
	s_and_saveexec_b64 s[34:35], vcc
	s_cbranch_execz .LBB6_27620
; %bb.27615:                            ;   in Loop: Header=BB6_25823 Depth=3
	buffer_load_dword v1, off, s[0:3], s33 offset:180 ; 4-byte Folded Reload
	buffer_load_dword v2, off, s[0:3], s33 offset:184 ; 4-byte Folded Reload
	s_waitcnt vmcnt(0)
	v_and_b32_e32 v2, 3, v1
	v_and_b32_e32 v1, 0x7c, v1
	v_cmp_ne_u32_e32 vcc, s86, v1
                                        ; implicit-def: $vgpr1
	s_and_saveexec_b64 s[62:63], vcc
	s_xor_b64 s[36:37], exec, s[62:63]
	s_cbranch_execz .LBB6_27617
; %bb.27616:                            ;   in Loop: Header=BB6_25823 Depth=3
	buffer_load_dword v42, off, s[0:3], s33 offset:180 ; 4-byte Folded Reload
	buffer_load_dword v43, off, s[0:3], s33 offset:184 ; 4-byte Folded Reload
	v_bfe_u32 v1, v7, 2, 5
	v_ffbh_u32_e32 v7, v2
	v_min_u32_e32 v7, 32, v7
	s_waitcnt vmcnt(0)
	v_mov_b32_e32 v43, v33
	v_subrev_u32_e32 v15, 29, v7
	v_sub_u32_e32 v7, 30, v7
	v_cmp_eq_u32_e32 vcc, 0, v1
	v_cndmask_b32_e32 v1, v1, v7, vcc
	v_lshlrev_b32_e32 v7, 24, v42
	v_lshlrev_b64 v[40:41], v15, v[42:43]
	v_and_b32_e32 v7, 0x80000000, v7
	v_and_b32_e32 v15, 3, v40
	v_cndmask_b32_e32 v2, v2, v15, vcc
	v_lshl_add_u32 v1, v1, 23, v7
	v_lshl_or_b32 v1, v2, 21, v1
	v_add_u32_e32 v1, 0x38000000, v1
                                        ; implicit-def: $vgpr7
                                        ; implicit-def: $vgpr2
	buffer_store_dword v7, off, s[0:3], s33 offset:180 ; 4-byte Folded Spill
	s_nop 0
	buffer_store_dword v8, off, s[0:3], s33 offset:184 ; 4-byte Folded Spill
.LBB6_27617:                            ;   in Loop: Header=BB6_25823 Depth=3
	s_andn2_saveexec_b64 s[36:37], s[36:37]
	s_cbranch_execz .LBB6_27619
; %bb.27618:                            ;   in Loop: Header=BB6_25823 Depth=3
	buffer_load_dword v40, off, s[0:3], s33 offset:180 ; 4-byte Folded Reload
	buffer_load_dword v41, off, s[0:3], s33 offset:184 ; 4-byte Folded Reload
	v_mov_b32_e32 v1, -1
	v_mov_b32_e32 v7, 0x7f800000
	s_waitcnt vmcnt(1)
	v_cmp_gt_i16_sdwa vcc, sext(v40), v1 src0_sel:BYTE_0 src1_sel:DWORD
	v_mov_b32_e32 v1, 0xff800000
	v_cndmask_b32_e32 v1, v1, v7, vcc
	v_cmp_eq_u32_e32 vcc, 0, v2
	v_mov_b32_e32 v2, 0x7f800001
	v_cndmask_b32_e32 v1, v2, v1, vcc
.LBB6_27619:                            ;   in Loop: Header=BB6_25823 Depth=3
	s_or_b64 exec, exec, s[36:37]
.LBB6_27620:                            ;   in Loop: Header=BB6_25823 Depth=3
	s_or_b64 exec, exec, s[34:35]
.LBB6_27621:                            ;   in Loop: Header=BB6_25823 Depth=3
	s_or_b64 exec, exec, s[28:29]
	v_cmp_ne_u16_e32 vcc, 0, v27
	s_and_saveexec_b64 s[28:29], vcc
	s_cbranch_execz .LBB6_27629
; %bb.27622:                            ;   in Loop: Header=BB6_25823 Depth=3
	v_cmp_ne_u16_e32 vcc, s46, v27
	v_bfrev_b32_e32 v0, 1
	s_and_saveexec_b64 s[34:35], vcc
	s_cbranch_execz .LBB6_27628
; %bb.27623:                            ;   in Loop: Header=BB6_25823 Depth=3
	v_and_b32_e32 v0, 0x7c, v27
	v_and_b32_e32 v2, 3, v27
	v_cmp_ne_u32_e32 vcc, s86, v0
                                        ; implicit-def: $vgpr0
	s_and_saveexec_b64 s[62:63], vcc
	s_xor_b64 s[36:37], exec, s[62:63]
	s_cbranch_execz .LBB6_27625
; %bb.27624:                            ;   in Loop: Header=BB6_25823 Depth=3
	v_ffbh_u32_e32 v7, v2
	v_min_u32_e32 v7, 32, v7
	v_and_b32_e32 v0, 0xff, v27
	v_mov_b32_e32 v28, v33
	v_subrev_u32_e32 v15, 29, v7
	v_bfe_u32 v0, v0, 2, 5
	s_waitcnt vmcnt(0)
	v_lshlrev_b64 v[40:41], v15, v[27:28]
	v_sub_u32_e32 v7, 30, v7
	v_cmp_eq_u32_e32 vcc, 0, v0
	v_and_b32_e32 v15, 3, v40
	v_cndmask_b32_e32 v0, v0, v7, vcc
	v_and_b32_sdwa v7, sext(v27), s87 dst_sel:DWORD dst_unused:UNUSED_PAD src0_sel:WORD_0 src1_sel:DWORD
	v_cndmask_b32_e32 v2, v2, v15, vcc
	v_lshl_add_u32 v0, v0, 23, v7
	v_lshl_or_b32 v0, v2, 21, v0
	v_add_u32_e32 v0, 0x38000000, v0
                                        ; implicit-def: $vgpr2
                                        ; implicit-def: $vgpr27
.LBB6_27625:                            ;   in Loop: Header=BB6_25823 Depth=3
	s_andn2_saveexec_b64 s[36:37], s[36:37]
; %bb.27626:                            ;   in Loop: Header=BB6_25823 Depth=3
	v_cmp_lt_i16_e32 vcc, -1, v27
	v_mov_b32_e32 v0, 0xff800000
	v_mov_b32_e32 v7, 0x7f800000
	v_cndmask_b32_e32 v0, v0, v7, vcc
	v_cmp_eq_u32_e32 vcc, 0, v2
	v_mov_b32_e32 v2, 0x7f800001
	v_cndmask_b32_e32 v0, v2, v0, vcc
; %bb.27627:                            ;   in Loop: Header=BB6_25823 Depth=3
	s_or_b64 exec, exec, s[36:37]
.LBB6_27628:                            ;   in Loop: Header=BB6_25823 Depth=3
	s_or_b64 exec, exec, s[34:35]
.LBB6_27629:                            ;   in Loop: Header=BB6_25823 Depth=3
	s_or_b64 exec, exec, s[28:29]
	v_add_f32_e32 v2, v1, v0
	v_and_b32_e32 v27, 0x7f800000, v2
	v_mov_b32_e32 v28, v33
	v_cmp_ne_u64_e32 vcc, s[76:77], v[27:28]
	v_and_b32_e32 v0, 0x7fffff, v2
	v_mov_b32_e32 v1, v33
                                        ; implicit-def: $vgpr28
	s_and_saveexec_b64 s[28:29], vcc
	s_xor_b64 s[34:35], exec, s[28:29]
	s_cbranch_execz .LBB6_27647
; %bb.27630:                            ;   in Loop: Header=BB6_25823 Depth=3
	v_and_b32_e32 v27, 0x7fffffff, v2
	v_mov_b32_e32 v28, v33
	v_cmp_gt_u64_e32 vcc, s[78:79], v[27:28]
	v_and_b32_sdwa v7, v2, s97 dst_sel:DWORD dst_unused:UNUSED_PAD src0_sel:BYTE_3 src1_sel:DWORD
                                        ; implicit-def: $vgpr28
	s_and_saveexec_b64 s[28:29], vcc
	s_xor_b64 s[36:37], exec, s[28:29]
	s_cbranch_execz .LBB6_27644
; %bb.27631:                            ;   in Loop: Header=BB6_25823 Depth=3
	v_cmp_ne_u32_e32 vcc, 0, v2
	v_mov_b32_e32 v28, 0
	s_and_saveexec_b64 s[38:39], vcc
	s_cbranch_execz .LBB6_27643
; %bb.27632:                            ;   in Loop: Header=BB6_25823 Depth=3
	v_bfe_u32 v15, v2, 23, 8
	v_cmp_gt_u32_e64 s[28:29], s47, v15
	v_sub_u32_e32 v2, 0x71, v15
	v_cmp_eq_u32_e32 vcc, 0, v15
	v_cndmask_b32_e64 v2, 0, v2, s[28:29]
	v_mov_b32_e32 v23, 0x70
	v_cndmask_b32_e32 v23, v2, v23, vcc
	v_add_u32_e32 v2, 21, v23
	v_or_b32_e32 v25, 0x800000, v0
	v_lshlrev_b64 v[27:28], v2, -1
	v_cndmask_b32_e32 v0, v25, v0, vcc
	v_add_u32_e32 v2, 20, v23
	v_bfi_b32 v27, v27, 0, v0
	s_waitcnt vmcnt(0)
	v_lshlrev_b64 v[40:41], v2, 1
	v_lshrrev_b64 v[0:1], v23, v[0:1]
	v_bfi_b32 v28, v28, 0, 0
	v_cmp_eq_u64_e64 s[28:29], v[27:28], v[40:41]
	v_mov_b32_e32 v2, v1
	v_mov_b32_e32 v1, v0
	s_and_saveexec_b64 s[48:49], s[28:29]
; %bb.27633:                            ;   in Loop: Header=BB6_25823 Depth=3
	v_bfe_u32 v1, v0, 21, 1
	v_add_co_u32_e64 v1, s[28:29], v0, v1
	v_add_co_u32_e64 v1, s[28:29], -1, v1
; %bb.27634:                            ;   in Loop: Header=BB6_25823 Depth=3
	s_or_b64 exec, exec, s[48:49]
	v_add_u32_e32 v2, 0xffffff81, v15
	v_mov_b32_e32 v15, 0xffffff82
	v_cndmask_b32_e32 v2, v2, v15, vcc
	v_lshrrev_b32_e32 v15, 23, v0
	v_add3_u32 v23, v23, v2, v15
	v_add_u32_e32 v15, 14, v23
	v_and_b32_e32 v1, 0x1fffff, v1
	v_add_u32_e32 v0, v1, v0
	v_mov_b32_e32 v1, v33
	v_cmp_ne_u32_e32 vcc, 0, v15
                                        ; implicit-def: $vgpr2
	s_and_saveexec_b64 s[28:29], vcc
	s_xor_b64 s[28:29], exec, s[28:29]
; %bb.27635:                            ;   in Loop: Header=BB6_25823 Depth=3
	v_cmp_lt_u64_e32 vcc, s[88:89], v[0:1]
	v_add_u32_e32 v2, 15, v23
	v_cndmask_b32_e32 v2, v15, v2, vcc
	v_cndmask_b32_e64 v15, 0, 1, vcc
	v_lshrrev_b64 v[0:1], v15, v[0:1]
; %bb.27636:                            ;   in Loop: Header=BB6_25823 Depth=3
	s_andn2_saveexec_b64 s[28:29], s[28:29]
; %bb.27637:                            ;   in Loop: Header=BB6_25823 Depth=3
	v_bfe_u32 v2, v0, 23, 1
; %bb.27638:                            ;   in Loop: Header=BB6_25823 Depth=3
	s_or_b64 exec, exec, s[28:29]
	v_lshrrev_b64 v[0:1], 21, v[0:1]
	v_cmp_gt_i32_e32 vcc, 32, v2
	v_cndmask_b32_e32 v1, 0, v1, vcc
	v_cndmask_b32_e32 v0, 3, v0, vcc
	v_cmp_ne_u64_e32 vcc, 0, v[0:1]
	v_cmp_ne_u32_e64 s[28:29], 0, v2
	s_or_b64 s[28:29], s[28:29], vcc
                                        ; implicit-def: $vgpr28
	s_and_saveexec_b64 s[62:63], s[28:29]
	s_xor_b64 s[28:29], exec, s[62:63]
; %bb.27639:                            ;   in Loop: Header=BB6_25823 Depth=3
	v_min_i32_e32 v1, 31, v2
	v_lshl_or_b32 v1, v1, 2, v7
	v_and_or_b32 v28, v0, 3, v1
                                        ; implicit-def: $vgpr7
; %bb.27640:                            ;   in Loop: Header=BB6_25823 Depth=3
	s_andn2_saveexec_b64 s[28:29], s[28:29]
; %bb.27641:                            ;   in Loop: Header=BB6_25823 Depth=3
	v_mov_b32_e32 v28, v7
; %bb.27642:                            ;   in Loop: Header=BB6_25823 Depth=3
	s_or_b64 exec, exec, s[28:29]
.LBB6_27643:                            ;   in Loop: Header=BB6_25823 Depth=3
	s_or_b64 exec, exec, s[38:39]
                                        ; implicit-def: $vgpr7
.LBB6_27644:                            ;   in Loop: Header=BB6_25823 Depth=3
	s_andn2_saveexec_b64 s[28:29], s[36:37]
; %bb.27645:                            ;   in Loop: Header=BB6_25823 Depth=3
	v_or_b32_e32 v28, 0x7b, v7
; %bb.27646:                            ;   in Loop: Header=BB6_25823 Depth=3
	s_or_b64 exec, exec, s[28:29]
                                        ; implicit-def: $vgpr2
                                        ; implicit-def: $vgpr0_vgpr1
.LBB6_27647:                            ;   in Loop: Header=BB6_25823 Depth=3
	s_andn2_saveexec_b64 s[28:29], s[34:35]
	s_cbranch_execz .LBB6_27653
; %bb.27648:                            ;   in Loop: Header=BB6_25823 Depth=3
	v_cmp_ne_u64_e32 vcc, 0, v[0:1]
                                        ; implicit-def: $vgpr28
	s_and_saveexec_b64 s[62:63], vcc
	s_xor_b64 vcc, exec, s[62:63]
; %bb.27649:                            ;   in Loop: Header=BB6_25823 Depth=3
	v_or_b32_sdwa v28, v2, s44 dst_sel:DWORD dst_unused:UNUSED_PAD src0_sel:BYTE_3 src1_sel:DWORD
                                        ; implicit-def: $vgpr2
; %bb.27650:                            ;   in Loop: Header=BB6_25823 Depth=3
	s_andn2_saveexec_b64 s[34:35], vcc
; %bb.27651:                            ;   in Loop: Header=BB6_25823 Depth=3
	v_cmp_lt_i32_e32 vcc, -1, v2
	v_mov_b32_e32 v0, 0x7c
	v_cndmask_b32_e32 v28, -4, v0, vcc
; %bb.27652:                            ;   in Loop: Header=BB6_25823 Depth=3
	s_or_b64 exec, exec, s[34:35]
.LBB6_27653:                            ;   in Loop: Header=BB6_25823 Depth=3
	s_or_b64 exec, exec, s[28:29]
	buffer_load_dword v0, off, s[0:3], s33 offset:172 ; 4-byte Folded Reload
	buffer_load_dword v1, off, s[0:3], s33 offset:176 ; 4-byte Folded Reload
	s_waitcnt vmcnt(0)
	v_mov_b32_e32 v1, 0
	v_and_b32_e32 v7, 0xff, v0
	v_cmp_ne_u16_e32 vcc, 0, v7
	v_mov_b32_e32 v0, 0
	s_and_saveexec_b64 s[28:29], vcc
	s_cbranch_execz .LBB6_27661
; %bb.27654:                            ;   in Loop: Header=BB6_25823 Depth=3
	v_cmp_ne_u16_e32 vcc, s97, v7
	v_bfrev_b32_e32 v1, 1
	s_and_saveexec_b64 s[34:35], vcc
	s_cbranch_execz .LBB6_27660
; %bb.27655:                            ;   in Loop: Header=BB6_25823 Depth=3
	buffer_load_dword v1, off, s[0:3], s33 offset:172 ; 4-byte Folded Reload
	buffer_load_dword v2, off, s[0:3], s33 offset:176 ; 4-byte Folded Reload
	s_waitcnt vmcnt(0)
	v_and_b32_e32 v2, 3, v1
	v_and_b32_e32 v1, 0x7c, v1
	v_cmp_ne_u32_e32 vcc, s86, v1
                                        ; implicit-def: $vgpr1
	s_and_saveexec_b64 s[62:63], vcc
	s_xor_b64 s[36:37], exec, s[62:63]
	s_cbranch_execz .LBB6_27657
; %bb.27656:                            ;   in Loop: Header=BB6_25823 Depth=3
	buffer_load_dword v42, off, s[0:3], s33 offset:172 ; 4-byte Folded Reload
	buffer_load_dword v43, off, s[0:3], s33 offset:176 ; 4-byte Folded Reload
	v_bfe_u32 v1, v7, 2, 5
	v_ffbh_u32_e32 v7, v2
	v_min_u32_e32 v7, 32, v7
	s_waitcnt vmcnt(0)
	v_mov_b32_e32 v43, v33
	v_subrev_u32_e32 v15, 29, v7
	v_sub_u32_e32 v7, 30, v7
	v_cmp_eq_u32_e32 vcc, 0, v1
	v_cndmask_b32_e32 v1, v1, v7, vcc
	v_lshlrev_b32_e32 v7, 24, v42
	v_lshlrev_b64 v[40:41], v15, v[42:43]
	v_and_b32_e32 v7, 0x80000000, v7
	v_and_b32_e32 v15, 3, v40
	v_cndmask_b32_e32 v2, v2, v15, vcc
	v_lshl_add_u32 v1, v1, 23, v7
	v_lshl_or_b32 v1, v2, 21, v1
	v_add_u32_e32 v1, 0x38000000, v1
                                        ; implicit-def: $vgpr7
                                        ; implicit-def: $vgpr2
	buffer_store_dword v7, off, s[0:3], s33 offset:172 ; 4-byte Folded Spill
	s_nop 0
	buffer_store_dword v8, off, s[0:3], s33 offset:176 ; 4-byte Folded Spill
.LBB6_27657:                            ;   in Loop: Header=BB6_25823 Depth=3
	s_andn2_saveexec_b64 s[36:37], s[36:37]
	s_cbranch_execz .LBB6_27659
; %bb.27658:                            ;   in Loop: Header=BB6_25823 Depth=3
	buffer_load_dword v40, off, s[0:3], s33 offset:172 ; 4-byte Folded Reload
	buffer_load_dword v41, off, s[0:3], s33 offset:176 ; 4-byte Folded Reload
	v_mov_b32_e32 v1, -1
	v_mov_b32_e32 v7, 0x7f800000
	s_waitcnt vmcnt(1)
	v_cmp_gt_i16_sdwa vcc, sext(v40), v1 src0_sel:BYTE_0 src1_sel:DWORD
	v_mov_b32_e32 v1, 0xff800000
	v_cndmask_b32_e32 v1, v1, v7, vcc
	v_cmp_eq_u32_e32 vcc, 0, v2
	v_mov_b32_e32 v2, 0x7f800001
	v_cndmask_b32_e32 v1, v2, v1, vcc
.LBB6_27659:                            ;   in Loop: Header=BB6_25823 Depth=3
	s_or_b64 exec, exec, s[36:37]
.LBB6_27660:                            ;   in Loop: Header=BB6_25823 Depth=3
	s_or_b64 exec, exec, s[34:35]
.LBB6_27661:                            ;   in Loop: Header=BB6_25823 Depth=3
	s_or_b64 exec, exec, s[28:29]
	v_cmp_ne_u16_e32 vcc, 0, v22
	s_and_saveexec_b64 s[28:29], vcc
	s_cbranch_execz .LBB6_27669
; %bb.27662:                            ;   in Loop: Header=BB6_25823 Depth=3
	v_cmp_ne_u16_e32 vcc, s46, v22
	v_bfrev_b32_e32 v0, 1
	s_and_saveexec_b64 s[34:35], vcc
	s_cbranch_execz .LBB6_27668
; %bb.27663:                            ;   in Loop: Header=BB6_25823 Depth=3
	v_and_b32_e32 v0, 0x7c, v22
	v_and_b32_e32 v2, 3, v22
	v_cmp_ne_u32_e32 vcc, s86, v0
                                        ; implicit-def: $vgpr0
	s_and_saveexec_b64 s[62:63], vcc
	s_xor_b64 s[36:37], exec, s[62:63]
	s_cbranch_execz .LBB6_27665
; %bb.27664:                            ;   in Loop: Header=BB6_25823 Depth=3
	v_ffbh_u32_e32 v7, v2
	v_min_u32_e32 v7, 32, v7
	v_and_b32_e32 v0, 0xff, v22
	v_mov_b32_e32 v23, v33
	v_subrev_u32_e32 v15, 29, v7
	v_bfe_u32 v0, v0, 2, 5
	s_waitcnt vmcnt(0)
	v_lshlrev_b64 v[40:41], v15, v[22:23]
	v_sub_u32_e32 v7, 30, v7
	v_cmp_eq_u32_e32 vcc, 0, v0
	v_and_b32_e32 v15, 3, v40
	v_cndmask_b32_e32 v0, v0, v7, vcc
	v_and_b32_sdwa v7, sext(v22), s87 dst_sel:DWORD dst_unused:UNUSED_PAD src0_sel:WORD_0 src1_sel:DWORD
	v_cndmask_b32_e32 v2, v2, v15, vcc
	v_lshl_add_u32 v0, v0, 23, v7
	v_lshl_or_b32 v0, v2, 21, v0
	v_add_u32_e32 v0, 0x38000000, v0
                                        ; implicit-def: $vgpr2
                                        ; implicit-def: $vgpr22
.LBB6_27665:                            ;   in Loop: Header=BB6_25823 Depth=3
	s_andn2_saveexec_b64 s[36:37], s[36:37]
; %bb.27666:                            ;   in Loop: Header=BB6_25823 Depth=3
	v_cmp_lt_i16_e32 vcc, -1, v22
	v_mov_b32_e32 v0, 0xff800000
	v_mov_b32_e32 v7, 0x7f800000
	v_cndmask_b32_e32 v0, v0, v7, vcc
	v_cmp_eq_u32_e32 vcc, 0, v2
	v_mov_b32_e32 v2, 0x7f800001
	v_cndmask_b32_e32 v0, v2, v0, vcc
; %bb.27667:                            ;   in Loop: Header=BB6_25823 Depth=3
	s_or_b64 exec, exec, s[36:37]
.LBB6_27668:                            ;   in Loop: Header=BB6_25823 Depth=3
	s_or_b64 exec, exec, s[34:35]
.LBB6_27669:                            ;   in Loop: Header=BB6_25823 Depth=3
	s_or_b64 exec, exec, s[28:29]
	v_add_f32_e32 v2, v1, v0
	v_and_b32_e32 v22, 0x7f800000, v2
	v_mov_b32_e32 v23, v33
	v_cmp_ne_u64_e32 vcc, s[76:77], v[22:23]
	v_and_b32_e32 v0, 0x7fffff, v2
	v_mov_b32_e32 v1, v33
                                        ; implicit-def: $vgpr23
	s_and_saveexec_b64 s[28:29], vcc
	s_xor_b64 s[34:35], exec, s[28:29]
	s_cbranch_execz .LBB6_27687
; %bb.27670:                            ;   in Loop: Header=BB6_25823 Depth=3
	v_and_b32_e32 v22, 0x7fffffff, v2
	v_mov_b32_e32 v23, v33
	v_cmp_gt_u64_e32 vcc, s[78:79], v[22:23]
	v_and_b32_sdwa v7, v2, s97 dst_sel:DWORD dst_unused:UNUSED_PAD src0_sel:BYTE_3 src1_sel:DWORD
                                        ; implicit-def: $vgpr23
	s_and_saveexec_b64 s[28:29], vcc
	s_xor_b64 s[36:37], exec, s[28:29]
	s_cbranch_execz .LBB6_27684
; %bb.27671:                            ;   in Loop: Header=BB6_25823 Depth=3
	v_cmp_ne_u32_e32 vcc, 0, v2
	v_mov_b32_e32 v23, 0
	s_and_saveexec_b64 s[38:39], vcc
	s_cbranch_execz .LBB6_27683
; %bb.27672:                            ;   in Loop: Header=BB6_25823 Depth=3
	v_bfe_u32 v15, v2, 23, 8
	v_cmp_gt_u32_e64 s[28:29], s47, v15
	v_sub_u32_e32 v2, 0x71, v15
	v_cmp_eq_u32_e32 vcc, 0, v15
	v_cndmask_b32_e64 v2, 0, v2, s[28:29]
	v_mov_b32_e32 v22, 0x70
	v_cndmask_b32_e32 v22, v2, v22, vcc
	v_add_u32_e32 v2, 21, v22
	v_or_b32_e32 v23, 0x800000, v0
	s_waitcnt vmcnt(0)
	v_lshlrev_b64 v[40:41], v2, -1
	v_cndmask_b32_e32 v0, v23, v0, vcc
	v_add_u32_e32 v2, 20, v22
	v_bfi_b32 v40, v40, 0, v0
	v_lshlrev_b64 v[42:43], v2, 1
	v_lshrrev_b64 v[0:1], v22, v[0:1]
	v_bfi_b32 v41, v41, 0, 0
	v_cmp_eq_u64_e64 s[28:29], v[40:41], v[42:43]
	v_mov_b32_e32 v2, v1
	v_mov_b32_e32 v1, v0
	s_and_saveexec_b64 s[48:49], s[28:29]
; %bb.27673:                            ;   in Loop: Header=BB6_25823 Depth=3
	v_bfe_u32 v1, v0, 21, 1
	v_add_co_u32_e64 v1, s[28:29], v0, v1
	v_add_co_u32_e64 v1, s[28:29], -1, v1
; %bb.27674:                            ;   in Loop: Header=BB6_25823 Depth=3
	s_or_b64 exec, exec, s[48:49]
	v_add_u32_e32 v2, 0xffffff81, v15
	v_mov_b32_e32 v15, 0xffffff82
	v_cndmask_b32_e32 v2, v2, v15, vcc
	v_lshrrev_b32_e32 v15, 23, v0
	v_add3_u32 v22, v22, v2, v15
	v_add_u32_e32 v15, 14, v22
	v_and_b32_e32 v1, 0x1fffff, v1
	v_add_u32_e32 v0, v1, v0
	v_mov_b32_e32 v1, v33
	v_cmp_ne_u32_e32 vcc, 0, v15
                                        ; implicit-def: $vgpr2
	s_and_saveexec_b64 s[28:29], vcc
	s_xor_b64 s[28:29], exec, s[28:29]
; %bb.27675:                            ;   in Loop: Header=BB6_25823 Depth=3
	v_cmp_lt_u64_e32 vcc, s[88:89], v[0:1]
	v_add_u32_e32 v2, 15, v22
	v_cndmask_b32_e32 v2, v15, v2, vcc
	v_cndmask_b32_e64 v15, 0, 1, vcc
	v_lshrrev_b64 v[0:1], v15, v[0:1]
; %bb.27676:                            ;   in Loop: Header=BB6_25823 Depth=3
	s_andn2_saveexec_b64 s[28:29], s[28:29]
; %bb.27677:                            ;   in Loop: Header=BB6_25823 Depth=3
	v_bfe_u32 v2, v0, 23, 1
; %bb.27678:                            ;   in Loop: Header=BB6_25823 Depth=3
	s_or_b64 exec, exec, s[28:29]
	v_lshrrev_b64 v[0:1], 21, v[0:1]
	v_cmp_gt_i32_e32 vcc, 32, v2
	v_cndmask_b32_e32 v1, 0, v1, vcc
	v_cndmask_b32_e32 v0, 3, v0, vcc
	v_cmp_ne_u64_e32 vcc, 0, v[0:1]
	v_cmp_ne_u32_e64 s[28:29], 0, v2
	s_or_b64 s[28:29], s[28:29], vcc
                                        ; implicit-def: $vgpr23
	s_and_saveexec_b64 s[62:63], s[28:29]
	s_xor_b64 s[28:29], exec, s[62:63]
; %bb.27679:                            ;   in Loop: Header=BB6_25823 Depth=3
	v_min_i32_e32 v1, 31, v2
	v_lshl_or_b32 v1, v1, 2, v7
	v_and_or_b32 v23, v0, 3, v1
                                        ; implicit-def: $vgpr7
; %bb.27680:                            ;   in Loop: Header=BB6_25823 Depth=3
	s_andn2_saveexec_b64 s[28:29], s[28:29]
; %bb.27681:                            ;   in Loop: Header=BB6_25823 Depth=3
	v_mov_b32_e32 v23, v7
; %bb.27682:                            ;   in Loop: Header=BB6_25823 Depth=3
	s_or_b64 exec, exec, s[28:29]
.LBB6_27683:                            ;   in Loop: Header=BB6_25823 Depth=3
	s_or_b64 exec, exec, s[38:39]
                                        ; implicit-def: $vgpr7
.LBB6_27684:                            ;   in Loop: Header=BB6_25823 Depth=3
	s_andn2_saveexec_b64 s[28:29], s[36:37]
; %bb.27685:                            ;   in Loop: Header=BB6_25823 Depth=3
	v_or_b32_e32 v23, 0x7b, v7
; %bb.27686:                            ;   in Loop: Header=BB6_25823 Depth=3
	s_or_b64 exec, exec, s[28:29]
                                        ; implicit-def: $vgpr2
                                        ; implicit-def: $vgpr0_vgpr1
.LBB6_27687:                            ;   in Loop: Header=BB6_25823 Depth=3
	s_andn2_saveexec_b64 s[28:29], s[34:35]
	s_cbranch_execz .LBB6_27693
; %bb.27688:                            ;   in Loop: Header=BB6_25823 Depth=3
	v_cmp_ne_u64_e32 vcc, 0, v[0:1]
                                        ; implicit-def: $vgpr23
	s_and_saveexec_b64 s[62:63], vcc
	s_xor_b64 vcc, exec, s[62:63]
; %bb.27689:                            ;   in Loop: Header=BB6_25823 Depth=3
	v_or_b32_sdwa v23, v2, s44 dst_sel:DWORD dst_unused:UNUSED_PAD src0_sel:BYTE_3 src1_sel:DWORD
                                        ; implicit-def: $vgpr2
; %bb.27690:                            ;   in Loop: Header=BB6_25823 Depth=3
	s_andn2_saveexec_b64 s[34:35], vcc
; %bb.27691:                            ;   in Loop: Header=BB6_25823 Depth=3
	v_cmp_lt_i32_e32 vcc, -1, v2
	v_mov_b32_e32 v0, 0x7c
	v_cndmask_b32_e32 v23, -4, v0, vcc
; %bb.27692:                            ;   in Loop: Header=BB6_25823 Depth=3
	s_or_b64 exec, exec, s[34:35]
.LBB6_27693:                            ;   in Loop: Header=BB6_25823 Depth=3
	s_or_b64 exec, exec, s[28:29]
	buffer_load_dword v0, off, s[0:3], s33 offset:164 ; 4-byte Folded Reload
	buffer_load_dword v1, off, s[0:3], s33 offset:168 ; 4-byte Folded Reload
	s_waitcnt vmcnt(0)
	v_mov_b32_e32 v1, 0
	v_and_b32_e32 v7, 0xff, v0
	v_cmp_ne_u16_e32 vcc, 0, v7
	v_mov_b32_e32 v0, 0
	s_and_saveexec_b64 s[28:29], vcc
	s_cbranch_execz .LBB6_27701
; %bb.27694:                            ;   in Loop: Header=BB6_25823 Depth=3
	v_cmp_ne_u16_e32 vcc, s97, v7
	v_bfrev_b32_e32 v1, 1
	s_and_saveexec_b64 s[34:35], vcc
	s_cbranch_execz .LBB6_27700
; %bb.27695:                            ;   in Loop: Header=BB6_25823 Depth=3
	buffer_load_dword v1, off, s[0:3], s33 offset:164 ; 4-byte Folded Reload
	buffer_load_dword v2, off, s[0:3], s33 offset:168 ; 4-byte Folded Reload
	s_waitcnt vmcnt(0)
	v_and_b32_e32 v2, 3, v1
	v_and_b32_e32 v1, 0x7c, v1
	v_cmp_ne_u32_e32 vcc, s86, v1
                                        ; implicit-def: $vgpr1
	s_and_saveexec_b64 s[62:63], vcc
	s_xor_b64 s[36:37], exec, s[62:63]
	s_cbranch_execz .LBB6_27697
; %bb.27696:                            ;   in Loop: Header=BB6_25823 Depth=3
	buffer_load_dword v42, off, s[0:3], s33 offset:164 ; 4-byte Folded Reload
	buffer_load_dword v43, off, s[0:3], s33 offset:168 ; 4-byte Folded Reload
	v_bfe_u32 v1, v7, 2, 5
	v_ffbh_u32_e32 v7, v2
	v_min_u32_e32 v7, 32, v7
	s_waitcnt vmcnt(0)
	v_mov_b32_e32 v43, v33
	v_subrev_u32_e32 v15, 29, v7
	v_sub_u32_e32 v7, 30, v7
	v_cmp_eq_u32_e32 vcc, 0, v1
	v_cndmask_b32_e32 v1, v1, v7, vcc
	v_lshlrev_b32_e32 v7, 24, v42
	v_lshlrev_b64 v[40:41], v15, v[42:43]
	v_and_b32_e32 v7, 0x80000000, v7
	v_and_b32_e32 v15, 3, v40
	v_cndmask_b32_e32 v2, v2, v15, vcc
	v_lshl_add_u32 v1, v1, 23, v7
	v_lshl_or_b32 v1, v2, 21, v1
	v_add_u32_e32 v1, 0x38000000, v1
                                        ; implicit-def: $vgpr7
                                        ; implicit-def: $vgpr2
	buffer_store_dword v7, off, s[0:3], s33 offset:164 ; 4-byte Folded Spill
	s_nop 0
	buffer_store_dword v8, off, s[0:3], s33 offset:168 ; 4-byte Folded Spill
.LBB6_27697:                            ;   in Loop: Header=BB6_25823 Depth=3
	s_andn2_saveexec_b64 s[36:37], s[36:37]
	s_cbranch_execz .LBB6_27699
; %bb.27698:                            ;   in Loop: Header=BB6_25823 Depth=3
	buffer_load_dword v40, off, s[0:3], s33 offset:164 ; 4-byte Folded Reload
	buffer_load_dword v41, off, s[0:3], s33 offset:168 ; 4-byte Folded Reload
	v_mov_b32_e32 v1, -1
	v_mov_b32_e32 v7, 0x7f800000
	s_waitcnt vmcnt(1)
	v_cmp_gt_i16_sdwa vcc, sext(v40), v1 src0_sel:BYTE_0 src1_sel:DWORD
	v_mov_b32_e32 v1, 0xff800000
	v_cndmask_b32_e32 v1, v1, v7, vcc
	v_cmp_eq_u32_e32 vcc, 0, v2
	v_mov_b32_e32 v2, 0x7f800001
	v_cndmask_b32_e32 v1, v2, v1, vcc
.LBB6_27699:                            ;   in Loop: Header=BB6_25823 Depth=3
	s_or_b64 exec, exec, s[36:37]
.LBB6_27700:                            ;   in Loop: Header=BB6_25823 Depth=3
	s_or_b64 exec, exec, s[34:35]
.LBB6_27701:                            ;   in Loop: Header=BB6_25823 Depth=3
	s_or_b64 exec, exec, s[28:29]
	v_cmp_ne_u16_e32 vcc, 0, v21
	s_and_saveexec_b64 s[28:29], vcc
	s_cbranch_execz .LBB6_27709
; %bb.27702:                            ;   in Loop: Header=BB6_25823 Depth=3
	v_cmp_ne_u16_e32 vcc, s46, v21
	v_bfrev_b32_e32 v0, 1
	s_and_saveexec_b64 s[34:35], vcc
	s_cbranch_execz .LBB6_27708
; %bb.27703:                            ;   in Loop: Header=BB6_25823 Depth=3
	v_and_b32_e32 v0, 0x7c, v21
	v_and_b32_e32 v2, 3, v21
	v_cmp_ne_u32_e32 vcc, s86, v0
                                        ; implicit-def: $vgpr0
	s_and_saveexec_b64 s[62:63], vcc
	s_xor_b64 s[36:37], exec, s[62:63]
	s_cbranch_execz .LBB6_27705
; %bb.27704:                            ;   in Loop: Header=BB6_25823 Depth=3
	v_ffbh_u32_e32 v7, v2
	v_min_u32_e32 v7, 32, v7
	v_and_b32_e32 v0, 0xff, v21
	v_mov_b32_e32 v22, v33
	v_subrev_u32_e32 v15, 29, v7
	v_bfe_u32 v0, v0, 2, 5
	s_waitcnt vmcnt(0)
	v_lshlrev_b64 v[40:41], v15, v[21:22]
	v_sub_u32_e32 v7, 30, v7
	v_cmp_eq_u32_e32 vcc, 0, v0
	v_and_b32_e32 v15, 3, v40
	v_cndmask_b32_e32 v0, v0, v7, vcc
	v_and_b32_sdwa v7, sext(v21), s87 dst_sel:DWORD dst_unused:UNUSED_PAD src0_sel:WORD_0 src1_sel:DWORD
	v_cndmask_b32_e32 v2, v2, v15, vcc
	v_lshl_add_u32 v0, v0, 23, v7
	v_lshl_or_b32 v0, v2, 21, v0
	v_add_u32_e32 v0, 0x38000000, v0
                                        ; implicit-def: $vgpr2
                                        ; implicit-def: $vgpr21
.LBB6_27705:                            ;   in Loop: Header=BB6_25823 Depth=3
	s_andn2_saveexec_b64 s[36:37], s[36:37]
; %bb.27706:                            ;   in Loop: Header=BB6_25823 Depth=3
	v_cmp_lt_i16_e32 vcc, -1, v21
	v_mov_b32_e32 v0, 0xff800000
	v_mov_b32_e32 v7, 0x7f800000
	v_cndmask_b32_e32 v0, v0, v7, vcc
	v_cmp_eq_u32_e32 vcc, 0, v2
	v_mov_b32_e32 v2, 0x7f800001
	v_cndmask_b32_e32 v0, v2, v0, vcc
; %bb.27707:                            ;   in Loop: Header=BB6_25823 Depth=3
	s_or_b64 exec, exec, s[36:37]
.LBB6_27708:                            ;   in Loop: Header=BB6_25823 Depth=3
	s_or_b64 exec, exec, s[34:35]
.LBB6_27709:                            ;   in Loop: Header=BB6_25823 Depth=3
	s_or_b64 exec, exec, s[28:29]
	v_add_f32_e32 v2, v1, v0
	v_and_b32_e32 v21, 0x7f800000, v2
	v_mov_b32_e32 v22, v33
	v_cmp_ne_u64_e32 vcc, s[76:77], v[21:22]
	v_and_b32_e32 v0, 0x7fffff, v2
	v_mov_b32_e32 v1, v33
                                        ; implicit-def: $vgpr22
	s_and_saveexec_b64 s[28:29], vcc
	s_xor_b64 s[34:35], exec, s[28:29]
	s_cbranch_execz .LBB6_27727
; %bb.27710:                            ;   in Loop: Header=BB6_25823 Depth=3
	v_and_b32_e32 v21, 0x7fffffff, v2
	v_mov_b32_e32 v22, v33
	v_cmp_gt_u64_e32 vcc, s[78:79], v[21:22]
	v_and_b32_sdwa v7, v2, s97 dst_sel:DWORD dst_unused:UNUSED_PAD src0_sel:BYTE_3 src1_sel:DWORD
                                        ; implicit-def: $vgpr22
	s_and_saveexec_b64 s[28:29], vcc
	s_xor_b64 s[36:37], exec, s[28:29]
	s_cbranch_execz .LBB6_27724
; %bb.27711:                            ;   in Loop: Header=BB6_25823 Depth=3
	v_cmp_ne_u32_e32 vcc, 0, v2
	v_mov_b32_e32 v22, 0
	s_and_saveexec_b64 s[38:39], vcc
	s_cbranch_execz .LBB6_27723
; %bb.27712:                            ;   in Loop: Header=BB6_25823 Depth=3
	v_bfe_u32 v15, v2, 23, 8
	v_cmp_gt_u32_e64 s[28:29], s47, v15
	v_sub_u32_e32 v2, 0x71, v15
	v_cmp_eq_u32_e32 vcc, 0, v15
	v_cndmask_b32_e64 v2, 0, v2, s[28:29]
	v_mov_b32_e32 v21, 0x70
	v_cndmask_b32_e32 v21, v2, v21, vcc
	v_add_u32_e32 v2, 21, v21
	v_or_b32_e32 v22, 0x800000, v0
	s_waitcnt vmcnt(0)
	v_lshlrev_b64 v[40:41], v2, -1
	v_cndmask_b32_e32 v0, v22, v0, vcc
	v_add_u32_e32 v2, 20, v21
	v_bfi_b32 v40, v40, 0, v0
	v_lshlrev_b64 v[42:43], v2, 1
	v_lshrrev_b64 v[0:1], v21, v[0:1]
	v_bfi_b32 v41, v41, 0, 0
	v_cmp_eq_u64_e64 s[28:29], v[40:41], v[42:43]
	v_mov_b32_e32 v2, v1
	v_mov_b32_e32 v1, v0
	s_and_saveexec_b64 s[48:49], s[28:29]
; %bb.27713:                            ;   in Loop: Header=BB6_25823 Depth=3
	v_bfe_u32 v1, v0, 21, 1
	v_add_co_u32_e64 v1, s[28:29], v0, v1
	v_add_co_u32_e64 v1, s[28:29], -1, v1
; %bb.27714:                            ;   in Loop: Header=BB6_25823 Depth=3
	s_or_b64 exec, exec, s[48:49]
	v_add_u32_e32 v2, 0xffffff81, v15
	v_mov_b32_e32 v15, 0xffffff82
	v_cndmask_b32_e32 v2, v2, v15, vcc
	v_lshrrev_b32_e32 v15, 23, v0
	v_add3_u32 v21, v21, v2, v15
	v_add_u32_e32 v15, 14, v21
	v_and_b32_e32 v1, 0x1fffff, v1
	v_add_u32_e32 v0, v1, v0
	v_mov_b32_e32 v1, v33
	v_cmp_ne_u32_e32 vcc, 0, v15
                                        ; implicit-def: $vgpr2
	s_and_saveexec_b64 s[28:29], vcc
	s_xor_b64 s[28:29], exec, s[28:29]
; %bb.27715:                            ;   in Loop: Header=BB6_25823 Depth=3
	v_cmp_lt_u64_e32 vcc, s[88:89], v[0:1]
	v_add_u32_e32 v2, 15, v21
	v_cndmask_b32_e32 v2, v15, v2, vcc
	v_cndmask_b32_e64 v15, 0, 1, vcc
	v_lshrrev_b64 v[0:1], v15, v[0:1]
; %bb.27716:                            ;   in Loop: Header=BB6_25823 Depth=3
	s_andn2_saveexec_b64 s[28:29], s[28:29]
; %bb.27717:                            ;   in Loop: Header=BB6_25823 Depth=3
	v_bfe_u32 v2, v0, 23, 1
; %bb.27718:                            ;   in Loop: Header=BB6_25823 Depth=3
	s_or_b64 exec, exec, s[28:29]
	v_lshrrev_b64 v[0:1], 21, v[0:1]
	v_cmp_gt_i32_e32 vcc, 32, v2
	v_cndmask_b32_e32 v1, 0, v1, vcc
	v_cndmask_b32_e32 v0, 3, v0, vcc
	v_cmp_ne_u64_e32 vcc, 0, v[0:1]
	v_cmp_ne_u32_e64 s[28:29], 0, v2
	s_or_b64 s[28:29], s[28:29], vcc
                                        ; implicit-def: $vgpr22
	s_and_saveexec_b64 s[62:63], s[28:29]
	s_xor_b64 s[28:29], exec, s[62:63]
; %bb.27719:                            ;   in Loop: Header=BB6_25823 Depth=3
	v_min_i32_e32 v1, 31, v2
	v_lshl_or_b32 v1, v1, 2, v7
	v_and_or_b32 v22, v0, 3, v1
                                        ; implicit-def: $vgpr7
; %bb.27720:                            ;   in Loop: Header=BB6_25823 Depth=3
	s_andn2_saveexec_b64 s[28:29], s[28:29]
; %bb.27721:                            ;   in Loop: Header=BB6_25823 Depth=3
	v_mov_b32_e32 v22, v7
; %bb.27722:                            ;   in Loop: Header=BB6_25823 Depth=3
	s_or_b64 exec, exec, s[28:29]
.LBB6_27723:                            ;   in Loop: Header=BB6_25823 Depth=3
	s_or_b64 exec, exec, s[38:39]
                                        ; implicit-def: $vgpr7
.LBB6_27724:                            ;   in Loop: Header=BB6_25823 Depth=3
	s_andn2_saveexec_b64 s[28:29], s[36:37]
; %bb.27725:                            ;   in Loop: Header=BB6_25823 Depth=3
	v_or_b32_e32 v22, 0x7b, v7
; %bb.27726:                            ;   in Loop: Header=BB6_25823 Depth=3
	s_or_b64 exec, exec, s[28:29]
                                        ; implicit-def: $vgpr2
                                        ; implicit-def: $vgpr0_vgpr1
.LBB6_27727:                            ;   in Loop: Header=BB6_25823 Depth=3
	s_andn2_saveexec_b64 s[28:29], s[34:35]
	s_cbranch_execz .LBB6_27733
; %bb.27728:                            ;   in Loop: Header=BB6_25823 Depth=3
	v_cmp_ne_u64_e32 vcc, 0, v[0:1]
                                        ; implicit-def: $vgpr22
	s_and_saveexec_b64 s[62:63], vcc
	s_xor_b64 vcc, exec, s[62:63]
; %bb.27729:                            ;   in Loop: Header=BB6_25823 Depth=3
	v_or_b32_sdwa v22, v2, s44 dst_sel:DWORD dst_unused:UNUSED_PAD src0_sel:BYTE_3 src1_sel:DWORD
                                        ; implicit-def: $vgpr2
; %bb.27730:                            ;   in Loop: Header=BB6_25823 Depth=3
	s_andn2_saveexec_b64 s[34:35], vcc
; %bb.27731:                            ;   in Loop: Header=BB6_25823 Depth=3
	v_cmp_lt_i32_e32 vcc, -1, v2
	v_mov_b32_e32 v0, 0x7c
	v_cndmask_b32_e32 v22, -4, v0, vcc
; %bb.27732:                            ;   in Loop: Header=BB6_25823 Depth=3
	s_or_b64 exec, exec, s[34:35]
.LBB6_27733:                            ;   in Loop: Header=BB6_25823 Depth=3
	s_or_b64 exec, exec, s[28:29]
	buffer_load_dword v0, off, s[0:3], s33 offset:156 ; 4-byte Folded Reload
	buffer_load_dword v1, off, s[0:3], s33 offset:160 ; 4-byte Folded Reload
	s_waitcnt vmcnt(0)
	v_mov_b32_e32 v1, 0
	v_and_b32_e32 v7, 0xff, v0
	v_cmp_ne_u16_e32 vcc, 0, v7
	v_mov_b32_e32 v0, 0
	s_and_saveexec_b64 s[28:29], vcc
	s_cbranch_execz .LBB6_27741
; %bb.27734:                            ;   in Loop: Header=BB6_25823 Depth=3
	v_cmp_ne_u16_e32 vcc, s97, v7
	v_bfrev_b32_e32 v1, 1
	s_and_saveexec_b64 s[34:35], vcc
	s_cbranch_execz .LBB6_27740
; %bb.27735:                            ;   in Loop: Header=BB6_25823 Depth=3
	buffer_load_dword v1, off, s[0:3], s33 offset:156 ; 4-byte Folded Reload
	buffer_load_dword v2, off, s[0:3], s33 offset:160 ; 4-byte Folded Reload
	s_waitcnt vmcnt(0)
	v_and_b32_e32 v2, 3, v1
	v_and_b32_e32 v1, 0x7c, v1
	v_cmp_ne_u32_e32 vcc, s86, v1
                                        ; implicit-def: $vgpr1
	s_and_saveexec_b64 s[62:63], vcc
	s_xor_b64 s[36:37], exec, s[62:63]
	s_cbranch_execz .LBB6_27737
; %bb.27736:                            ;   in Loop: Header=BB6_25823 Depth=3
	buffer_load_dword v42, off, s[0:3], s33 offset:156 ; 4-byte Folded Reload
	buffer_load_dword v43, off, s[0:3], s33 offset:160 ; 4-byte Folded Reload
	v_bfe_u32 v1, v7, 2, 5
	v_ffbh_u32_e32 v7, v2
	v_min_u32_e32 v7, 32, v7
	s_waitcnt vmcnt(0)
	v_mov_b32_e32 v43, v33
	v_subrev_u32_e32 v15, 29, v7
	v_sub_u32_e32 v7, 30, v7
	v_cmp_eq_u32_e32 vcc, 0, v1
	v_cndmask_b32_e32 v1, v1, v7, vcc
	v_lshlrev_b32_e32 v7, 24, v42
	v_lshlrev_b64 v[40:41], v15, v[42:43]
	v_and_b32_e32 v7, 0x80000000, v7
	v_and_b32_e32 v15, 3, v40
	v_cndmask_b32_e32 v2, v2, v15, vcc
	v_lshl_add_u32 v1, v1, 23, v7
	v_lshl_or_b32 v1, v2, 21, v1
	v_add_u32_e32 v1, 0x38000000, v1
                                        ; implicit-def: $vgpr7
                                        ; implicit-def: $vgpr2
	buffer_store_dword v7, off, s[0:3], s33 offset:156 ; 4-byte Folded Spill
	s_nop 0
	buffer_store_dword v8, off, s[0:3], s33 offset:160 ; 4-byte Folded Spill
.LBB6_27737:                            ;   in Loop: Header=BB6_25823 Depth=3
	s_andn2_saveexec_b64 s[36:37], s[36:37]
	s_cbranch_execz .LBB6_27739
; %bb.27738:                            ;   in Loop: Header=BB6_25823 Depth=3
	buffer_load_dword v40, off, s[0:3], s33 offset:156 ; 4-byte Folded Reload
	buffer_load_dword v41, off, s[0:3], s33 offset:160 ; 4-byte Folded Reload
	v_mov_b32_e32 v1, -1
	v_mov_b32_e32 v7, 0x7f800000
	s_waitcnt vmcnt(1)
	v_cmp_gt_i16_sdwa vcc, sext(v40), v1 src0_sel:BYTE_0 src1_sel:DWORD
	v_mov_b32_e32 v1, 0xff800000
	v_cndmask_b32_e32 v1, v1, v7, vcc
	v_cmp_eq_u32_e32 vcc, 0, v2
	v_mov_b32_e32 v2, 0x7f800001
	v_cndmask_b32_e32 v1, v2, v1, vcc
.LBB6_27739:                            ;   in Loop: Header=BB6_25823 Depth=3
	s_or_b64 exec, exec, s[36:37]
.LBB6_27740:                            ;   in Loop: Header=BB6_25823 Depth=3
	s_or_b64 exec, exec, s[34:35]
.LBB6_27741:                            ;   in Loop: Header=BB6_25823 Depth=3
	s_or_b64 exec, exec, s[28:29]
	v_cmp_ne_u16_e32 vcc, 0, v20
	s_and_saveexec_b64 s[28:29], vcc
	s_cbranch_execz .LBB6_27749
; %bb.27742:                            ;   in Loop: Header=BB6_25823 Depth=3
	v_cmp_ne_u16_e32 vcc, s46, v20
	v_bfrev_b32_e32 v0, 1
	s_and_saveexec_b64 s[34:35], vcc
	s_cbranch_execz .LBB6_27748
; %bb.27743:                            ;   in Loop: Header=BB6_25823 Depth=3
	v_and_b32_e32 v0, 0x7c, v20
	v_and_b32_e32 v2, 3, v20
	v_cmp_ne_u32_e32 vcc, s86, v0
                                        ; implicit-def: $vgpr0
	s_and_saveexec_b64 s[62:63], vcc
	s_xor_b64 s[36:37], exec, s[62:63]
	s_cbranch_execz .LBB6_27745
; %bb.27744:                            ;   in Loop: Header=BB6_25823 Depth=3
	v_ffbh_u32_e32 v7, v2
	v_min_u32_e32 v7, 32, v7
	v_and_b32_e32 v0, 0xff, v20
	v_mov_b32_e32 v21, v33
	v_subrev_u32_e32 v15, 29, v7
	v_bfe_u32 v0, v0, 2, 5
	s_waitcnt vmcnt(0)
	v_lshlrev_b64 v[40:41], v15, v[20:21]
	v_sub_u32_e32 v7, 30, v7
	v_cmp_eq_u32_e32 vcc, 0, v0
	v_and_b32_e32 v15, 3, v40
	v_cndmask_b32_e32 v0, v0, v7, vcc
	v_and_b32_sdwa v7, sext(v20), s87 dst_sel:DWORD dst_unused:UNUSED_PAD src0_sel:WORD_0 src1_sel:DWORD
	v_cndmask_b32_e32 v2, v2, v15, vcc
	v_lshl_add_u32 v0, v0, 23, v7
	v_lshl_or_b32 v0, v2, 21, v0
	v_add_u32_e32 v0, 0x38000000, v0
                                        ; implicit-def: $vgpr2
                                        ; implicit-def: $vgpr20
.LBB6_27745:                            ;   in Loop: Header=BB6_25823 Depth=3
	s_andn2_saveexec_b64 s[36:37], s[36:37]
; %bb.27746:                            ;   in Loop: Header=BB6_25823 Depth=3
	v_cmp_lt_i16_e32 vcc, -1, v20
	v_mov_b32_e32 v0, 0xff800000
	v_mov_b32_e32 v7, 0x7f800000
	v_cndmask_b32_e32 v0, v0, v7, vcc
	v_cmp_eq_u32_e32 vcc, 0, v2
	v_mov_b32_e32 v2, 0x7f800001
	v_cndmask_b32_e32 v0, v2, v0, vcc
; %bb.27747:                            ;   in Loop: Header=BB6_25823 Depth=3
	s_or_b64 exec, exec, s[36:37]
.LBB6_27748:                            ;   in Loop: Header=BB6_25823 Depth=3
	s_or_b64 exec, exec, s[34:35]
.LBB6_27749:                            ;   in Loop: Header=BB6_25823 Depth=3
	s_or_b64 exec, exec, s[28:29]
	v_add_f32_e32 v2, v1, v0
	v_and_b32_e32 v20, 0x7f800000, v2
	v_mov_b32_e32 v21, v33
	v_cmp_ne_u64_e32 vcc, s[76:77], v[20:21]
	v_and_b32_e32 v0, 0x7fffff, v2
	v_mov_b32_e32 v1, v33
                                        ; implicit-def: $vgpr21
	s_and_saveexec_b64 s[28:29], vcc
	s_xor_b64 s[34:35], exec, s[28:29]
	s_cbranch_execz .LBB6_27767
; %bb.27750:                            ;   in Loop: Header=BB6_25823 Depth=3
	v_and_b32_e32 v20, 0x7fffffff, v2
	v_mov_b32_e32 v21, v33
	v_cmp_gt_u64_e32 vcc, s[78:79], v[20:21]
	v_and_b32_sdwa v7, v2, s97 dst_sel:DWORD dst_unused:UNUSED_PAD src0_sel:BYTE_3 src1_sel:DWORD
                                        ; implicit-def: $vgpr21
	s_and_saveexec_b64 s[28:29], vcc
	s_xor_b64 s[36:37], exec, s[28:29]
	s_cbranch_execz .LBB6_27764
; %bb.27751:                            ;   in Loop: Header=BB6_25823 Depth=3
	v_cmp_ne_u32_e32 vcc, 0, v2
	v_mov_b32_e32 v21, 0
	s_and_saveexec_b64 s[38:39], vcc
	s_cbranch_execz .LBB6_27763
; %bb.27752:                            ;   in Loop: Header=BB6_25823 Depth=3
	v_bfe_u32 v15, v2, 23, 8
	v_cmp_gt_u32_e64 s[28:29], s47, v15
	v_sub_u32_e32 v2, 0x71, v15
	v_cmp_eq_u32_e32 vcc, 0, v15
	v_cndmask_b32_e64 v2, 0, v2, s[28:29]
	v_mov_b32_e32 v20, 0x70
	v_cndmask_b32_e32 v20, v2, v20, vcc
	v_add_u32_e32 v2, 21, v20
	v_or_b32_e32 v21, 0x800000, v0
	s_waitcnt vmcnt(0)
	v_lshlrev_b64 v[40:41], v2, -1
	v_cndmask_b32_e32 v0, v21, v0, vcc
	v_add_u32_e32 v2, 20, v20
	v_bfi_b32 v40, v40, 0, v0
	v_lshlrev_b64 v[42:43], v2, 1
	v_lshrrev_b64 v[0:1], v20, v[0:1]
	v_bfi_b32 v41, v41, 0, 0
	v_cmp_eq_u64_e64 s[28:29], v[40:41], v[42:43]
	v_mov_b32_e32 v2, v1
	v_mov_b32_e32 v1, v0
	s_and_saveexec_b64 s[48:49], s[28:29]
; %bb.27753:                            ;   in Loop: Header=BB6_25823 Depth=3
	v_bfe_u32 v1, v0, 21, 1
	v_add_co_u32_e64 v1, s[28:29], v0, v1
	v_add_co_u32_e64 v1, s[28:29], -1, v1
; %bb.27754:                            ;   in Loop: Header=BB6_25823 Depth=3
	s_or_b64 exec, exec, s[48:49]
	v_add_u32_e32 v2, 0xffffff81, v15
	v_mov_b32_e32 v15, 0xffffff82
	v_cndmask_b32_e32 v2, v2, v15, vcc
	v_lshrrev_b32_e32 v15, 23, v0
	v_add3_u32 v20, v20, v2, v15
	v_add_u32_e32 v15, 14, v20
	v_and_b32_e32 v1, 0x1fffff, v1
	v_add_u32_e32 v0, v1, v0
	v_mov_b32_e32 v1, v33
	v_cmp_ne_u32_e32 vcc, 0, v15
                                        ; implicit-def: $vgpr2
	s_and_saveexec_b64 s[28:29], vcc
	s_xor_b64 s[28:29], exec, s[28:29]
; %bb.27755:                            ;   in Loop: Header=BB6_25823 Depth=3
	v_cmp_lt_u64_e32 vcc, s[88:89], v[0:1]
	v_add_u32_e32 v2, 15, v20
	v_cndmask_b32_e32 v2, v15, v2, vcc
	v_cndmask_b32_e64 v15, 0, 1, vcc
	v_lshrrev_b64 v[0:1], v15, v[0:1]
; %bb.27756:                            ;   in Loop: Header=BB6_25823 Depth=3
	s_andn2_saveexec_b64 s[28:29], s[28:29]
; %bb.27757:                            ;   in Loop: Header=BB6_25823 Depth=3
	v_bfe_u32 v2, v0, 23, 1
; %bb.27758:                            ;   in Loop: Header=BB6_25823 Depth=3
	s_or_b64 exec, exec, s[28:29]
	v_lshrrev_b64 v[0:1], 21, v[0:1]
	v_cmp_gt_i32_e32 vcc, 32, v2
	v_cndmask_b32_e32 v1, 0, v1, vcc
	v_cndmask_b32_e32 v0, 3, v0, vcc
	v_cmp_ne_u64_e32 vcc, 0, v[0:1]
	v_cmp_ne_u32_e64 s[28:29], 0, v2
	s_or_b64 s[28:29], s[28:29], vcc
                                        ; implicit-def: $vgpr21
	s_and_saveexec_b64 s[62:63], s[28:29]
	s_xor_b64 s[28:29], exec, s[62:63]
; %bb.27759:                            ;   in Loop: Header=BB6_25823 Depth=3
	v_min_i32_e32 v1, 31, v2
	v_lshl_or_b32 v1, v1, 2, v7
	v_and_or_b32 v21, v0, 3, v1
                                        ; implicit-def: $vgpr7
; %bb.27760:                            ;   in Loop: Header=BB6_25823 Depth=3
	s_andn2_saveexec_b64 s[28:29], s[28:29]
; %bb.27761:                            ;   in Loop: Header=BB6_25823 Depth=3
	v_mov_b32_e32 v21, v7
; %bb.27762:                            ;   in Loop: Header=BB6_25823 Depth=3
	s_or_b64 exec, exec, s[28:29]
.LBB6_27763:                            ;   in Loop: Header=BB6_25823 Depth=3
	s_or_b64 exec, exec, s[38:39]
                                        ; implicit-def: $vgpr7
.LBB6_27764:                            ;   in Loop: Header=BB6_25823 Depth=3
	s_andn2_saveexec_b64 s[28:29], s[36:37]
; %bb.27765:                            ;   in Loop: Header=BB6_25823 Depth=3
	v_or_b32_e32 v21, 0x7b, v7
; %bb.27766:                            ;   in Loop: Header=BB6_25823 Depth=3
	s_or_b64 exec, exec, s[28:29]
                                        ; implicit-def: $vgpr2
                                        ; implicit-def: $vgpr0_vgpr1
.LBB6_27767:                            ;   in Loop: Header=BB6_25823 Depth=3
	s_andn2_saveexec_b64 s[28:29], s[34:35]
	s_cbranch_execz .LBB6_27773
; %bb.27768:                            ;   in Loop: Header=BB6_25823 Depth=3
	v_cmp_ne_u64_e32 vcc, 0, v[0:1]
                                        ; implicit-def: $vgpr21
	s_and_saveexec_b64 s[62:63], vcc
	s_xor_b64 vcc, exec, s[62:63]
; %bb.27769:                            ;   in Loop: Header=BB6_25823 Depth=3
	v_or_b32_sdwa v21, v2, s44 dst_sel:DWORD dst_unused:UNUSED_PAD src0_sel:BYTE_3 src1_sel:DWORD
                                        ; implicit-def: $vgpr2
; %bb.27770:                            ;   in Loop: Header=BB6_25823 Depth=3
	s_andn2_saveexec_b64 s[34:35], vcc
; %bb.27771:                            ;   in Loop: Header=BB6_25823 Depth=3
	v_cmp_lt_i32_e32 vcc, -1, v2
	v_mov_b32_e32 v0, 0x7c
	v_cndmask_b32_e32 v21, -4, v0, vcc
; %bb.27772:                            ;   in Loop: Header=BB6_25823 Depth=3
	s_or_b64 exec, exec, s[34:35]
.LBB6_27773:                            ;   in Loop: Header=BB6_25823 Depth=3
	s_or_b64 exec, exec, s[28:29]
	buffer_load_dword v0, off, s[0:3], s33 offset:148 ; 4-byte Folded Reload
	buffer_load_dword v1, off, s[0:3], s33 offset:152 ; 4-byte Folded Reload
	s_waitcnt vmcnt(0)
	v_mov_b32_e32 v1, 0
	v_and_b32_e32 v7, 0xff, v0
	v_cmp_ne_u16_e32 vcc, 0, v7
	v_mov_b32_e32 v0, 0
	s_and_saveexec_b64 s[28:29], vcc
	s_cbranch_execz .LBB6_27781
; %bb.27774:                            ;   in Loop: Header=BB6_25823 Depth=3
	v_cmp_ne_u16_e32 vcc, s97, v7
	v_bfrev_b32_e32 v1, 1
	s_and_saveexec_b64 s[34:35], vcc
	s_cbranch_execz .LBB6_27780
; %bb.27775:                            ;   in Loop: Header=BB6_25823 Depth=3
	buffer_load_dword v1, off, s[0:3], s33 offset:148 ; 4-byte Folded Reload
	buffer_load_dword v2, off, s[0:3], s33 offset:152 ; 4-byte Folded Reload
	s_waitcnt vmcnt(0)
	v_and_b32_e32 v2, 3, v1
	v_and_b32_e32 v1, 0x7c, v1
	v_cmp_ne_u32_e32 vcc, s86, v1
                                        ; implicit-def: $vgpr1
	s_and_saveexec_b64 s[62:63], vcc
	s_xor_b64 s[36:37], exec, s[62:63]
	s_cbranch_execz .LBB6_27777
; %bb.27776:                            ;   in Loop: Header=BB6_25823 Depth=3
	buffer_load_dword v42, off, s[0:3], s33 offset:148 ; 4-byte Folded Reload
	buffer_load_dword v43, off, s[0:3], s33 offset:152 ; 4-byte Folded Reload
	v_bfe_u32 v1, v7, 2, 5
	v_ffbh_u32_e32 v7, v2
	v_min_u32_e32 v7, 32, v7
	s_waitcnt vmcnt(0)
	v_mov_b32_e32 v43, v33
	v_subrev_u32_e32 v15, 29, v7
	v_sub_u32_e32 v7, 30, v7
	v_cmp_eq_u32_e32 vcc, 0, v1
	v_cndmask_b32_e32 v1, v1, v7, vcc
	v_lshlrev_b32_e32 v7, 24, v42
	v_lshlrev_b64 v[40:41], v15, v[42:43]
	v_and_b32_e32 v7, 0x80000000, v7
	v_and_b32_e32 v15, 3, v40
	v_cndmask_b32_e32 v2, v2, v15, vcc
	v_lshl_add_u32 v1, v1, 23, v7
	v_lshl_or_b32 v1, v2, 21, v1
	v_add_u32_e32 v1, 0x38000000, v1
                                        ; implicit-def: $vgpr7
                                        ; implicit-def: $vgpr2
	buffer_store_dword v7, off, s[0:3], s33 offset:148 ; 4-byte Folded Spill
	s_nop 0
	buffer_store_dword v8, off, s[0:3], s33 offset:152 ; 4-byte Folded Spill
.LBB6_27777:                            ;   in Loop: Header=BB6_25823 Depth=3
	s_andn2_saveexec_b64 s[36:37], s[36:37]
	s_cbranch_execz .LBB6_27779
; %bb.27778:                            ;   in Loop: Header=BB6_25823 Depth=3
	buffer_load_dword v40, off, s[0:3], s33 offset:148 ; 4-byte Folded Reload
	buffer_load_dword v41, off, s[0:3], s33 offset:152 ; 4-byte Folded Reload
	v_mov_b32_e32 v1, -1
	v_mov_b32_e32 v7, 0x7f800000
	s_waitcnt vmcnt(1)
	v_cmp_gt_i16_sdwa vcc, sext(v40), v1 src0_sel:BYTE_0 src1_sel:DWORD
	v_mov_b32_e32 v1, 0xff800000
	v_cndmask_b32_e32 v1, v1, v7, vcc
	v_cmp_eq_u32_e32 vcc, 0, v2
	v_mov_b32_e32 v2, 0x7f800001
	v_cndmask_b32_e32 v1, v2, v1, vcc
.LBB6_27779:                            ;   in Loop: Header=BB6_25823 Depth=3
	s_or_b64 exec, exec, s[36:37]
.LBB6_27780:                            ;   in Loop: Header=BB6_25823 Depth=3
	s_or_b64 exec, exec, s[34:35]
.LBB6_27781:                            ;   in Loop: Header=BB6_25823 Depth=3
	s_or_b64 exec, exec, s[28:29]
	v_cmp_ne_u16_e32 vcc, 0, v19
	s_and_saveexec_b64 s[28:29], vcc
	s_cbranch_execz .LBB6_27789
; %bb.27782:                            ;   in Loop: Header=BB6_25823 Depth=3
	v_cmp_ne_u16_e32 vcc, s46, v19
	v_bfrev_b32_e32 v0, 1
	s_and_saveexec_b64 s[34:35], vcc
	s_cbranch_execz .LBB6_27788
; %bb.27783:                            ;   in Loop: Header=BB6_25823 Depth=3
	v_and_b32_e32 v0, 0x7c, v19
	v_and_b32_e32 v2, 3, v19
	v_cmp_ne_u32_e32 vcc, s86, v0
                                        ; implicit-def: $vgpr0
	s_and_saveexec_b64 s[62:63], vcc
	s_xor_b64 s[36:37], exec, s[62:63]
	s_cbranch_execz .LBB6_27785
; %bb.27784:                            ;   in Loop: Header=BB6_25823 Depth=3
	v_ffbh_u32_e32 v7, v2
	v_min_u32_e32 v7, 32, v7
	v_and_b32_e32 v0, 0xff, v19
	v_mov_b32_e32 v20, v33
	v_subrev_u32_e32 v15, 29, v7
	v_bfe_u32 v0, v0, 2, 5
	s_waitcnt vmcnt(0)
	v_lshlrev_b64 v[40:41], v15, v[19:20]
	v_sub_u32_e32 v7, 30, v7
	v_cmp_eq_u32_e32 vcc, 0, v0
	v_and_b32_e32 v15, 3, v40
	v_cndmask_b32_e32 v0, v0, v7, vcc
	v_and_b32_sdwa v7, sext(v19), s87 dst_sel:DWORD dst_unused:UNUSED_PAD src0_sel:WORD_0 src1_sel:DWORD
	v_cndmask_b32_e32 v2, v2, v15, vcc
	v_lshl_add_u32 v0, v0, 23, v7
	v_lshl_or_b32 v0, v2, 21, v0
	v_add_u32_e32 v0, 0x38000000, v0
                                        ; implicit-def: $vgpr2
                                        ; implicit-def: $vgpr19
.LBB6_27785:                            ;   in Loop: Header=BB6_25823 Depth=3
	s_andn2_saveexec_b64 s[36:37], s[36:37]
; %bb.27786:                            ;   in Loop: Header=BB6_25823 Depth=3
	v_cmp_lt_i16_e32 vcc, -1, v19
	v_mov_b32_e32 v0, 0xff800000
	v_mov_b32_e32 v7, 0x7f800000
	v_cndmask_b32_e32 v0, v0, v7, vcc
	v_cmp_eq_u32_e32 vcc, 0, v2
	v_mov_b32_e32 v2, 0x7f800001
	v_cndmask_b32_e32 v0, v2, v0, vcc
; %bb.27787:                            ;   in Loop: Header=BB6_25823 Depth=3
	s_or_b64 exec, exec, s[36:37]
.LBB6_27788:                            ;   in Loop: Header=BB6_25823 Depth=3
	s_or_b64 exec, exec, s[34:35]
.LBB6_27789:                            ;   in Loop: Header=BB6_25823 Depth=3
	s_or_b64 exec, exec, s[28:29]
	v_add_f32_e32 v2, v1, v0
	v_and_b32_e32 v19, 0x7f800000, v2
	v_mov_b32_e32 v20, v33
	v_cmp_ne_u64_e32 vcc, s[76:77], v[19:20]
	v_and_b32_e32 v0, 0x7fffff, v2
	v_mov_b32_e32 v1, v33
                                        ; implicit-def: $vgpr20
	s_and_saveexec_b64 s[28:29], vcc
	s_xor_b64 s[34:35], exec, s[28:29]
	s_cbranch_execz .LBB6_27807
; %bb.27790:                            ;   in Loop: Header=BB6_25823 Depth=3
	v_and_b32_e32 v19, 0x7fffffff, v2
	v_mov_b32_e32 v20, v33
	v_cmp_gt_u64_e32 vcc, s[78:79], v[19:20]
	v_and_b32_sdwa v7, v2, s97 dst_sel:DWORD dst_unused:UNUSED_PAD src0_sel:BYTE_3 src1_sel:DWORD
                                        ; implicit-def: $vgpr20
	s_and_saveexec_b64 s[28:29], vcc
	s_xor_b64 s[36:37], exec, s[28:29]
	s_cbranch_execz .LBB6_27804
; %bb.27791:                            ;   in Loop: Header=BB6_25823 Depth=3
	v_cmp_ne_u32_e32 vcc, 0, v2
	v_mov_b32_e32 v20, 0
	s_and_saveexec_b64 s[38:39], vcc
	s_cbranch_execz .LBB6_27803
; %bb.27792:                            ;   in Loop: Header=BB6_25823 Depth=3
	v_bfe_u32 v15, v2, 23, 8
	v_cmp_gt_u32_e64 s[28:29], s47, v15
	v_sub_u32_e32 v2, 0x71, v15
	v_cmp_eq_u32_e32 vcc, 0, v15
	v_cndmask_b32_e64 v2, 0, v2, s[28:29]
	v_mov_b32_e32 v19, 0x70
	v_cndmask_b32_e32 v19, v2, v19, vcc
	v_add_u32_e32 v2, 21, v19
	v_or_b32_e32 v20, 0x800000, v0
	s_waitcnt vmcnt(0)
	v_lshlrev_b64 v[40:41], v2, -1
	v_cndmask_b32_e32 v0, v20, v0, vcc
	v_add_u32_e32 v2, 20, v19
	v_bfi_b32 v40, v40, 0, v0
	v_lshlrev_b64 v[42:43], v2, 1
	v_lshrrev_b64 v[0:1], v19, v[0:1]
	v_bfi_b32 v41, v41, 0, 0
	v_cmp_eq_u64_e64 s[28:29], v[40:41], v[42:43]
	v_mov_b32_e32 v2, v1
	v_mov_b32_e32 v1, v0
	s_and_saveexec_b64 s[48:49], s[28:29]
; %bb.27793:                            ;   in Loop: Header=BB6_25823 Depth=3
	v_bfe_u32 v1, v0, 21, 1
	v_add_co_u32_e64 v1, s[28:29], v0, v1
	v_add_co_u32_e64 v1, s[28:29], -1, v1
; %bb.27794:                            ;   in Loop: Header=BB6_25823 Depth=3
	s_or_b64 exec, exec, s[48:49]
	v_add_u32_e32 v2, 0xffffff81, v15
	v_mov_b32_e32 v15, 0xffffff82
	v_cndmask_b32_e32 v2, v2, v15, vcc
	v_lshrrev_b32_e32 v15, 23, v0
	v_add3_u32 v19, v19, v2, v15
	v_add_u32_e32 v15, 14, v19
	v_and_b32_e32 v1, 0x1fffff, v1
	v_add_u32_e32 v0, v1, v0
	v_mov_b32_e32 v1, v33
	v_cmp_ne_u32_e32 vcc, 0, v15
                                        ; implicit-def: $vgpr2
	s_and_saveexec_b64 s[28:29], vcc
	s_xor_b64 s[28:29], exec, s[28:29]
; %bb.27795:                            ;   in Loop: Header=BB6_25823 Depth=3
	v_cmp_lt_u64_e32 vcc, s[88:89], v[0:1]
	v_add_u32_e32 v2, 15, v19
	v_cndmask_b32_e32 v2, v15, v2, vcc
	v_cndmask_b32_e64 v15, 0, 1, vcc
	v_lshrrev_b64 v[0:1], v15, v[0:1]
; %bb.27796:                            ;   in Loop: Header=BB6_25823 Depth=3
	s_andn2_saveexec_b64 s[28:29], s[28:29]
; %bb.27797:                            ;   in Loop: Header=BB6_25823 Depth=3
	v_bfe_u32 v2, v0, 23, 1
; %bb.27798:                            ;   in Loop: Header=BB6_25823 Depth=3
	s_or_b64 exec, exec, s[28:29]
	v_lshrrev_b64 v[0:1], 21, v[0:1]
	v_cmp_gt_i32_e32 vcc, 32, v2
	v_cndmask_b32_e32 v1, 0, v1, vcc
	v_cndmask_b32_e32 v0, 3, v0, vcc
	v_cmp_ne_u64_e32 vcc, 0, v[0:1]
	v_cmp_ne_u32_e64 s[28:29], 0, v2
	s_or_b64 s[28:29], s[28:29], vcc
                                        ; implicit-def: $vgpr20
	s_and_saveexec_b64 s[62:63], s[28:29]
	s_xor_b64 s[28:29], exec, s[62:63]
; %bb.27799:                            ;   in Loop: Header=BB6_25823 Depth=3
	v_min_i32_e32 v1, 31, v2
	v_lshl_or_b32 v1, v1, 2, v7
	v_and_or_b32 v20, v0, 3, v1
                                        ; implicit-def: $vgpr7
; %bb.27800:                            ;   in Loop: Header=BB6_25823 Depth=3
	s_andn2_saveexec_b64 s[28:29], s[28:29]
; %bb.27801:                            ;   in Loop: Header=BB6_25823 Depth=3
	v_mov_b32_e32 v20, v7
; %bb.27802:                            ;   in Loop: Header=BB6_25823 Depth=3
	s_or_b64 exec, exec, s[28:29]
.LBB6_27803:                            ;   in Loop: Header=BB6_25823 Depth=3
	s_or_b64 exec, exec, s[38:39]
                                        ; implicit-def: $vgpr7
.LBB6_27804:                            ;   in Loop: Header=BB6_25823 Depth=3
	s_andn2_saveexec_b64 s[28:29], s[36:37]
; %bb.27805:                            ;   in Loop: Header=BB6_25823 Depth=3
	v_or_b32_e32 v20, 0x7b, v7
; %bb.27806:                            ;   in Loop: Header=BB6_25823 Depth=3
	s_or_b64 exec, exec, s[28:29]
                                        ; implicit-def: $vgpr2
                                        ; implicit-def: $vgpr0_vgpr1
.LBB6_27807:                            ;   in Loop: Header=BB6_25823 Depth=3
	s_andn2_saveexec_b64 s[28:29], s[34:35]
	s_cbranch_execz .LBB6_27813
; %bb.27808:                            ;   in Loop: Header=BB6_25823 Depth=3
	v_cmp_ne_u64_e32 vcc, 0, v[0:1]
                                        ; implicit-def: $vgpr20
	s_and_saveexec_b64 s[62:63], vcc
	s_xor_b64 vcc, exec, s[62:63]
; %bb.27809:                            ;   in Loop: Header=BB6_25823 Depth=3
	v_or_b32_sdwa v20, v2, s44 dst_sel:DWORD dst_unused:UNUSED_PAD src0_sel:BYTE_3 src1_sel:DWORD
                                        ; implicit-def: $vgpr2
; %bb.27810:                            ;   in Loop: Header=BB6_25823 Depth=3
	s_andn2_saveexec_b64 s[34:35], vcc
; %bb.27811:                            ;   in Loop: Header=BB6_25823 Depth=3
	v_cmp_lt_i32_e32 vcc, -1, v2
	v_mov_b32_e32 v0, 0x7c
	v_cndmask_b32_e32 v20, -4, v0, vcc
; %bb.27812:                            ;   in Loop: Header=BB6_25823 Depth=3
	s_or_b64 exec, exec, s[34:35]
.LBB6_27813:                            ;   in Loop: Header=BB6_25823 Depth=3
	s_or_b64 exec, exec, s[28:29]
	buffer_load_dword v0, off, s[0:3], s33 offset:140 ; 4-byte Folded Reload
	buffer_load_dword v1, off, s[0:3], s33 offset:144 ; 4-byte Folded Reload
	s_waitcnt vmcnt(0)
	v_mov_b32_e32 v1, 0
	v_and_b32_e32 v7, 0xff, v0
	v_cmp_ne_u16_e32 vcc, 0, v7
	v_mov_b32_e32 v0, 0
	s_and_saveexec_b64 s[28:29], vcc
	s_cbranch_execz .LBB6_27821
; %bb.27814:                            ;   in Loop: Header=BB6_25823 Depth=3
	v_cmp_ne_u16_e32 vcc, s97, v7
	v_bfrev_b32_e32 v1, 1
	s_and_saveexec_b64 s[34:35], vcc
	s_cbranch_execz .LBB6_27820
; %bb.27815:                            ;   in Loop: Header=BB6_25823 Depth=3
	buffer_load_dword v1, off, s[0:3], s33 offset:140 ; 4-byte Folded Reload
	buffer_load_dword v2, off, s[0:3], s33 offset:144 ; 4-byte Folded Reload
	s_waitcnt vmcnt(0)
	v_and_b32_e32 v2, 3, v1
	v_and_b32_e32 v1, 0x7c, v1
	v_cmp_ne_u32_e32 vcc, s86, v1
                                        ; implicit-def: $vgpr1
	s_and_saveexec_b64 s[62:63], vcc
	s_xor_b64 s[36:37], exec, s[62:63]
	s_cbranch_execz .LBB6_27817
; %bb.27816:                            ;   in Loop: Header=BB6_25823 Depth=3
	buffer_load_dword v42, off, s[0:3], s33 offset:140 ; 4-byte Folded Reload
	buffer_load_dword v43, off, s[0:3], s33 offset:144 ; 4-byte Folded Reload
	v_bfe_u32 v1, v7, 2, 5
	v_ffbh_u32_e32 v7, v2
	v_min_u32_e32 v7, 32, v7
	s_waitcnt vmcnt(0)
	v_mov_b32_e32 v43, v33
	v_subrev_u32_e32 v15, 29, v7
	v_sub_u32_e32 v7, 30, v7
	v_cmp_eq_u32_e32 vcc, 0, v1
	v_cndmask_b32_e32 v1, v1, v7, vcc
	v_lshlrev_b32_e32 v7, 24, v42
	v_lshlrev_b64 v[40:41], v15, v[42:43]
	v_and_b32_e32 v7, 0x80000000, v7
	v_and_b32_e32 v15, 3, v40
	v_cndmask_b32_e32 v2, v2, v15, vcc
	v_lshl_add_u32 v1, v1, 23, v7
	v_lshl_or_b32 v1, v2, 21, v1
	v_add_u32_e32 v1, 0x38000000, v1
                                        ; implicit-def: $vgpr7
                                        ; implicit-def: $vgpr2
	buffer_store_dword v7, off, s[0:3], s33 offset:140 ; 4-byte Folded Spill
	s_nop 0
	buffer_store_dword v8, off, s[0:3], s33 offset:144 ; 4-byte Folded Spill
.LBB6_27817:                            ;   in Loop: Header=BB6_25823 Depth=3
	s_andn2_saveexec_b64 s[36:37], s[36:37]
	s_cbranch_execz .LBB6_27819
; %bb.27818:                            ;   in Loop: Header=BB6_25823 Depth=3
	buffer_load_dword v40, off, s[0:3], s33 offset:140 ; 4-byte Folded Reload
	buffer_load_dword v41, off, s[0:3], s33 offset:144 ; 4-byte Folded Reload
	v_mov_b32_e32 v1, -1
	v_mov_b32_e32 v7, 0x7f800000
	s_waitcnt vmcnt(1)
	v_cmp_gt_i16_sdwa vcc, sext(v40), v1 src0_sel:BYTE_0 src1_sel:DWORD
	v_mov_b32_e32 v1, 0xff800000
	v_cndmask_b32_e32 v1, v1, v7, vcc
	v_cmp_eq_u32_e32 vcc, 0, v2
	v_mov_b32_e32 v2, 0x7f800001
	v_cndmask_b32_e32 v1, v2, v1, vcc
.LBB6_27819:                            ;   in Loop: Header=BB6_25823 Depth=3
	s_or_b64 exec, exec, s[36:37]
.LBB6_27820:                            ;   in Loop: Header=BB6_25823 Depth=3
	s_or_b64 exec, exec, s[34:35]
.LBB6_27821:                            ;   in Loop: Header=BB6_25823 Depth=3
	s_or_b64 exec, exec, s[28:29]
	v_cmp_ne_u16_e32 vcc, 0, v18
	s_and_saveexec_b64 s[28:29], vcc
	s_cbranch_execz .LBB6_27829
; %bb.27822:                            ;   in Loop: Header=BB6_25823 Depth=3
	v_cmp_ne_u16_e32 vcc, s46, v18
	v_bfrev_b32_e32 v0, 1
	s_and_saveexec_b64 s[34:35], vcc
	s_cbranch_execz .LBB6_27828
; %bb.27823:                            ;   in Loop: Header=BB6_25823 Depth=3
	v_and_b32_e32 v0, 0x7c, v18
	v_and_b32_e32 v2, 3, v18
	v_cmp_ne_u32_e32 vcc, s86, v0
                                        ; implicit-def: $vgpr0
	s_and_saveexec_b64 s[62:63], vcc
	s_xor_b64 s[36:37], exec, s[62:63]
	s_cbranch_execz .LBB6_27825
; %bb.27824:                            ;   in Loop: Header=BB6_25823 Depth=3
	v_ffbh_u32_e32 v7, v2
	v_min_u32_e32 v7, 32, v7
	v_and_b32_e32 v0, 0xff, v18
	v_mov_b32_e32 v19, v33
	v_subrev_u32_e32 v15, 29, v7
	v_bfe_u32 v0, v0, 2, 5
	s_waitcnt vmcnt(0)
	v_lshlrev_b64 v[40:41], v15, v[18:19]
	v_sub_u32_e32 v7, 30, v7
	v_cmp_eq_u32_e32 vcc, 0, v0
	v_and_b32_e32 v15, 3, v40
	v_cndmask_b32_e32 v0, v0, v7, vcc
	v_and_b32_sdwa v7, sext(v18), s87 dst_sel:DWORD dst_unused:UNUSED_PAD src0_sel:WORD_0 src1_sel:DWORD
	v_cndmask_b32_e32 v2, v2, v15, vcc
	v_lshl_add_u32 v0, v0, 23, v7
	v_lshl_or_b32 v0, v2, 21, v0
	v_add_u32_e32 v0, 0x38000000, v0
                                        ; implicit-def: $vgpr2
                                        ; implicit-def: $vgpr18
.LBB6_27825:                            ;   in Loop: Header=BB6_25823 Depth=3
	s_andn2_saveexec_b64 s[36:37], s[36:37]
; %bb.27826:                            ;   in Loop: Header=BB6_25823 Depth=3
	v_cmp_lt_i16_e32 vcc, -1, v18
	v_mov_b32_e32 v0, 0xff800000
	v_mov_b32_e32 v7, 0x7f800000
	v_cndmask_b32_e32 v0, v0, v7, vcc
	v_cmp_eq_u32_e32 vcc, 0, v2
	v_mov_b32_e32 v2, 0x7f800001
	v_cndmask_b32_e32 v0, v2, v0, vcc
; %bb.27827:                            ;   in Loop: Header=BB6_25823 Depth=3
	s_or_b64 exec, exec, s[36:37]
.LBB6_27828:                            ;   in Loop: Header=BB6_25823 Depth=3
	s_or_b64 exec, exec, s[34:35]
.LBB6_27829:                            ;   in Loop: Header=BB6_25823 Depth=3
	s_or_b64 exec, exec, s[28:29]
	v_add_f32_e32 v2, v1, v0
	v_and_b32_e32 v18, 0x7f800000, v2
	v_mov_b32_e32 v19, v33
	v_cmp_ne_u64_e32 vcc, s[76:77], v[18:19]
	v_and_b32_e32 v0, 0x7fffff, v2
	v_mov_b32_e32 v1, v33
                                        ; implicit-def: $vgpr18
	s_and_saveexec_b64 s[28:29], vcc
	s_xor_b64 s[34:35], exec, s[28:29]
	s_cbranch_execz .LBB6_27847
; %bb.27830:                            ;   in Loop: Header=BB6_25823 Depth=3
	v_and_b32_e32 v18, 0x7fffffff, v2
	v_mov_b32_e32 v19, v33
	v_cmp_gt_u64_e32 vcc, s[78:79], v[18:19]
	v_and_b32_sdwa v7, v2, s97 dst_sel:DWORD dst_unused:UNUSED_PAD src0_sel:BYTE_3 src1_sel:DWORD
                                        ; implicit-def: $vgpr18
	s_and_saveexec_b64 s[28:29], vcc
	s_xor_b64 s[36:37], exec, s[28:29]
	s_cbranch_execz .LBB6_27844
; %bb.27831:                            ;   in Loop: Header=BB6_25823 Depth=3
	v_cmp_ne_u32_e32 vcc, 0, v2
	v_mov_b32_e32 v18, 0
	s_and_saveexec_b64 s[38:39], vcc
	s_cbranch_execz .LBB6_27843
; %bb.27832:                            ;   in Loop: Header=BB6_25823 Depth=3
	v_bfe_u32 v15, v2, 23, 8
	v_cmp_gt_u32_e64 s[28:29], s47, v15
	v_sub_u32_e32 v2, 0x71, v15
	v_cmp_eq_u32_e32 vcc, 0, v15
	v_cndmask_b32_e64 v2, 0, v2, s[28:29]
	v_mov_b32_e32 v18, 0x70
	v_cndmask_b32_e32 v18, v2, v18, vcc
	v_add_u32_e32 v2, 21, v18
	v_or_b32_e32 v19, 0x800000, v0
	s_waitcnt vmcnt(0)
	v_lshlrev_b64 v[40:41], v2, -1
	v_cndmask_b32_e32 v0, v19, v0, vcc
	v_add_u32_e32 v2, 20, v18
	v_bfi_b32 v40, v40, 0, v0
	v_lshlrev_b64 v[42:43], v2, 1
	v_lshrrev_b64 v[0:1], v18, v[0:1]
	v_bfi_b32 v41, v41, 0, 0
	v_cmp_eq_u64_e64 s[28:29], v[40:41], v[42:43]
	v_mov_b32_e32 v2, v1
	v_mov_b32_e32 v1, v0
	s_and_saveexec_b64 s[48:49], s[28:29]
; %bb.27833:                            ;   in Loop: Header=BB6_25823 Depth=3
	v_bfe_u32 v1, v0, 21, 1
	v_add_co_u32_e64 v1, s[28:29], v0, v1
	v_add_co_u32_e64 v1, s[28:29], -1, v1
; %bb.27834:                            ;   in Loop: Header=BB6_25823 Depth=3
	s_or_b64 exec, exec, s[48:49]
	v_add_u32_e32 v2, 0xffffff81, v15
	v_mov_b32_e32 v15, 0xffffff82
	v_cndmask_b32_e32 v2, v2, v15, vcc
	v_lshrrev_b32_e32 v15, 23, v0
	v_add3_u32 v18, v18, v2, v15
	v_add_u32_e32 v15, 14, v18
	v_and_b32_e32 v1, 0x1fffff, v1
	v_add_u32_e32 v0, v1, v0
	v_mov_b32_e32 v1, v33
	v_cmp_ne_u32_e32 vcc, 0, v15
                                        ; implicit-def: $vgpr2
	s_and_saveexec_b64 s[28:29], vcc
	s_xor_b64 s[28:29], exec, s[28:29]
; %bb.27835:                            ;   in Loop: Header=BB6_25823 Depth=3
	v_cmp_lt_u64_e32 vcc, s[88:89], v[0:1]
	v_add_u32_e32 v2, 15, v18
	v_cndmask_b32_e32 v2, v15, v2, vcc
	v_cndmask_b32_e64 v15, 0, 1, vcc
	v_lshrrev_b64 v[0:1], v15, v[0:1]
; %bb.27836:                            ;   in Loop: Header=BB6_25823 Depth=3
	s_andn2_saveexec_b64 s[28:29], s[28:29]
; %bb.27837:                            ;   in Loop: Header=BB6_25823 Depth=3
	v_bfe_u32 v2, v0, 23, 1
; %bb.27838:                            ;   in Loop: Header=BB6_25823 Depth=3
	s_or_b64 exec, exec, s[28:29]
	v_lshrrev_b64 v[0:1], 21, v[0:1]
	v_cmp_gt_i32_e32 vcc, 32, v2
	v_cndmask_b32_e32 v1, 0, v1, vcc
	v_cndmask_b32_e32 v0, 3, v0, vcc
	v_cmp_ne_u64_e32 vcc, 0, v[0:1]
	v_cmp_ne_u32_e64 s[28:29], 0, v2
	s_or_b64 s[28:29], s[28:29], vcc
                                        ; implicit-def: $vgpr18
	s_and_saveexec_b64 s[62:63], s[28:29]
	s_xor_b64 s[28:29], exec, s[62:63]
; %bb.27839:                            ;   in Loop: Header=BB6_25823 Depth=3
	v_min_i32_e32 v1, 31, v2
	v_lshl_or_b32 v1, v1, 2, v7
	v_and_or_b32 v18, v0, 3, v1
                                        ; implicit-def: $vgpr7
; %bb.27840:                            ;   in Loop: Header=BB6_25823 Depth=3
	s_andn2_saveexec_b64 s[28:29], s[28:29]
; %bb.27841:                            ;   in Loop: Header=BB6_25823 Depth=3
	v_mov_b32_e32 v18, v7
; %bb.27842:                            ;   in Loop: Header=BB6_25823 Depth=3
	s_or_b64 exec, exec, s[28:29]
.LBB6_27843:                            ;   in Loop: Header=BB6_25823 Depth=3
	s_or_b64 exec, exec, s[38:39]
                                        ; implicit-def: $vgpr7
.LBB6_27844:                            ;   in Loop: Header=BB6_25823 Depth=3
	s_andn2_saveexec_b64 s[28:29], s[36:37]
; %bb.27845:                            ;   in Loop: Header=BB6_25823 Depth=3
	v_or_b32_e32 v18, 0x7b, v7
; %bb.27846:                            ;   in Loop: Header=BB6_25823 Depth=3
	s_or_b64 exec, exec, s[28:29]
                                        ; implicit-def: $vgpr2
                                        ; implicit-def: $vgpr0_vgpr1
.LBB6_27847:                            ;   in Loop: Header=BB6_25823 Depth=3
	s_andn2_saveexec_b64 s[28:29], s[34:35]
	s_cbranch_execz .LBB6_27853
; %bb.27848:                            ;   in Loop: Header=BB6_25823 Depth=3
	v_cmp_ne_u64_e32 vcc, 0, v[0:1]
                                        ; implicit-def: $vgpr18
	s_and_saveexec_b64 s[62:63], vcc
	s_xor_b64 vcc, exec, s[62:63]
; %bb.27849:                            ;   in Loop: Header=BB6_25823 Depth=3
	v_or_b32_sdwa v18, v2, s44 dst_sel:DWORD dst_unused:UNUSED_PAD src0_sel:BYTE_3 src1_sel:DWORD
                                        ; implicit-def: $vgpr2
; %bb.27850:                            ;   in Loop: Header=BB6_25823 Depth=3
	s_andn2_saveexec_b64 s[34:35], vcc
; %bb.27851:                            ;   in Loop: Header=BB6_25823 Depth=3
	v_cmp_lt_i32_e32 vcc, -1, v2
	v_mov_b32_e32 v0, 0x7c
	v_cndmask_b32_e32 v18, -4, v0, vcc
; %bb.27852:                            ;   in Loop: Header=BB6_25823 Depth=3
	s_or_b64 exec, exec, s[34:35]
.LBB6_27853:                            ;   in Loop: Header=BB6_25823 Depth=3
	s_or_b64 exec, exec, s[28:29]
	buffer_load_dword v0, off, s[0:3], s33 offset:132 ; 4-byte Folded Reload
	buffer_load_dword v1, off, s[0:3], s33 offset:136 ; 4-byte Folded Reload
	s_waitcnt vmcnt(0)
	v_mov_b32_e32 v1, 0
	v_and_b32_e32 v7, 0xff, v0
	v_cmp_ne_u16_e32 vcc, 0, v7
	v_mov_b32_e32 v0, 0
	s_and_saveexec_b64 s[28:29], vcc
	s_cbranch_execz .LBB6_27861
; %bb.27854:                            ;   in Loop: Header=BB6_25823 Depth=3
	v_cmp_ne_u16_e32 vcc, s97, v7
	v_bfrev_b32_e32 v1, 1
	s_and_saveexec_b64 s[34:35], vcc
	s_cbranch_execz .LBB6_27860
; %bb.27855:                            ;   in Loop: Header=BB6_25823 Depth=3
	buffer_load_dword v1, off, s[0:3], s33 offset:132 ; 4-byte Folded Reload
	buffer_load_dword v2, off, s[0:3], s33 offset:136 ; 4-byte Folded Reload
	s_waitcnt vmcnt(0)
	v_and_b32_e32 v2, 3, v1
	v_and_b32_e32 v1, 0x7c, v1
	v_cmp_ne_u32_e32 vcc, s86, v1
                                        ; implicit-def: $vgpr1
	s_and_saveexec_b64 s[62:63], vcc
	s_xor_b64 s[36:37], exec, s[62:63]
	s_cbranch_execz .LBB6_27857
; %bb.27856:                            ;   in Loop: Header=BB6_25823 Depth=3
	buffer_load_dword v42, off, s[0:3], s33 offset:132 ; 4-byte Folded Reload
	buffer_load_dword v43, off, s[0:3], s33 offset:136 ; 4-byte Folded Reload
	v_bfe_u32 v1, v7, 2, 5
	v_ffbh_u32_e32 v7, v2
	v_min_u32_e32 v7, 32, v7
	s_waitcnt vmcnt(0)
	v_mov_b32_e32 v43, v33
	v_subrev_u32_e32 v15, 29, v7
	v_sub_u32_e32 v7, 30, v7
	v_cmp_eq_u32_e32 vcc, 0, v1
	v_cndmask_b32_e32 v1, v1, v7, vcc
	v_lshlrev_b32_e32 v7, 24, v42
	v_lshlrev_b64 v[40:41], v15, v[42:43]
	v_and_b32_e32 v7, 0x80000000, v7
	v_and_b32_e32 v15, 3, v40
	v_cndmask_b32_e32 v2, v2, v15, vcc
	v_lshl_add_u32 v1, v1, 23, v7
	v_lshl_or_b32 v1, v2, 21, v1
	v_add_u32_e32 v1, 0x38000000, v1
                                        ; implicit-def: $vgpr7
                                        ; implicit-def: $vgpr2
	buffer_store_dword v7, off, s[0:3], s33 offset:132 ; 4-byte Folded Spill
	s_nop 0
	buffer_store_dword v8, off, s[0:3], s33 offset:136 ; 4-byte Folded Spill
.LBB6_27857:                            ;   in Loop: Header=BB6_25823 Depth=3
	s_andn2_saveexec_b64 s[36:37], s[36:37]
	s_cbranch_execz .LBB6_27859
; %bb.27858:                            ;   in Loop: Header=BB6_25823 Depth=3
	buffer_load_dword v40, off, s[0:3], s33 offset:132 ; 4-byte Folded Reload
	buffer_load_dword v41, off, s[0:3], s33 offset:136 ; 4-byte Folded Reload
	v_mov_b32_e32 v1, -1
	v_mov_b32_e32 v7, 0x7f800000
	s_waitcnt vmcnt(1)
	v_cmp_gt_i16_sdwa vcc, sext(v40), v1 src0_sel:BYTE_0 src1_sel:DWORD
	v_mov_b32_e32 v1, 0xff800000
	v_cndmask_b32_e32 v1, v1, v7, vcc
	v_cmp_eq_u32_e32 vcc, 0, v2
	v_mov_b32_e32 v2, 0x7f800001
	v_cndmask_b32_e32 v1, v2, v1, vcc
.LBB6_27859:                            ;   in Loop: Header=BB6_25823 Depth=3
	s_or_b64 exec, exec, s[36:37]
.LBB6_27860:                            ;   in Loop: Header=BB6_25823 Depth=3
	s_or_b64 exec, exec, s[34:35]
.LBB6_27861:                            ;   in Loop: Header=BB6_25823 Depth=3
	s_or_b64 exec, exec, s[28:29]
	v_cmp_ne_u16_e32 vcc, 0, v39
	s_and_saveexec_b64 s[28:29], vcc
	s_cbranch_execz .LBB6_27869
; %bb.27862:                            ;   in Loop: Header=BB6_25823 Depth=3
	v_cmp_ne_u16_e32 vcc, s46, v39
	v_bfrev_b32_e32 v0, 1
	s_and_saveexec_b64 s[34:35], vcc
	s_cbranch_execz .LBB6_27868
; %bb.27863:                            ;   in Loop: Header=BB6_25823 Depth=3
	v_and_b32_e32 v0, 0x7c, v39
	v_and_b32_e32 v2, 3, v39
	v_cmp_ne_u32_e32 vcc, s86, v0
                                        ; implicit-def: $vgpr0
	s_and_saveexec_b64 s[62:63], vcc
	s_xor_b64 s[36:37], exec, s[62:63]
	s_cbranch_execz .LBB6_27865
; %bb.27864:                            ;   in Loop: Header=BB6_25823 Depth=3
	v_ffbh_u32_e32 v7, v2
	v_min_u32_e32 v7, 32, v7
	v_and_b32_e32 v0, 0xff, v39
	v_mov_b32_e32 v40, v33
	v_subrev_u32_e32 v15, 29, v7
	v_bfe_u32 v0, v0, 2, 5
	s_waitcnt vmcnt(0)
	v_lshlrev_b64 v[40:41], v15, v[39:40]
	v_sub_u32_e32 v7, 30, v7
	v_cmp_eq_u32_e32 vcc, 0, v0
	v_and_b32_e32 v15, 3, v40
	v_cndmask_b32_e32 v0, v0, v7, vcc
	v_and_b32_sdwa v7, sext(v39), s87 dst_sel:DWORD dst_unused:UNUSED_PAD src0_sel:WORD_0 src1_sel:DWORD
	v_cndmask_b32_e32 v2, v2, v15, vcc
	v_lshl_add_u32 v0, v0, 23, v7
	v_lshl_or_b32 v0, v2, 21, v0
	v_add_u32_e32 v0, 0x38000000, v0
                                        ; implicit-def: $vgpr2
                                        ; implicit-def: $vgpr39
.LBB6_27865:                            ;   in Loop: Header=BB6_25823 Depth=3
	s_andn2_saveexec_b64 s[36:37], s[36:37]
; %bb.27866:                            ;   in Loop: Header=BB6_25823 Depth=3
	v_cmp_lt_i16_e32 vcc, -1, v39
	v_mov_b32_e32 v0, 0xff800000
	v_mov_b32_e32 v7, 0x7f800000
	v_cndmask_b32_e32 v0, v0, v7, vcc
	v_cmp_eq_u32_e32 vcc, 0, v2
	v_mov_b32_e32 v2, 0x7f800001
	v_cndmask_b32_e32 v0, v2, v0, vcc
; %bb.27867:                            ;   in Loop: Header=BB6_25823 Depth=3
	s_or_b64 exec, exec, s[36:37]
.LBB6_27868:                            ;   in Loop: Header=BB6_25823 Depth=3
	s_or_b64 exec, exec, s[34:35]
.LBB6_27869:                            ;   in Loop: Header=BB6_25823 Depth=3
	s_or_b64 exec, exec, s[28:29]
	v_add_f32_e32 v2, v1, v0
	v_and_b32_e32 v38, 0x7f800000, v2
	v_mov_b32_e32 v39, v33
	v_cmp_ne_u64_e32 vcc, s[76:77], v[38:39]
	v_and_b32_e32 v0, 0x7fffff, v2
	v_mov_b32_e32 v1, v33
                                        ; implicit-def: $vgpr19
	s_and_saveexec_b64 s[28:29], vcc
	s_xor_b64 s[34:35], exec, s[28:29]
	s_cbranch_execz .LBB6_27887
; %bb.27870:                            ;   in Loop: Header=BB6_25823 Depth=3
	v_and_b32_e32 v38, 0x7fffffff, v2
	v_mov_b32_e32 v39, v33
	v_cmp_gt_u64_e32 vcc, s[78:79], v[38:39]
	v_and_b32_sdwa v7, v2, s97 dst_sel:DWORD dst_unused:UNUSED_PAD src0_sel:BYTE_3 src1_sel:DWORD
                                        ; implicit-def: $vgpr19
	s_and_saveexec_b64 s[28:29], vcc
	s_xor_b64 s[36:37], exec, s[28:29]
	s_cbranch_execz .LBB6_27884
; %bb.27871:                            ;   in Loop: Header=BB6_25823 Depth=3
	v_cmp_ne_u32_e32 vcc, 0, v2
	v_mov_b32_e32 v19, 0
	s_and_saveexec_b64 s[38:39], vcc
	s_cbranch_execz .LBB6_27883
; %bb.27872:                            ;   in Loop: Header=BB6_25823 Depth=3
	v_bfe_u32 v15, v2, 23, 8
	v_cmp_gt_u32_e64 s[28:29], s47, v15
	v_sub_u32_e32 v2, 0x71, v15
	v_cmp_eq_u32_e32 vcc, 0, v15
	v_cndmask_b32_e64 v2, 0, v2, s[28:29]
	v_mov_b32_e32 v19, 0x70
	v_cndmask_b32_e32 v19, v2, v19, vcc
	v_add_u32_e32 v2, 21, v19
	v_or_b32_e32 v25, 0x800000, v0
	v_lshlrev_b64 v[38:39], v2, -1
	v_cndmask_b32_e32 v0, v25, v0, vcc
	v_add_u32_e32 v2, 20, v19
	v_bfi_b32 v38, v38, 0, v0
	s_waitcnt vmcnt(0)
	v_lshlrev_b64 v[40:41], v2, 1
	v_lshrrev_b64 v[0:1], v19, v[0:1]
	v_bfi_b32 v39, v39, 0, 0
	v_cmp_eq_u64_e64 s[28:29], v[38:39], v[40:41]
	v_mov_b32_e32 v2, v1
	v_mov_b32_e32 v1, v0
	s_and_saveexec_b64 s[48:49], s[28:29]
; %bb.27873:                            ;   in Loop: Header=BB6_25823 Depth=3
	v_bfe_u32 v1, v0, 21, 1
	v_add_co_u32_e64 v1, s[28:29], v0, v1
	v_add_co_u32_e64 v1, s[28:29], -1, v1
; %bb.27874:                            ;   in Loop: Header=BB6_25823 Depth=3
	s_or_b64 exec, exec, s[48:49]
	v_add_u32_e32 v2, 0xffffff81, v15
	v_mov_b32_e32 v15, 0xffffff82
	v_cndmask_b32_e32 v2, v2, v15, vcc
	v_lshrrev_b32_e32 v15, 23, v0
	v_add3_u32 v19, v19, v2, v15
	v_add_u32_e32 v15, 14, v19
	v_and_b32_e32 v1, 0x1fffff, v1
	v_add_u32_e32 v0, v1, v0
	v_mov_b32_e32 v1, v33
	v_cmp_ne_u32_e32 vcc, 0, v15
                                        ; implicit-def: $vgpr2
	s_and_saveexec_b64 s[28:29], vcc
	s_xor_b64 s[28:29], exec, s[28:29]
; %bb.27875:                            ;   in Loop: Header=BB6_25823 Depth=3
	v_cmp_lt_u64_e32 vcc, s[88:89], v[0:1]
	v_add_u32_e32 v2, 15, v19
	v_cndmask_b32_e32 v2, v15, v2, vcc
	v_cndmask_b32_e64 v15, 0, 1, vcc
	v_lshrrev_b64 v[0:1], v15, v[0:1]
; %bb.27876:                            ;   in Loop: Header=BB6_25823 Depth=3
	s_andn2_saveexec_b64 s[28:29], s[28:29]
; %bb.27877:                            ;   in Loop: Header=BB6_25823 Depth=3
	v_bfe_u32 v2, v0, 23, 1
; %bb.27878:                            ;   in Loop: Header=BB6_25823 Depth=3
	s_or_b64 exec, exec, s[28:29]
	v_lshrrev_b64 v[0:1], 21, v[0:1]
	v_cmp_gt_i32_e32 vcc, 32, v2
	v_cndmask_b32_e32 v1, 0, v1, vcc
	v_cndmask_b32_e32 v0, 3, v0, vcc
	v_cmp_ne_u64_e32 vcc, 0, v[0:1]
	v_cmp_ne_u32_e64 s[28:29], 0, v2
	s_or_b64 s[28:29], s[28:29], vcc
                                        ; implicit-def: $vgpr19
	s_and_saveexec_b64 s[62:63], s[28:29]
	s_xor_b64 s[28:29], exec, s[62:63]
; %bb.27879:                            ;   in Loop: Header=BB6_25823 Depth=3
	v_min_i32_e32 v1, 31, v2
	v_lshl_or_b32 v1, v1, 2, v7
	v_and_or_b32 v19, v0, 3, v1
                                        ; implicit-def: $vgpr7
; %bb.27880:                            ;   in Loop: Header=BB6_25823 Depth=3
	s_andn2_saveexec_b64 s[28:29], s[28:29]
; %bb.27881:                            ;   in Loop: Header=BB6_25823 Depth=3
	v_mov_b32_e32 v19, v7
; %bb.27882:                            ;   in Loop: Header=BB6_25823 Depth=3
	s_or_b64 exec, exec, s[28:29]
.LBB6_27883:                            ;   in Loop: Header=BB6_25823 Depth=3
	s_or_b64 exec, exec, s[38:39]
                                        ; implicit-def: $vgpr7
.LBB6_27884:                            ;   in Loop: Header=BB6_25823 Depth=3
	s_andn2_saveexec_b64 s[28:29], s[36:37]
; %bb.27885:                            ;   in Loop: Header=BB6_25823 Depth=3
	v_or_b32_e32 v19, 0x7b, v7
; %bb.27886:                            ;   in Loop: Header=BB6_25823 Depth=3
	s_or_b64 exec, exec, s[28:29]
                                        ; implicit-def: $vgpr2
                                        ; implicit-def: $vgpr0_vgpr1
.LBB6_27887:                            ;   in Loop: Header=BB6_25823 Depth=3
	s_andn2_saveexec_b64 s[28:29], s[34:35]
	s_cbranch_execz .LBB6_27893
; %bb.27888:                            ;   in Loop: Header=BB6_25823 Depth=3
	v_cmp_ne_u64_e32 vcc, 0, v[0:1]
                                        ; implicit-def: $vgpr19
	s_and_saveexec_b64 s[62:63], vcc
	s_xor_b64 vcc, exec, s[62:63]
; %bb.27889:                            ;   in Loop: Header=BB6_25823 Depth=3
	v_or_b32_sdwa v19, v2, s44 dst_sel:DWORD dst_unused:UNUSED_PAD src0_sel:BYTE_3 src1_sel:DWORD
                                        ; implicit-def: $vgpr2
; %bb.27890:                            ;   in Loop: Header=BB6_25823 Depth=3
	s_andn2_saveexec_b64 s[34:35], vcc
; %bb.27891:                            ;   in Loop: Header=BB6_25823 Depth=3
	v_cmp_lt_i32_e32 vcc, -1, v2
	v_mov_b32_e32 v0, 0x7c
	v_cndmask_b32_e32 v19, -4, v0, vcc
; %bb.27892:                            ;   in Loop: Header=BB6_25823 Depth=3
	s_or_b64 exec, exec, s[34:35]
.LBB6_27893:                            ;   in Loop: Header=BB6_25823 Depth=3
	s_or_b64 exec, exec, s[28:29]
	buffer_load_dword v0, off, s[0:3], s33 offset:124 ; 4-byte Folded Reload
	buffer_load_dword v1, off, s[0:3], s33 offset:128 ; 4-byte Folded Reload
	s_waitcnt vmcnt(0)
	v_mov_b32_e32 v1, 0
	v_and_b32_e32 v7, 0xff, v0
	v_cmp_ne_u16_e32 vcc, 0, v7
	v_mov_b32_e32 v0, 0
	s_and_saveexec_b64 s[28:29], vcc
	s_cbranch_execz .LBB6_27901
; %bb.27894:                            ;   in Loop: Header=BB6_25823 Depth=3
	v_cmp_ne_u16_e32 vcc, s97, v7
	v_bfrev_b32_e32 v1, 1
	s_and_saveexec_b64 s[34:35], vcc
	s_cbranch_execz .LBB6_27900
; %bb.27895:                            ;   in Loop: Header=BB6_25823 Depth=3
	buffer_load_dword v1, off, s[0:3], s33 offset:124 ; 4-byte Folded Reload
	buffer_load_dword v2, off, s[0:3], s33 offset:128 ; 4-byte Folded Reload
	s_waitcnt vmcnt(0)
	v_and_b32_e32 v2, 3, v1
	v_and_b32_e32 v1, 0x7c, v1
	v_cmp_ne_u32_e32 vcc, s86, v1
                                        ; implicit-def: $vgpr1
	s_and_saveexec_b64 s[62:63], vcc
	s_xor_b64 s[36:37], exec, s[62:63]
	s_cbranch_execz .LBB6_27897
; %bb.27896:                            ;   in Loop: Header=BB6_25823 Depth=3
	buffer_load_dword v40, off, s[0:3], s33 offset:124 ; 4-byte Folded Reload
	buffer_load_dword v41, off, s[0:3], s33 offset:128 ; 4-byte Folded Reload
	v_bfe_u32 v1, v7, 2, 5
	v_ffbh_u32_e32 v7, v2
	v_min_u32_e32 v7, 32, v7
	s_waitcnt vmcnt(0)
	v_mov_b32_e32 v41, v33
	v_subrev_u32_e32 v15, 29, v7
	v_sub_u32_e32 v7, 30, v7
	v_cmp_eq_u32_e32 vcc, 0, v1
	v_cndmask_b32_e32 v1, v1, v7, vcc
	v_lshlrev_b32_e32 v7, 24, v40
	v_lshlrev_b64 v[38:39], v15, v[40:41]
	v_and_b32_e32 v7, 0x80000000, v7
	v_and_b32_e32 v15, 3, v38
	v_cndmask_b32_e32 v2, v2, v15, vcc
	v_lshl_add_u32 v1, v1, 23, v7
	v_lshl_or_b32 v1, v2, 21, v1
	v_add_u32_e32 v1, 0x38000000, v1
                                        ; implicit-def: $vgpr7
                                        ; implicit-def: $vgpr2
	buffer_store_dword v7, off, s[0:3], s33 offset:124 ; 4-byte Folded Spill
	s_nop 0
	buffer_store_dword v8, off, s[0:3], s33 offset:128 ; 4-byte Folded Spill
.LBB6_27897:                            ;   in Loop: Header=BB6_25823 Depth=3
	s_andn2_saveexec_b64 s[36:37], s[36:37]
	s_cbranch_execz .LBB6_27899
; %bb.27898:                            ;   in Loop: Header=BB6_25823 Depth=3
	buffer_load_dword v38, off, s[0:3], s33 offset:124 ; 4-byte Folded Reload
	buffer_load_dword v39, off, s[0:3], s33 offset:128 ; 4-byte Folded Reload
	v_mov_b32_e32 v1, -1
	v_mov_b32_e32 v7, 0x7f800000
	s_waitcnt vmcnt(1)
	v_cmp_gt_i16_sdwa vcc, sext(v38), v1 src0_sel:BYTE_0 src1_sel:DWORD
	v_mov_b32_e32 v1, 0xff800000
	v_cndmask_b32_e32 v1, v1, v7, vcc
	v_cmp_eq_u32_e32 vcc, 0, v2
	v_mov_b32_e32 v2, 0x7f800001
	v_cndmask_b32_e32 v1, v2, v1, vcc
.LBB6_27899:                            ;   in Loop: Header=BB6_25823 Depth=3
	s_or_b64 exec, exec, s[36:37]
.LBB6_27900:                            ;   in Loop: Header=BB6_25823 Depth=3
	s_or_b64 exec, exec, s[34:35]
.LBB6_27901:                            ;   in Loop: Header=BB6_25823 Depth=3
	s_or_b64 exec, exec, s[28:29]
	v_cmp_ne_u16_e32 vcc, 0, v14
	s_and_saveexec_b64 s[28:29], vcc
	s_cbranch_execz .LBB6_27909
; %bb.27902:                            ;   in Loop: Header=BB6_25823 Depth=3
	v_cmp_ne_u16_e32 vcc, s46, v14
	v_bfrev_b32_e32 v0, 1
	s_and_saveexec_b64 s[34:35], vcc
	s_cbranch_execz .LBB6_27908
; %bb.27903:                            ;   in Loop: Header=BB6_25823 Depth=3
	v_and_b32_e32 v0, 0x7c, v14
	v_and_b32_e32 v2, 3, v14
	v_cmp_ne_u32_e32 vcc, s86, v0
                                        ; implicit-def: $vgpr0
	s_and_saveexec_b64 s[62:63], vcc
	s_xor_b64 s[36:37], exec, s[62:63]
	s_cbranch_execz .LBB6_27905
; %bb.27904:                            ;   in Loop: Header=BB6_25823 Depth=3
	v_ffbh_u32_e32 v7, v2
	v_min_u32_e32 v7, 32, v7
	v_and_b32_e32 v0, 0xff, v14
	v_mov_b32_e32 v15, v33
	v_subrev_u32_e32 v25, 29, v7
	v_bfe_u32 v0, v0, 2, 5
	s_waitcnt vmcnt(0)
	v_lshlrev_b64 v[38:39], v25, v[14:15]
	v_sub_u32_e32 v7, 30, v7
	v_cmp_eq_u32_e32 vcc, 0, v0
	v_and_b32_e32 v15, 3, v38
	v_cndmask_b32_e32 v0, v0, v7, vcc
	v_and_b32_sdwa v7, sext(v14), s87 dst_sel:DWORD dst_unused:UNUSED_PAD src0_sel:WORD_0 src1_sel:DWORD
	v_cndmask_b32_e32 v2, v2, v15, vcc
	v_lshl_add_u32 v0, v0, 23, v7
	v_lshl_or_b32 v0, v2, 21, v0
	v_add_u32_e32 v0, 0x38000000, v0
                                        ; implicit-def: $vgpr2
                                        ; implicit-def: $vgpr14
.LBB6_27905:                            ;   in Loop: Header=BB6_25823 Depth=3
	s_andn2_saveexec_b64 s[36:37], s[36:37]
; %bb.27906:                            ;   in Loop: Header=BB6_25823 Depth=3
	v_cmp_lt_i16_e32 vcc, -1, v14
	v_mov_b32_e32 v0, 0xff800000
	v_mov_b32_e32 v7, 0x7f800000
	v_cndmask_b32_e32 v0, v0, v7, vcc
	v_cmp_eq_u32_e32 vcc, 0, v2
	v_mov_b32_e32 v2, 0x7f800001
	v_cndmask_b32_e32 v0, v2, v0, vcc
; %bb.27907:                            ;   in Loop: Header=BB6_25823 Depth=3
	s_or_b64 exec, exec, s[36:37]
.LBB6_27908:                            ;   in Loop: Header=BB6_25823 Depth=3
	s_or_b64 exec, exec, s[34:35]
.LBB6_27909:                            ;   in Loop: Header=BB6_25823 Depth=3
	s_or_b64 exec, exec, s[28:29]
	v_add_f32_e32 v2, v1, v0
	v_and_b32_e32 v14, 0x7f800000, v2
	v_mov_b32_e32 v15, v33
	v_cmp_ne_u64_e32 vcc, s[76:77], v[14:15]
	v_and_b32_e32 v0, 0x7fffff, v2
	v_mov_b32_e32 v1, v33
                                        ; implicit-def: $vgpr14
	s_and_saveexec_b64 s[28:29], vcc
	s_xor_b64 s[34:35], exec, s[28:29]
	s_cbranch_execz .LBB6_27927
; %bb.27910:                            ;   in Loop: Header=BB6_25823 Depth=3
	v_and_b32_e32 v14, 0x7fffffff, v2
	v_mov_b32_e32 v15, v33
	v_cmp_gt_u64_e32 vcc, s[78:79], v[14:15]
	v_and_b32_sdwa v7, v2, s97 dst_sel:DWORD dst_unused:UNUSED_PAD src0_sel:BYTE_3 src1_sel:DWORD
                                        ; implicit-def: $vgpr14
	s_and_saveexec_b64 s[28:29], vcc
	s_xor_b64 s[36:37], exec, s[28:29]
	s_cbranch_execz .LBB6_27924
; %bb.27911:                            ;   in Loop: Header=BB6_25823 Depth=3
	v_cmp_ne_u32_e32 vcc, 0, v2
	v_mov_b32_e32 v14, 0
	s_and_saveexec_b64 s[38:39], vcc
	s_cbranch_execz .LBB6_27923
; %bb.27912:                            ;   in Loop: Header=BB6_25823 Depth=3
	v_bfe_u32 v14, v2, 23, 8
	v_cmp_gt_u32_e64 s[28:29], s47, v14
	v_sub_u32_e32 v2, 0x71, v14
	v_cmp_eq_u32_e32 vcc, 0, v14
	v_cndmask_b32_e64 v2, 0, v2, s[28:29]
	v_mov_b32_e32 v15, 0x70
	v_cndmask_b32_e32 v15, v2, v15, vcc
	v_add_u32_e32 v2, 21, v15
	v_or_b32_e32 v25, 0x800000, v0
	s_waitcnt vmcnt(0)
	v_lshlrev_b64 v[38:39], v2, -1
	v_cndmask_b32_e32 v0, v25, v0, vcc
	v_add_u32_e32 v2, 20, v15
	v_bfi_b32 v38, v38, 0, v0
	v_lshlrev_b64 v[40:41], v2, 1
	v_lshrrev_b64 v[0:1], v15, v[0:1]
	v_bfi_b32 v39, v39, 0, 0
	v_cmp_eq_u64_e64 s[28:29], v[38:39], v[40:41]
	v_mov_b32_e32 v2, v1
	v_mov_b32_e32 v1, v0
	s_and_saveexec_b64 s[48:49], s[28:29]
; %bb.27913:                            ;   in Loop: Header=BB6_25823 Depth=3
	v_bfe_u32 v1, v0, 21, 1
	v_add_co_u32_e64 v1, s[28:29], v0, v1
	v_add_co_u32_e64 v1, s[28:29], -1, v1
; %bb.27914:                            ;   in Loop: Header=BB6_25823 Depth=3
	s_or_b64 exec, exec, s[48:49]
	v_add_u32_e32 v2, 0xffffff81, v14
	v_mov_b32_e32 v14, 0xffffff82
	v_cndmask_b32_e32 v2, v2, v14, vcc
	v_lshrrev_b32_e32 v14, 23, v0
	v_add3_u32 v15, v15, v2, v14
	v_add_u32_e32 v14, 14, v15
	v_and_b32_e32 v1, 0x1fffff, v1
	v_add_u32_e32 v0, v1, v0
	v_mov_b32_e32 v1, v33
	v_cmp_ne_u32_e32 vcc, 0, v14
                                        ; implicit-def: $vgpr2
	s_and_saveexec_b64 s[28:29], vcc
	s_xor_b64 s[28:29], exec, s[28:29]
; %bb.27915:                            ;   in Loop: Header=BB6_25823 Depth=3
	v_cmp_lt_u64_e32 vcc, s[88:89], v[0:1]
	v_add_u32_e32 v2, 15, v15
	v_cndmask_b32_e32 v2, v14, v2, vcc
	v_cndmask_b32_e64 v14, 0, 1, vcc
	v_lshrrev_b64 v[0:1], v14, v[0:1]
; %bb.27916:                            ;   in Loop: Header=BB6_25823 Depth=3
	s_andn2_saveexec_b64 s[28:29], s[28:29]
; %bb.27917:                            ;   in Loop: Header=BB6_25823 Depth=3
	v_bfe_u32 v2, v0, 23, 1
; %bb.27918:                            ;   in Loop: Header=BB6_25823 Depth=3
	s_or_b64 exec, exec, s[28:29]
	v_lshrrev_b64 v[0:1], 21, v[0:1]
	v_cmp_gt_i32_e32 vcc, 32, v2
	v_cndmask_b32_e32 v1, 0, v1, vcc
	v_cndmask_b32_e32 v0, 3, v0, vcc
	v_cmp_ne_u64_e32 vcc, 0, v[0:1]
	v_cmp_ne_u32_e64 s[28:29], 0, v2
	s_or_b64 s[28:29], s[28:29], vcc
                                        ; implicit-def: $vgpr14
	s_and_saveexec_b64 s[62:63], s[28:29]
	s_xor_b64 s[28:29], exec, s[62:63]
; %bb.27919:                            ;   in Loop: Header=BB6_25823 Depth=3
	v_min_i32_e32 v1, 31, v2
	v_lshl_or_b32 v1, v1, 2, v7
	v_and_or_b32 v14, v0, 3, v1
                                        ; implicit-def: $vgpr7
; %bb.27920:                            ;   in Loop: Header=BB6_25823 Depth=3
	s_andn2_saveexec_b64 s[28:29], s[28:29]
; %bb.27921:                            ;   in Loop: Header=BB6_25823 Depth=3
	v_mov_b32_e32 v14, v7
; %bb.27922:                            ;   in Loop: Header=BB6_25823 Depth=3
	s_or_b64 exec, exec, s[28:29]
.LBB6_27923:                            ;   in Loop: Header=BB6_25823 Depth=3
	s_or_b64 exec, exec, s[38:39]
                                        ; implicit-def: $vgpr7
.LBB6_27924:                            ;   in Loop: Header=BB6_25823 Depth=3
	s_andn2_saveexec_b64 s[28:29], s[36:37]
; %bb.27925:                            ;   in Loop: Header=BB6_25823 Depth=3
	v_or_b32_e32 v14, 0x7b, v7
; %bb.27926:                            ;   in Loop: Header=BB6_25823 Depth=3
	s_or_b64 exec, exec, s[28:29]
                                        ; implicit-def: $vgpr2
                                        ; implicit-def: $vgpr0_vgpr1
.LBB6_27927:                            ;   in Loop: Header=BB6_25823 Depth=3
	s_andn2_saveexec_b64 s[28:29], s[34:35]
	s_cbranch_execz .LBB6_27933
; %bb.27928:                            ;   in Loop: Header=BB6_25823 Depth=3
	v_cmp_ne_u64_e32 vcc, 0, v[0:1]
                                        ; implicit-def: $vgpr14
	s_and_saveexec_b64 s[62:63], vcc
	s_xor_b64 vcc, exec, s[62:63]
; %bb.27929:                            ;   in Loop: Header=BB6_25823 Depth=3
	v_or_b32_sdwa v14, v2, s44 dst_sel:DWORD dst_unused:UNUSED_PAD src0_sel:BYTE_3 src1_sel:DWORD
                                        ; implicit-def: $vgpr2
; %bb.27930:                            ;   in Loop: Header=BB6_25823 Depth=3
	s_andn2_saveexec_b64 s[34:35], vcc
; %bb.27931:                            ;   in Loop: Header=BB6_25823 Depth=3
	v_cmp_lt_i32_e32 vcc, -1, v2
	v_mov_b32_e32 v0, 0x7c
	v_cndmask_b32_e32 v14, -4, v0, vcc
; %bb.27932:                            ;   in Loop: Header=BB6_25823 Depth=3
	s_or_b64 exec, exec, s[34:35]
.LBB6_27933:                            ;   in Loop: Header=BB6_25823 Depth=3
	s_or_b64 exec, exec, s[28:29]
	buffer_load_dword v0, off, s[0:3], s33 offset:116 ; 4-byte Folded Reload
	buffer_load_dword v1, off, s[0:3], s33 offset:120 ; 4-byte Folded Reload
	s_waitcnt vmcnt(0)
	v_mov_b32_e32 v1, 0
	v_and_b32_e32 v7, 0xff, v0
	v_cmp_ne_u16_e32 vcc, 0, v7
	v_mov_b32_e32 v0, 0
	s_and_saveexec_b64 s[28:29], vcc
	s_cbranch_execz .LBB6_27941
; %bb.27934:                            ;   in Loop: Header=BB6_25823 Depth=3
	v_cmp_ne_u16_e32 vcc, s97, v7
	v_bfrev_b32_e32 v1, 1
	s_and_saveexec_b64 s[34:35], vcc
	s_cbranch_execz .LBB6_27940
; %bb.27935:                            ;   in Loop: Header=BB6_25823 Depth=3
	buffer_load_dword v1, off, s[0:3], s33 offset:116 ; 4-byte Folded Reload
	buffer_load_dword v2, off, s[0:3], s33 offset:120 ; 4-byte Folded Reload
	s_waitcnt vmcnt(0)
	v_and_b32_e32 v2, 3, v1
	v_and_b32_e32 v1, 0x7c, v1
	v_cmp_ne_u32_e32 vcc, s86, v1
                                        ; implicit-def: $vgpr1
	s_and_saveexec_b64 s[62:63], vcc
	s_xor_b64 s[36:37], exec, s[62:63]
	s_cbranch_execz .LBB6_27937
; %bb.27936:                            ;   in Loop: Header=BB6_25823 Depth=3
	buffer_load_dword v40, off, s[0:3], s33 offset:116 ; 4-byte Folded Reload
	buffer_load_dword v41, off, s[0:3], s33 offset:120 ; 4-byte Folded Reload
	v_bfe_u32 v1, v7, 2, 5
	v_ffbh_u32_e32 v7, v2
	v_min_u32_e32 v7, 32, v7
	s_waitcnt vmcnt(0)
	v_mov_b32_e32 v41, v33
	v_subrev_u32_e32 v15, 29, v7
	v_sub_u32_e32 v7, 30, v7
	v_cmp_eq_u32_e32 vcc, 0, v1
	v_cndmask_b32_e32 v1, v1, v7, vcc
	v_lshlrev_b32_e32 v7, 24, v40
	v_lshlrev_b64 v[38:39], v15, v[40:41]
	v_and_b32_e32 v7, 0x80000000, v7
	v_and_b32_e32 v15, 3, v38
	v_cndmask_b32_e32 v2, v2, v15, vcc
	v_lshl_add_u32 v1, v1, 23, v7
	v_lshl_or_b32 v1, v2, 21, v1
	v_add_u32_e32 v1, 0x38000000, v1
                                        ; implicit-def: $vgpr7
                                        ; implicit-def: $vgpr2
	buffer_store_dword v7, off, s[0:3], s33 offset:116 ; 4-byte Folded Spill
	s_nop 0
	buffer_store_dword v8, off, s[0:3], s33 offset:120 ; 4-byte Folded Spill
.LBB6_27937:                            ;   in Loop: Header=BB6_25823 Depth=3
	s_andn2_saveexec_b64 s[36:37], s[36:37]
	s_cbranch_execz .LBB6_27939
; %bb.27938:                            ;   in Loop: Header=BB6_25823 Depth=3
	buffer_load_dword v38, off, s[0:3], s33 offset:116 ; 4-byte Folded Reload
	buffer_load_dword v39, off, s[0:3], s33 offset:120 ; 4-byte Folded Reload
	v_mov_b32_e32 v1, -1
	v_mov_b32_e32 v7, 0x7f800000
	s_waitcnt vmcnt(1)
	v_cmp_gt_i16_sdwa vcc, sext(v38), v1 src0_sel:BYTE_0 src1_sel:DWORD
	v_mov_b32_e32 v1, 0xff800000
	v_cndmask_b32_e32 v1, v1, v7, vcc
	v_cmp_eq_u32_e32 vcc, 0, v2
	v_mov_b32_e32 v2, 0x7f800001
	v_cndmask_b32_e32 v1, v2, v1, vcc
.LBB6_27939:                            ;   in Loop: Header=BB6_25823 Depth=3
	s_or_b64 exec, exec, s[36:37]
.LBB6_27940:                            ;   in Loop: Header=BB6_25823 Depth=3
	s_or_b64 exec, exec, s[34:35]
.LBB6_27941:                            ;   in Loop: Header=BB6_25823 Depth=3
	s_or_b64 exec, exec, s[28:29]
	v_cmp_ne_u16_e32 vcc, 0, v6
	s_and_saveexec_b64 s[28:29], vcc
	s_cbranch_execz .LBB6_27949
; %bb.27942:                            ;   in Loop: Header=BB6_25823 Depth=3
	v_cmp_ne_u16_e32 vcc, s46, v6
	v_bfrev_b32_e32 v0, 1
	s_and_saveexec_b64 s[34:35], vcc
	s_cbranch_execz .LBB6_27948
; %bb.27943:                            ;   in Loop: Header=BB6_25823 Depth=3
	v_and_b32_e32 v0, 0x7c, v6
	v_and_b32_e32 v2, 3, v6
	v_cmp_ne_u32_e32 vcc, s86, v0
                                        ; implicit-def: $vgpr0
	s_and_saveexec_b64 s[62:63], vcc
	s_xor_b64 s[36:37], exec, s[62:63]
	s_cbranch_execz .LBB6_27945
; %bb.27944:                            ;   in Loop: Header=BB6_25823 Depth=3
	v_ffbh_u32_e32 v15, v2
	v_min_u32_e32 v15, 32, v15
	v_and_b32_e32 v0, 0xff, v6
	v_mov_b32_e32 v7, v33
	v_subrev_u32_e32 v25, 29, v15
	v_bfe_u32 v0, v0, 2, 5
	s_waitcnt vmcnt(0)
	v_lshlrev_b64 v[38:39], v25, v[6:7]
	v_sub_u32_e32 v7, 30, v15
	v_cmp_eq_u32_e32 vcc, 0, v0
	v_and_b32_e32 v15, 3, v38
	v_cndmask_b32_e32 v0, v0, v7, vcc
	v_and_b32_sdwa v6, sext(v6), s87 dst_sel:DWORD dst_unused:UNUSED_PAD src0_sel:WORD_0 src1_sel:DWORD
	v_cndmask_b32_e32 v2, v2, v15, vcc
	v_lshl_add_u32 v0, v0, 23, v6
	v_lshl_or_b32 v0, v2, 21, v0
	v_add_u32_e32 v0, 0x38000000, v0
                                        ; implicit-def: $vgpr2
                                        ; implicit-def: $vgpr6
.LBB6_27945:                            ;   in Loop: Header=BB6_25823 Depth=3
	s_andn2_saveexec_b64 s[36:37], s[36:37]
; %bb.27946:                            ;   in Loop: Header=BB6_25823 Depth=3
	v_cmp_lt_i16_e32 vcc, -1, v6
	v_mov_b32_e32 v0, 0xff800000
	v_mov_b32_e32 v6, 0x7f800000
	v_cndmask_b32_e32 v0, v0, v6, vcc
	v_cmp_eq_u32_e32 vcc, 0, v2
	v_mov_b32_e32 v2, 0x7f800001
	v_cndmask_b32_e32 v0, v2, v0, vcc
; %bb.27947:                            ;   in Loop: Header=BB6_25823 Depth=3
	s_or_b64 exec, exec, s[36:37]
.LBB6_27948:                            ;   in Loop: Header=BB6_25823 Depth=3
	s_or_b64 exec, exec, s[34:35]
.LBB6_27949:                            ;   in Loop: Header=BB6_25823 Depth=3
	s_or_b64 exec, exec, s[28:29]
	v_add_f32_e32 v2, v1, v0
	v_and_b32_e32 v6, 0x7f800000, v2
	v_mov_b32_e32 v7, v33
	v_cmp_ne_u64_e32 vcc, s[76:77], v[6:7]
	v_and_b32_e32 v0, 0x7fffff, v2
	v_mov_b32_e32 v1, v33
                                        ; implicit-def: $vgpr6
	s_and_saveexec_b64 s[28:29], vcc
	s_xor_b64 s[34:35], exec, s[28:29]
	s_cbranch_execz .LBB6_27967
; %bb.27950:                            ;   in Loop: Header=BB6_25823 Depth=3
	v_and_b32_e32 v6, 0x7fffffff, v2
	v_mov_b32_e32 v7, v33
	v_cmp_gt_u64_e32 vcc, s[78:79], v[6:7]
	v_and_b32_sdwa v7, v2, s97 dst_sel:DWORD dst_unused:UNUSED_PAD src0_sel:BYTE_3 src1_sel:DWORD
                                        ; implicit-def: $vgpr6
	s_and_saveexec_b64 s[28:29], vcc
	s_xor_b64 s[36:37], exec, s[28:29]
	s_cbranch_execz .LBB6_27964
; %bb.27951:                            ;   in Loop: Header=BB6_25823 Depth=3
	v_cmp_ne_u32_e32 vcc, 0, v2
	v_mov_b32_e32 v6, 0
	s_and_saveexec_b64 s[38:39], vcc
	s_cbranch_execz .LBB6_27963
; %bb.27952:                            ;   in Loop: Header=BB6_25823 Depth=3
	v_bfe_u32 v6, v2, 23, 8
	v_cmp_gt_u32_e64 s[28:29], s47, v6
	v_sub_u32_e32 v2, 0x71, v6
	v_cmp_eq_u32_e32 vcc, 0, v6
	v_cndmask_b32_e64 v2, 0, v2, s[28:29]
	v_mov_b32_e32 v15, 0x70
	v_cndmask_b32_e32 v15, v2, v15, vcc
	v_add_u32_e32 v2, 21, v15
	v_or_b32_e32 v25, 0x800000, v0
	s_waitcnt vmcnt(0)
	v_lshlrev_b64 v[38:39], v2, -1
	v_cndmask_b32_e32 v0, v25, v0, vcc
	v_add_u32_e32 v2, 20, v15
	v_bfi_b32 v38, v38, 0, v0
	v_lshlrev_b64 v[40:41], v2, 1
	v_lshrrev_b64 v[0:1], v15, v[0:1]
	v_bfi_b32 v39, v39, 0, 0
	v_cmp_eq_u64_e64 s[28:29], v[38:39], v[40:41]
	v_mov_b32_e32 v2, v1
	v_mov_b32_e32 v1, v0
	s_and_saveexec_b64 s[48:49], s[28:29]
; %bb.27953:                            ;   in Loop: Header=BB6_25823 Depth=3
	v_bfe_u32 v1, v0, 21, 1
	v_add_co_u32_e64 v1, s[28:29], v0, v1
	v_add_co_u32_e64 v1, s[28:29], -1, v1
; %bb.27954:                            ;   in Loop: Header=BB6_25823 Depth=3
	s_or_b64 exec, exec, s[48:49]
	v_add_u32_e32 v2, 0xffffff81, v6
	v_mov_b32_e32 v6, 0xffffff82
	v_cndmask_b32_e32 v2, v2, v6, vcc
	v_lshrrev_b32_e32 v6, 23, v0
	v_add3_u32 v15, v15, v2, v6
	v_add_u32_e32 v6, 14, v15
	v_and_b32_e32 v1, 0x1fffff, v1
	v_add_u32_e32 v0, v1, v0
	v_mov_b32_e32 v1, v33
	v_cmp_ne_u32_e32 vcc, 0, v6
                                        ; implicit-def: $vgpr2
	s_and_saveexec_b64 s[28:29], vcc
	s_xor_b64 s[28:29], exec, s[28:29]
; %bb.27955:                            ;   in Loop: Header=BB6_25823 Depth=3
	v_cmp_lt_u64_e32 vcc, s[88:89], v[0:1]
	v_add_u32_e32 v2, 15, v15
	v_cndmask_b32_e32 v2, v6, v2, vcc
	v_cndmask_b32_e64 v6, 0, 1, vcc
	v_lshrrev_b64 v[0:1], v6, v[0:1]
; %bb.27956:                            ;   in Loop: Header=BB6_25823 Depth=3
	s_andn2_saveexec_b64 s[28:29], s[28:29]
; %bb.27957:                            ;   in Loop: Header=BB6_25823 Depth=3
	v_bfe_u32 v2, v0, 23, 1
; %bb.27958:                            ;   in Loop: Header=BB6_25823 Depth=3
	s_or_b64 exec, exec, s[28:29]
	v_lshrrev_b64 v[0:1], 21, v[0:1]
	v_cmp_gt_i32_e32 vcc, 32, v2
	v_cndmask_b32_e32 v1, 0, v1, vcc
	v_cndmask_b32_e32 v0, 3, v0, vcc
	v_cmp_ne_u64_e32 vcc, 0, v[0:1]
	v_cmp_ne_u32_e64 s[28:29], 0, v2
	s_or_b64 s[28:29], s[28:29], vcc
                                        ; implicit-def: $vgpr6
	s_and_saveexec_b64 s[62:63], s[28:29]
	s_xor_b64 s[28:29], exec, s[62:63]
; %bb.27959:                            ;   in Loop: Header=BB6_25823 Depth=3
	v_min_i32_e32 v1, 31, v2
	v_lshl_or_b32 v1, v1, 2, v7
	v_and_or_b32 v6, v0, 3, v1
                                        ; implicit-def: $vgpr7
; %bb.27960:                            ;   in Loop: Header=BB6_25823 Depth=3
	s_andn2_saveexec_b64 s[28:29], s[28:29]
; %bb.27961:                            ;   in Loop: Header=BB6_25823 Depth=3
	v_mov_b32_e32 v6, v7
; %bb.27962:                            ;   in Loop: Header=BB6_25823 Depth=3
	s_or_b64 exec, exec, s[28:29]
.LBB6_27963:                            ;   in Loop: Header=BB6_25823 Depth=3
	s_or_b64 exec, exec, s[38:39]
                                        ; implicit-def: $vgpr7
.LBB6_27964:                            ;   in Loop: Header=BB6_25823 Depth=3
	s_andn2_saveexec_b64 s[28:29], s[36:37]
; %bb.27965:                            ;   in Loop: Header=BB6_25823 Depth=3
	v_or_b32_e32 v6, 0x7b, v7
; %bb.27966:                            ;   in Loop: Header=BB6_25823 Depth=3
	s_or_b64 exec, exec, s[28:29]
                                        ; implicit-def: $vgpr2
                                        ; implicit-def: $vgpr0_vgpr1
.LBB6_27967:                            ;   in Loop: Header=BB6_25823 Depth=3
	s_andn2_saveexec_b64 s[28:29], s[34:35]
	s_cbranch_execz .LBB6_27973
; %bb.27968:                            ;   in Loop: Header=BB6_25823 Depth=3
	v_cmp_ne_u64_e32 vcc, 0, v[0:1]
                                        ; implicit-def: $vgpr6
	s_and_saveexec_b64 s[62:63], vcc
	s_xor_b64 vcc, exec, s[62:63]
; %bb.27969:                            ;   in Loop: Header=BB6_25823 Depth=3
	v_or_b32_sdwa v6, v2, s44 dst_sel:DWORD dst_unused:UNUSED_PAD src0_sel:BYTE_3 src1_sel:DWORD
                                        ; implicit-def: $vgpr2
; %bb.27970:                            ;   in Loop: Header=BB6_25823 Depth=3
	s_andn2_saveexec_b64 s[34:35], vcc
; %bb.27971:                            ;   in Loop: Header=BB6_25823 Depth=3
	v_cmp_lt_i32_e32 vcc, -1, v2
	v_mov_b32_e32 v0, 0x7c
	v_cndmask_b32_e32 v6, -4, v0, vcc
; %bb.27972:                            ;   in Loop: Header=BB6_25823 Depth=3
	s_or_b64 exec, exec, s[34:35]
.LBB6_27973:                            ;   in Loop: Header=BB6_25823 Depth=3
	s_or_b64 exec, exec, s[28:29]
	buffer_load_dword v0, off, s[0:3], s33 offset:108 ; 4-byte Folded Reload
	buffer_load_dword v1, off, s[0:3], s33 offset:112 ; 4-byte Folded Reload
	s_waitcnt vmcnt(0)
	v_mov_b32_e32 v1, 0
	v_and_b32_e32 v7, 0xff, v0
	v_cmp_ne_u16_e32 vcc, 0, v7
	v_mov_b32_e32 v0, 0
	s_and_saveexec_b64 s[28:29], vcc
	s_cbranch_execz .LBB6_27981
; %bb.27974:                            ;   in Loop: Header=BB6_25823 Depth=3
	v_cmp_ne_u16_e32 vcc, s97, v7
	v_bfrev_b32_e32 v1, 1
	s_and_saveexec_b64 s[34:35], vcc
	s_cbranch_execz .LBB6_27980
; %bb.27975:                            ;   in Loop: Header=BB6_25823 Depth=3
	buffer_load_dword v1, off, s[0:3], s33 offset:108 ; 4-byte Folded Reload
	buffer_load_dword v2, off, s[0:3], s33 offset:112 ; 4-byte Folded Reload
	s_waitcnt vmcnt(0)
	v_and_b32_e32 v2, 3, v1
	v_and_b32_e32 v1, 0x7c, v1
	v_cmp_ne_u32_e32 vcc, s86, v1
                                        ; implicit-def: $vgpr1
	s_and_saveexec_b64 s[62:63], vcc
	s_xor_b64 s[36:37], exec, s[62:63]
	s_cbranch_execz .LBB6_27977
; %bb.27976:                            ;   in Loop: Header=BB6_25823 Depth=3
	buffer_load_dword v40, off, s[0:3], s33 offset:108 ; 4-byte Folded Reload
	buffer_load_dword v41, off, s[0:3], s33 offset:112 ; 4-byte Folded Reload
	v_bfe_u32 v1, v7, 2, 5
	v_ffbh_u32_e32 v7, v2
	v_min_u32_e32 v7, 32, v7
	s_waitcnt vmcnt(0)
	v_mov_b32_e32 v41, v33
	v_subrev_u32_e32 v15, 29, v7
	v_sub_u32_e32 v7, 30, v7
	v_cmp_eq_u32_e32 vcc, 0, v1
	v_cndmask_b32_e32 v1, v1, v7, vcc
	v_lshlrev_b32_e32 v7, 24, v40
	v_lshlrev_b64 v[38:39], v15, v[40:41]
	v_and_b32_e32 v7, 0x80000000, v7
	v_and_b32_e32 v15, 3, v38
	v_cndmask_b32_e32 v2, v2, v15, vcc
	v_lshl_add_u32 v1, v1, 23, v7
	v_lshl_or_b32 v1, v2, 21, v1
	v_add_u32_e32 v1, 0x38000000, v1
                                        ; implicit-def: $vgpr7
                                        ; implicit-def: $vgpr2
	buffer_store_dword v7, off, s[0:3], s33 offset:108 ; 4-byte Folded Spill
	s_nop 0
	buffer_store_dword v8, off, s[0:3], s33 offset:112 ; 4-byte Folded Spill
.LBB6_27977:                            ;   in Loop: Header=BB6_25823 Depth=3
	s_andn2_saveexec_b64 s[36:37], s[36:37]
	s_cbranch_execz .LBB6_27979
; %bb.27978:                            ;   in Loop: Header=BB6_25823 Depth=3
	buffer_load_dword v38, off, s[0:3], s33 offset:108 ; 4-byte Folded Reload
	buffer_load_dword v39, off, s[0:3], s33 offset:112 ; 4-byte Folded Reload
	v_mov_b32_e32 v1, -1
	v_mov_b32_e32 v7, 0x7f800000
	s_waitcnt vmcnt(1)
	v_cmp_gt_i16_sdwa vcc, sext(v38), v1 src0_sel:BYTE_0 src1_sel:DWORD
	v_mov_b32_e32 v1, 0xff800000
	v_cndmask_b32_e32 v1, v1, v7, vcc
	v_cmp_eq_u32_e32 vcc, 0, v2
	v_mov_b32_e32 v2, 0x7f800001
	v_cndmask_b32_e32 v1, v2, v1, vcc
.LBB6_27979:                            ;   in Loop: Header=BB6_25823 Depth=3
	s_or_b64 exec, exec, s[36:37]
.LBB6_27980:                            ;   in Loop: Header=BB6_25823 Depth=3
	s_or_b64 exec, exec, s[34:35]
.LBB6_27981:                            ;   in Loop: Header=BB6_25823 Depth=3
	s_or_b64 exec, exec, s[28:29]
	v_cmp_ne_u16_e32 vcc, 0, v58
	s_and_saveexec_b64 s[28:29], vcc
	s_cbranch_execz .LBB6_27989
; %bb.27982:                            ;   in Loop: Header=BB6_25823 Depth=3
	v_cmp_ne_u16_e32 vcc, s46, v58
	v_bfrev_b32_e32 v0, 1
	s_and_saveexec_b64 s[34:35], vcc
	s_cbranch_execz .LBB6_27988
; %bb.27983:                            ;   in Loop: Header=BB6_25823 Depth=3
	v_and_b32_e32 v0, 0x7c, v58
	v_and_b32_e32 v2, 3, v58
	v_cmp_ne_u32_e32 vcc, s86, v0
                                        ; implicit-def: $vgpr0
	s_and_saveexec_b64 s[62:63], vcc
	s_xor_b64 s[36:37], exec, s[62:63]
	s_cbranch_execz .LBB6_27985
; %bb.27984:                            ;   in Loop: Header=BB6_25823 Depth=3
	v_ffbh_u32_e32 v7, v2
	v_min_u32_e32 v7, 32, v7
	v_and_b32_e32 v0, 0xff, v58
	v_mov_b32_e32 v59, v33
	v_subrev_u32_e32 v15, 29, v7
	v_bfe_u32 v0, v0, 2, 5
	s_waitcnt vmcnt(0)
	v_lshlrev_b64 v[38:39], v15, v[58:59]
	v_sub_u32_e32 v7, 30, v7
	v_cmp_eq_u32_e32 vcc, 0, v0
	v_and_b32_e32 v15, 3, v38
	v_cndmask_b32_e32 v0, v0, v7, vcc
	v_and_b32_sdwa v7, sext(v58), s87 dst_sel:DWORD dst_unused:UNUSED_PAD src0_sel:WORD_0 src1_sel:DWORD
	v_cndmask_b32_e32 v2, v2, v15, vcc
	v_lshl_add_u32 v0, v0, 23, v7
	v_lshl_or_b32 v0, v2, 21, v0
	v_add_u32_e32 v0, 0x38000000, v0
                                        ; implicit-def: $vgpr2
                                        ; implicit-def: $vgpr58
.LBB6_27985:                            ;   in Loop: Header=BB6_25823 Depth=3
	s_andn2_saveexec_b64 s[36:37], s[36:37]
; %bb.27986:                            ;   in Loop: Header=BB6_25823 Depth=3
	v_cmp_lt_i16_e32 vcc, -1, v58
	v_mov_b32_e32 v0, 0xff800000
	v_mov_b32_e32 v7, 0x7f800000
	v_cndmask_b32_e32 v0, v0, v7, vcc
	v_cmp_eq_u32_e32 vcc, 0, v2
	v_mov_b32_e32 v2, 0x7f800001
	v_cndmask_b32_e32 v0, v2, v0, vcc
; %bb.27987:                            ;   in Loop: Header=BB6_25823 Depth=3
	s_or_b64 exec, exec, s[36:37]
.LBB6_27988:                            ;   in Loop: Header=BB6_25823 Depth=3
	s_or_b64 exec, exec, s[34:35]
.LBB6_27989:                            ;   in Loop: Header=BB6_25823 Depth=3
	s_or_b64 exec, exec, s[28:29]
	v_add_f32_e32 v2, v1, v0
	v_and_b32_e32 v38, 0x7f800000, v2
	s_waitcnt vmcnt(0)
	v_mov_b32_e32 v39, v33
	v_cmp_ne_u64_e32 vcc, s[76:77], v[38:39]
	v_and_b32_e32 v0, 0x7fffff, v2
	v_mov_b32_e32 v1, v33
                                        ; implicit-def: $vgpr7
	s_and_saveexec_b64 s[28:29], vcc
	s_xor_b64 s[34:35], exec, s[28:29]
	s_cbranch_execz .LBB6_28007
; %bb.27990:                            ;   in Loop: Header=BB6_25823 Depth=3
	v_and_b32_e32 v38, 0x7fffffff, v2
	v_mov_b32_e32 v39, v33
	v_cmp_gt_u64_e32 vcc, s[78:79], v[38:39]
	v_and_b32_sdwa v15, v2, s97 dst_sel:DWORD dst_unused:UNUSED_PAD src0_sel:BYTE_3 src1_sel:DWORD
                                        ; implicit-def: $vgpr7
	s_and_saveexec_b64 s[28:29], vcc
	s_xor_b64 s[36:37], exec, s[28:29]
	s_cbranch_execz .LBB6_28004
; %bb.27991:                            ;   in Loop: Header=BB6_25823 Depth=3
	v_cmp_ne_u32_e32 vcc, 0, v2
	v_mov_b32_e32 v7, 0
	s_and_saveexec_b64 s[38:39], vcc
	s_cbranch_execz .LBB6_28003
; %bb.27992:                            ;   in Loop: Header=BB6_25823 Depth=3
	v_bfe_u32 v7, v2, 23, 8
	v_cmp_gt_u32_e64 s[28:29], s47, v7
	v_sub_u32_e32 v2, 0x71, v7
	v_cmp_eq_u32_e32 vcc, 0, v7
	v_cndmask_b32_e64 v2, 0, v2, s[28:29]
	v_mov_b32_e32 v25, 0x70
	v_cndmask_b32_e32 v25, v2, v25, vcc
	v_add_u32_e32 v2, 21, v25
	v_or_b32_e32 v27, 0x800000, v0
	v_lshlrev_b64 v[38:39], v2, -1
	v_cndmask_b32_e32 v0, v27, v0, vcc
	v_add_u32_e32 v2, 20, v25
	v_bfi_b32 v38, v38, 0, v0
	v_lshlrev_b64 v[40:41], v2, 1
	v_lshrrev_b64 v[0:1], v25, v[0:1]
	v_bfi_b32 v39, v39, 0, 0
	v_cmp_eq_u64_e64 s[28:29], v[38:39], v[40:41]
	v_mov_b32_e32 v2, v1
	v_mov_b32_e32 v1, v0
	s_and_saveexec_b64 s[48:49], s[28:29]
; %bb.27993:                            ;   in Loop: Header=BB6_25823 Depth=3
	v_bfe_u32 v1, v0, 21, 1
	v_add_co_u32_e64 v1, s[28:29], v0, v1
	v_add_co_u32_e64 v1, s[28:29], -1, v1
; %bb.27994:                            ;   in Loop: Header=BB6_25823 Depth=3
	s_or_b64 exec, exec, s[48:49]
	v_add_u32_e32 v2, 0xffffff81, v7
	v_mov_b32_e32 v7, 0xffffff82
	v_cndmask_b32_e32 v2, v2, v7, vcc
	v_lshrrev_b32_e32 v7, 23, v0
	v_add3_u32 v25, v25, v2, v7
	v_add_u32_e32 v7, 14, v25
	v_and_b32_e32 v1, 0x1fffff, v1
	v_add_u32_e32 v0, v1, v0
	v_mov_b32_e32 v1, v33
	v_cmp_ne_u32_e32 vcc, 0, v7
                                        ; implicit-def: $vgpr2
	s_and_saveexec_b64 s[28:29], vcc
	s_xor_b64 s[28:29], exec, s[28:29]
; %bb.27995:                            ;   in Loop: Header=BB6_25823 Depth=3
	v_cmp_lt_u64_e32 vcc, s[88:89], v[0:1]
	v_add_u32_e32 v2, 15, v25
	v_cndmask_b32_e32 v2, v7, v2, vcc
	v_cndmask_b32_e64 v7, 0, 1, vcc
	v_lshrrev_b64 v[0:1], v7, v[0:1]
; %bb.27996:                            ;   in Loop: Header=BB6_25823 Depth=3
	s_andn2_saveexec_b64 s[28:29], s[28:29]
; %bb.27997:                            ;   in Loop: Header=BB6_25823 Depth=3
	v_bfe_u32 v2, v0, 23, 1
; %bb.27998:                            ;   in Loop: Header=BB6_25823 Depth=3
	s_or_b64 exec, exec, s[28:29]
	v_lshrrev_b64 v[0:1], 21, v[0:1]
	v_cmp_gt_i32_e32 vcc, 32, v2
	v_cndmask_b32_e32 v1, 0, v1, vcc
	v_cndmask_b32_e32 v0, 3, v0, vcc
	v_cmp_ne_u64_e32 vcc, 0, v[0:1]
	v_cmp_ne_u32_e64 s[28:29], 0, v2
	s_or_b64 s[28:29], s[28:29], vcc
                                        ; implicit-def: $vgpr7
	s_and_saveexec_b64 s[62:63], s[28:29]
	s_xor_b64 s[28:29], exec, s[62:63]
; %bb.27999:                            ;   in Loop: Header=BB6_25823 Depth=3
	v_min_i32_e32 v1, 31, v2
	v_lshl_or_b32 v1, v1, 2, v15
	v_and_or_b32 v7, v0, 3, v1
                                        ; implicit-def: $vgpr15
; %bb.28000:                            ;   in Loop: Header=BB6_25823 Depth=3
	s_andn2_saveexec_b64 s[28:29], s[28:29]
; %bb.28001:                            ;   in Loop: Header=BB6_25823 Depth=3
	v_mov_b32_e32 v7, v15
; %bb.28002:                            ;   in Loop: Header=BB6_25823 Depth=3
	s_or_b64 exec, exec, s[28:29]
.LBB6_28003:                            ;   in Loop: Header=BB6_25823 Depth=3
	s_or_b64 exec, exec, s[38:39]
                                        ; implicit-def: $vgpr15
.LBB6_28004:                            ;   in Loop: Header=BB6_25823 Depth=3
	s_andn2_saveexec_b64 s[28:29], s[36:37]
; %bb.28005:                            ;   in Loop: Header=BB6_25823 Depth=3
	v_or_b32_e32 v7, 0x7b, v15
; %bb.28006:                            ;   in Loop: Header=BB6_25823 Depth=3
	s_or_b64 exec, exec, s[28:29]
                                        ; implicit-def: $vgpr2
                                        ; implicit-def: $vgpr0_vgpr1
.LBB6_28007:                            ;   in Loop: Header=BB6_25823 Depth=3
	s_andn2_saveexec_b64 s[28:29], s[34:35]
	s_cbranch_execz .LBB6_28013
; %bb.28008:                            ;   in Loop: Header=BB6_25823 Depth=3
	v_cmp_ne_u64_e32 vcc, 0, v[0:1]
                                        ; implicit-def: $vgpr7
	s_and_saveexec_b64 s[62:63], vcc
	s_xor_b64 vcc, exec, s[62:63]
; %bb.28009:                            ;   in Loop: Header=BB6_25823 Depth=3
	v_or_b32_sdwa v7, v2, s44 dst_sel:DWORD dst_unused:UNUSED_PAD src0_sel:BYTE_3 src1_sel:DWORD
                                        ; implicit-def: $vgpr2
; %bb.28010:                            ;   in Loop: Header=BB6_25823 Depth=3
	s_andn2_saveexec_b64 s[34:35], vcc
; %bb.28011:                            ;   in Loop: Header=BB6_25823 Depth=3
	v_cmp_lt_i32_e32 vcc, -1, v2
	v_mov_b32_e32 v0, 0x7c
	v_cndmask_b32_e32 v7, -4, v0, vcc
; %bb.28012:                            ;   in Loop: Header=BB6_25823 Depth=3
	s_or_b64 exec, exec, s[34:35]
.LBB6_28013:                            ;   in Loop: Header=BB6_25823 Depth=3
	s_or_b64 exec, exec, s[28:29]
	buffer_load_dword v0, off, s[0:3], s33 offset:100 ; 4-byte Folded Reload
	buffer_load_dword v1, off, s[0:3], s33 offset:104 ; 4-byte Folded Reload
	s_waitcnt vmcnt(0)
	v_mov_b32_e32 v1, 0
	v_and_b32_e32 v15, 0xff, v0
	v_cmp_ne_u16_e32 vcc, 0, v15
	v_mov_b32_e32 v0, 0
	s_and_saveexec_b64 s[28:29], vcc
	s_cbranch_execz .LBB6_28021
; %bb.28014:                            ;   in Loop: Header=BB6_25823 Depth=3
	v_cmp_ne_u16_e32 vcc, s97, v15
	v_bfrev_b32_e32 v1, 1
	s_and_saveexec_b64 s[34:35], vcc
	s_cbranch_execz .LBB6_28020
; %bb.28015:                            ;   in Loop: Header=BB6_25823 Depth=3
	buffer_load_dword v1, off, s[0:3], s33 offset:100 ; 4-byte Folded Reload
	buffer_load_dword v2, off, s[0:3], s33 offset:104 ; 4-byte Folded Reload
	s_waitcnt vmcnt(0)
	v_and_b32_e32 v2, 3, v1
	v_and_b32_e32 v1, 0x7c, v1
	v_cmp_ne_u32_e32 vcc, s86, v1
                                        ; implicit-def: $vgpr1
	s_and_saveexec_b64 s[62:63], vcc
	s_xor_b64 s[36:37], exec, s[62:63]
	s_cbranch_execz .LBB6_28017
; %bb.28016:                            ;   in Loop: Header=BB6_25823 Depth=3
	buffer_load_dword v40, off, s[0:3], s33 offset:100 ; 4-byte Folded Reload
	buffer_load_dword v41, off, s[0:3], s33 offset:104 ; 4-byte Folded Reload
	v_bfe_u32 v1, v15, 2, 5
	v_ffbh_u32_e32 v15, v2
	v_min_u32_e32 v15, 32, v15
	s_waitcnt vmcnt(0)
	v_mov_b32_e32 v41, v33
	v_subrev_u32_e32 v25, 29, v15
	v_sub_u32_e32 v15, 30, v15
	v_cmp_eq_u32_e32 vcc, 0, v1
	v_cndmask_b32_e32 v1, v1, v15, vcc
	v_lshlrev_b32_e32 v15, 24, v40
	v_lshlrev_b64 v[38:39], v25, v[40:41]
	v_and_b32_e32 v15, 0x80000000, v15
	v_and_b32_e32 v25, 3, v38
	v_cndmask_b32_e32 v2, v2, v25, vcc
	v_lshl_add_u32 v1, v1, 23, v15
	v_lshl_or_b32 v1, v2, 21, v1
	v_add_u32_e32 v1, 0x38000000, v1
                                        ; implicit-def: $vgpr15
                                        ; implicit-def: $vgpr2
	buffer_store_dword v15, off, s[0:3], s33 offset:100 ; 4-byte Folded Spill
	s_nop 0
	buffer_store_dword v16, off, s[0:3], s33 offset:104 ; 4-byte Folded Spill
.LBB6_28017:                            ;   in Loop: Header=BB6_25823 Depth=3
	s_andn2_saveexec_b64 s[36:37], s[36:37]
	s_cbranch_execz .LBB6_28019
; %bb.28018:                            ;   in Loop: Header=BB6_25823 Depth=3
	buffer_load_dword v38, off, s[0:3], s33 offset:100 ; 4-byte Folded Reload
	buffer_load_dword v39, off, s[0:3], s33 offset:104 ; 4-byte Folded Reload
	v_mov_b32_e32 v1, -1
	v_mov_b32_e32 v15, 0x7f800000
	s_waitcnt vmcnt(1)
	v_cmp_gt_i16_sdwa vcc, sext(v38), v1 src0_sel:BYTE_0 src1_sel:DWORD
	v_mov_b32_e32 v1, 0xff800000
	v_cndmask_b32_e32 v1, v1, v15, vcc
	v_cmp_eq_u32_e32 vcc, 0, v2
	v_mov_b32_e32 v2, 0x7f800001
	v_cndmask_b32_e32 v1, v2, v1, vcc
.LBB6_28019:                            ;   in Loop: Header=BB6_25823 Depth=3
	s_or_b64 exec, exec, s[36:37]
.LBB6_28020:                            ;   in Loop: Header=BB6_25823 Depth=3
	s_or_b64 exec, exec, s[34:35]
.LBB6_28021:                            ;   in Loop: Header=BB6_25823 Depth=3
	s_or_b64 exec, exec, s[28:29]
	v_cmp_ne_u16_e32 vcc, 0, v24
	s_and_saveexec_b64 s[28:29], vcc
	s_cbranch_execz .LBB6_28029
; %bb.28022:                            ;   in Loop: Header=BB6_25823 Depth=3
	v_cmp_ne_u16_e32 vcc, s46, v24
	v_bfrev_b32_e32 v0, 1
	s_and_saveexec_b64 s[34:35], vcc
	s_cbranch_execz .LBB6_28028
; %bb.28023:                            ;   in Loop: Header=BB6_25823 Depth=3
	v_and_b32_e32 v0, 0x7c, v24
	v_and_b32_e32 v2, 3, v24
	v_cmp_ne_u32_e32 vcc, s86, v0
                                        ; implicit-def: $vgpr0
	s_and_saveexec_b64 s[62:63], vcc
	s_xor_b64 s[36:37], exec, s[62:63]
	s_cbranch_execz .LBB6_28025
; %bb.28024:                            ;   in Loop: Header=BB6_25823 Depth=3
	v_ffbh_u32_e32 v15, v2
	v_min_u32_e32 v15, 32, v15
	v_and_b32_e32 v0, 0xff, v24
	v_mov_b32_e32 v25, v33
	v_subrev_u32_e32 v27, 29, v15
	v_bfe_u32 v0, v0, 2, 5
	s_waitcnt vmcnt(0)
	v_lshlrev_b64 v[38:39], v27, v[24:25]
	v_sub_u32_e32 v15, 30, v15
	v_cmp_eq_u32_e32 vcc, 0, v0
	v_and_b32_e32 v25, 3, v38
	v_cndmask_b32_e32 v0, v0, v15, vcc
	v_and_b32_sdwa v15, sext(v24), s87 dst_sel:DWORD dst_unused:UNUSED_PAD src0_sel:WORD_0 src1_sel:DWORD
	v_cndmask_b32_e32 v2, v2, v25, vcc
	v_lshl_add_u32 v0, v0, 23, v15
	v_lshl_or_b32 v0, v2, 21, v0
	v_add_u32_e32 v0, 0x38000000, v0
                                        ; implicit-def: $vgpr2
                                        ; implicit-def: $vgpr24
.LBB6_28025:                            ;   in Loop: Header=BB6_25823 Depth=3
	s_andn2_saveexec_b64 s[36:37], s[36:37]
; %bb.28026:                            ;   in Loop: Header=BB6_25823 Depth=3
	v_cmp_lt_i16_e32 vcc, -1, v24
	v_mov_b32_e32 v0, 0xff800000
	v_mov_b32_e32 v15, 0x7f800000
	v_cndmask_b32_e32 v0, v0, v15, vcc
	v_cmp_eq_u32_e32 vcc, 0, v2
	v_mov_b32_e32 v2, 0x7f800001
	v_cndmask_b32_e32 v0, v2, v0, vcc
; %bb.28027:                            ;   in Loop: Header=BB6_25823 Depth=3
	s_or_b64 exec, exec, s[36:37]
.LBB6_28028:                            ;   in Loop: Header=BB6_25823 Depth=3
	s_or_b64 exec, exec, s[34:35]
.LBB6_28029:                            ;   in Loop: Header=BB6_25823 Depth=3
	s_or_b64 exec, exec, s[28:29]
	v_add_f32_e32 v2, v1, v0
	v_and_b32_e32 v24, 0x7f800000, v2
	v_mov_b32_e32 v25, v33
	v_cmp_ne_u64_e32 vcc, s[76:77], v[24:25]
	v_and_b32_e32 v0, 0x7fffff, v2
	v_mov_b32_e32 v1, v33
                                        ; implicit-def: $vgpr15
	s_and_saveexec_b64 s[28:29], vcc
	s_xor_b64 s[34:35], exec, s[28:29]
	s_cbranch_execz .LBB6_28047
; %bb.28030:                            ;   in Loop: Header=BB6_25823 Depth=3
	v_and_b32_e32 v24, 0x7fffffff, v2
	v_mov_b32_e32 v25, v33
	v_cmp_gt_u64_e32 vcc, s[78:79], v[24:25]
	v_and_b32_sdwa v24, v2, s97 dst_sel:DWORD dst_unused:UNUSED_PAD src0_sel:BYTE_3 src1_sel:DWORD
                                        ; implicit-def: $vgpr15
	s_and_saveexec_b64 s[28:29], vcc
	s_xor_b64 s[36:37], exec, s[28:29]
	s_cbranch_execz .LBB6_28044
; %bb.28031:                            ;   in Loop: Header=BB6_25823 Depth=3
	v_cmp_ne_u32_e32 vcc, 0, v2
	v_mov_b32_e32 v15, 0
	s_and_saveexec_b64 s[38:39], vcc
	s_cbranch_execz .LBB6_28043
; %bb.28032:                            ;   in Loop: Header=BB6_25823 Depth=3
	v_bfe_u32 v15, v2, 23, 8
	v_cmp_gt_u32_e64 s[28:29], s47, v15
	v_sub_u32_e32 v2, 0x71, v15
	v_cmp_eq_u32_e32 vcc, 0, v15
	v_cndmask_b32_e64 v2, 0, v2, s[28:29]
	v_mov_b32_e32 v25, 0x70
	v_cndmask_b32_e32 v25, v2, v25, vcc
	v_add_u32_e32 v2, 21, v25
	v_or_b32_e32 v27, 0x800000, v0
	s_waitcnt vmcnt(0)
	v_lshlrev_b64 v[38:39], v2, -1
	v_cndmask_b32_e32 v0, v27, v0, vcc
	v_add_u32_e32 v2, 20, v25
	v_bfi_b32 v38, v38, 0, v0
	v_lshlrev_b64 v[40:41], v2, 1
	v_lshrrev_b64 v[0:1], v25, v[0:1]
	v_bfi_b32 v39, v39, 0, 0
	v_cmp_eq_u64_e64 s[28:29], v[38:39], v[40:41]
	v_mov_b32_e32 v2, v1
	v_mov_b32_e32 v1, v0
	s_and_saveexec_b64 s[48:49], s[28:29]
; %bb.28033:                            ;   in Loop: Header=BB6_25823 Depth=3
	v_bfe_u32 v1, v0, 21, 1
	v_add_co_u32_e64 v1, s[28:29], v0, v1
	v_add_co_u32_e64 v1, s[28:29], -1, v1
; %bb.28034:                            ;   in Loop: Header=BB6_25823 Depth=3
	s_or_b64 exec, exec, s[48:49]
	v_add_u32_e32 v2, 0xffffff81, v15
	v_mov_b32_e32 v15, 0xffffff82
	v_cndmask_b32_e32 v2, v2, v15, vcc
	v_lshrrev_b32_e32 v15, 23, v0
	v_add3_u32 v25, v25, v2, v15
	v_add_u32_e32 v15, 14, v25
	v_and_b32_e32 v1, 0x1fffff, v1
	v_add_u32_e32 v0, v1, v0
	v_mov_b32_e32 v1, v33
	v_cmp_ne_u32_e32 vcc, 0, v15
                                        ; implicit-def: $vgpr2
	s_and_saveexec_b64 s[28:29], vcc
	s_xor_b64 s[28:29], exec, s[28:29]
; %bb.28035:                            ;   in Loop: Header=BB6_25823 Depth=3
	v_cmp_lt_u64_e32 vcc, s[88:89], v[0:1]
	v_add_u32_e32 v2, 15, v25
	v_cndmask_b32_e32 v2, v15, v2, vcc
	v_cndmask_b32_e64 v15, 0, 1, vcc
	v_lshrrev_b64 v[0:1], v15, v[0:1]
; %bb.28036:                            ;   in Loop: Header=BB6_25823 Depth=3
	s_andn2_saveexec_b64 s[28:29], s[28:29]
; %bb.28037:                            ;   in Loop: Header=BB6_25823 Depth=3
	v_bfe_u32 v2, v0, 23, 1
; %bb.28038:                            ;   in Loop: Header=BB6_25823 Depth=3
	s_or_b64 exec, exec, s[28:29]
	v_lshrrev_b64 v[0:1], 21, v[0:1]
	v_cmp_gt_i32_e32 vcc, 32, v2
	v_cndmask_b32_e32 v1, 0, v1, vcc
	v_cndmask_b32_e32 v0, 3, v0, vcc
	v_cmp_ne_u64_e32 vcc, 0, v[0:1]
	v_cmp_ne_u32_e64 s[28:29], 0, v2
	s_or_b64 s[28:29], s[28:29], vcc
                                        ; implicit-def: $vgpr15
	s_and_saveexec_b64 s[62:63], s[28:29]
	s_xor_b64 s[28:29], exec, s[62:63]
; %bb.28039:                            ;   in Loop: Header=BB6_25823 Depth=3
	v_min_i32_e32 v1, 31, v2
	v_lshl_or_b32 v1, v1, 2, v24
	v_and_or_b32 v15, v0, 3, v1
                                        ; implicit-def: $vgpr24
; %bb.28040:                            ;   in Loop: Header=BB6_25823 Depth=3
	s_andn2_saveexec_b64 s[28:29], s[28:29]
; %bb.28041:                            ;   in Loop: Header=BB6_25823 Depth=3
	v_mov_b32_e32 v15, v24
; %bb.28042:                            ;   in Loop: Header=BB6_25823 Depth=3
	s_or_b64 exec, exec, s[28:29]
.LBB6_28043:                            ;   in Loop: Header=BB6_25823 Depth=3
	s_or_b64 exec, exec, s[38:39]
                                        ; implicit-def: $vgpr24
.LBB6_28044:                            ;   in Loop: Header=BB6_25823 Depth=3
	s_andn2_saveexec_b64 s[28:29], s[36:37]
; %bb.28045:                            ;   in Loop: Header=BB6_25823 Depth=3
	v_or_b32_e32 v15, 0x7b, v24
; %bb.28046:                            ;   in Loop: Header=BB6_25823 Depth=3
	s_or_b64 exec, exec, s[28:29]
                                        ; implicit-def: $vgpr2
                                        ; implicit-def: $vgpr0_vgpr1
.LBB6_28047:                            ;   in Loop: Header=BB6_25823 Depth=3
	s_andn2_saveexec_b64 s[28:29], s[34:35]
	s_cbranch_execz .LBB6_28053
; %bb.28048:                            ;   in Loop: Header=BB6_25823 Depth=3
	v_cmp_ne_u64_e32 vcc, 0, v[0:1]
                                        ; implicit-def: $vgpr15
	s_and_saveexec_b64 s[62:63], vcc
	s_xor_b64 vcc, exec, s[62:63]
; %bb.28049:                            ;   in Loop: Header=BB6_25823 Depth=3
	v_or_b32_sdwa v15, v2, s44 dst_sel:DWORD dst_unused:UNUSED_PAD src0_sel:BYTE_3 src1_sel:DWORD
                                        ; implicit-def: $vgpr2
; %bb.28050:                            ;   in Loop: Header=BB6_25823 Depth=3
	s_andn2_saveexec_b64 s[34:35], vcc
; %bb.28051:                            ;   in Loop: Header=BB6_25823 Depth=3
	v_cmp_lt_i32_e32 vcc, -1, v2
	v_mov_b32_e32 v0, 0x7c
	v_cndmask_b32_e32 v15, -4, v0, vcc
; %bb.28052:                            ;   in Loop: Header=BB6_25823 Depth=3
	s_or_b64 exec, exec, s[34:35]
.LBB6_28053:                            ;   in Loop: Header=BB6_25823 Depth=3
	s_or_b64 exec, exec, s[28:29]
	buffer_load_dword v0, off, s[0:3], s33 offset:92 ; 4-byte Folded Reload
	buffer_load_dword v1, off, s[0:3], s33 offset:96 ; 4-byte Folded Reload
	s_waitcnt vmcnt(0)
	v_mov_b32_e32 v1, 0
	v_and_b32_e32 v24, 0xff, v0
	v_cmp_ne_u16_e32 vcc, 0, v24
	v_mov_b32_e32 v0, 0
	s_and_saveexec_b64 s[28:29], vcc
	s_cbranch_execz .LBB6_28061
; %bb.28054:                            ;   in Loop: Header=BB6_25823 Depth=3
	v_cmp_ne_u16_e32 vcc, s97, v24
	v_bfrev_b32_e32 v1, 1
	s_and_saveexec_b64 s[34:35], vcc
	s_cbranch_execz .LBB6_28060
; %bb.28055:                            ;   in Loop: Header=BB6_25823 Depth=3
	buffer_load_dword v1, off, s[0:3], s33 offset:92 ; 4-byte Folded Reload
	buffer_load_dword v2, off, s[0:3], s33 offset:96 ; 4-byte Folded Reload
	s_waitcnt vmcnt(0)
	v_and_b32_e32 v2, 3, v1
	v_and_b32_e32 v1, 0x7c, v1
	v_cmp_ne_u32_e32 vcc, s86, v1
                                        ; implicit-def: $vgpr1
	s_and_saveexec_b64 s[62:63], vcc
	s_xor_b64 s[36:37], exec, s[62:63]
	s_cbranch_execz .LBB6_28057
; %bb.28056:                            ;   in Loop: Header=BB6_25823 Depth=3
	buffer_load_dword v38, off, s[0:3], s33 offset:92 ; 4-byte Folded Reload
	buffer_load_dword v39, off, s[0:3], s33 offset:96 ; 4-byte Folded Reload
	v_bfe_u32 v1, v24, 2, 5
	v_ffbh_u32_e32 v24, v2
	v_min_u32_e32 v27, 32, v24
	s_waitcnt vmcnt(0)
	v_mov_b32_e32 v39, v33
	v_subrev_u32_e32 v24, 29, v27
	v_cmp_eq_u32_e32 vcc, 0, v1
	v_lshlrev_b64 v[24:25], v24, v[38:39]
	v_sub_u32_e32 v25, 30, v27
	v_and_b32_e32 v24, 3, v24
	v_cndmask_b32_e32 v2, v2, v24, vcc
	v_lshlrev_b32_e32 v24, 24, v38
	v_cndmask_b32_e32 v1, v1, v25, vcc
	v_and_b32_e32 v24, 0x80000000, v24
	v_lshl_add_u32 v1, v1, 23, v24
	v_lshl_or_b32 v1, v2, 21, v1
	v_add_u32_e32 v1, 0x38000000, v1
                                        ; implicit-def: $vgpr24
                                        ; implicit-def: $vgpr2
	buffer_store_dword v24, off, s[0:3], s33 offset:92 ; 4-byte Folded Spill
	s_nop 0
	buffer_store_dword v25, off, s[0:3], s33 offset:96 ; 4-byte Folded Spill
.LBB6_28057:                            ;   in Loop: Header=BB6_25823 Depth=3
	s_andn2_saveexec_b64 s[36:37], s[36:37]
	s_cbranch_execz .LBB6_28059
; %bb.28058:                            ;   in Loop: Header=BB6_25823 Depth=3
	buffer_load_dword v24, off, s[0:3], s33 offset:92 ; 4-byte Folded Reload
	buffer_load_dword v25, off, s[0:3], s33 offset:96 ; 4-byte Folded Reload
	v_mov_b32_e32 v1, -1
	s_waitcnt vmcnt(1)
	v_cmp_gt_i16_sdwa vcc, sext(v24), v1 src0_sel:BYTE_0 src1_sel:DWORD
	v_mov_b32_e32 v1, 0xff800000
	v_mov_b32_e32 v24, 0x7f800000
	v_cndmask_b32_e32 v1, v1, v24, vcc
	v_cmp_eq_u32_e32 vcc, 0, v2
	v_mov_b32_e32 v2, 0x7f800001
	v_cndmask_b32_e32 v1, v2, v1, vcc
.LBB6_28059:                            ;   in Loop: Header=BB6_25823 Depth=3
	s_or_b64 exec, exec, s[36:37]
.LBB6_28060:                            ;   in Loop: Header=BB6_25823 Depth=3
	s_or_b64 exec, exec, s[34:35]
.LBB6_28061:                            ;   in Loop: Header=BB6_25823 Depth=3
	s_or_b64 exec, exec, s[28:29]
	v_cmp_ne_u16_e32 vcc, 0, v26
	s_and_saveexec_b64 s[28:29], vcc
	s_cbranch_execz .LBB6_28069
; %bb.28062:                            ;   in Loop: Header=BB6_25823 Depth=3
	v_cmp_ne_u16_e32 vcc, s46, v26
	v_bfrev_b32_e32 v0, 1
	s_and_saveexec_b64 s[34:35], vcc
	s_cbranch_execz .LBB6_28068
; %bb.28063:                            ;   in Loop: Header=BB6_25823 Depth=3
	v_and_b32_e32 v0, 0x7c, v26
	v_and_b32_e32 v2, 3, v26
	v_cmp_ne_u32_e32 vcc, s86, v0
                                        ; implicit-def: $vgpr0
	s_and_saveexec_b64 s[62:63], vcc
	s_xor_b64 s[36:37], exec, s[62:63]
	s_cbranch_execz .LBB6_28065
; %bb.28064:                            ;   in Loop: Header=BB6_25823 Depth=3
	v_ffbh_u32_e32 v24, v2
	v_min_u32_e32 v38, 32, v24
	v_mov_b32_e32 v27, v33
	v_subrev_u32_e32 v24, 29, v38
	v_and_b32_e32 v0, 0xff, v26
	s_waitcnt vmcnt(0)
	v_lshlrev_b64 v[24:25], v24, v[26:27]
	v_bfe_u32 v0, v0, 2, 5
	v_sub_u32_e32 v25, 30, v38
	v_and_b32_e32 v24, 3, v24
	v_cmp_eq_u32_e32 vcc, 0, v0
	v_cndmask_b32_e32 v0, v0, v25, vcc
	v_cndmask_b32_e32 v2, v2, v24, vcc
	v_and_b32_sdwa v24, sext(v26), s87 dst_sel:DWORD dst_unused:UNUSED_PAD src0_sel:WORD_0 src1_sel:DWORD
	v_lshl_add_u32 v0, v0, 23, v24
	v_lshl_or_b32 v0, v2, 21, v0
	v_add_u32_e32 v0, 0x38000000, v0
                                        ; implicit-def: $vgpr2
                                        ; implicit-def: $vgpr26
.LBB6_28065:                            ;   in Loop: Header=BB6_25823 Depth=3
	s_andn2_saveexec_b64 s[36:37], s[36:37]
; %bb.28066:                            ;   in Loop: Header=BB6_25823 Depth=3
	v_cmp_lt_i16_e32 vcc, -1, v26
	v_mov_b32_e32 v0, 0xff800000
	v_mov_b32_e32 v24, 0x7f800000
	v_cndmask_b32_e32 v0, v0, v24, vcc
	v_cmp_eq_u32_e32 vcc, 0, v2
	v_mov_b32_e32 v2, 0x7f800001
	v_cndmask_b32_e32 v0, v2, v0, vcc
; %bb.28067:                            ;   in Loop: Header=BB6_25823 Depth=3
	s_or_b64 exec, exec, s[36:37]
.LBB6_28068:                            ;   in Loop: Header=BB6_25823 Depth=3
	s_or_b64 exec, exec, s[34:35]
.LBB6_28069:                            ;   in Loop: Header=BB6_25823 Depth=3
	s_or_b64 exec, exec, s[28:29]
	v_add_f32_e32 v2, v1, v0
	v_and_b32_e32 v24, 0x7f800000, v2
	s_waitcnt vmcnt(0)
	v_mov_b32_e32 v25, v33
	v_cmp_ne_u64_e32 vcc, s[76:77], v[24:25]
	v_and_b32_e32 v0, 0x7fffff, v2
	v_mov_b32_e32 v1, v33
                                        ; implicit-def: $vgpr24
	s_and_saveexec_b64 s[28:29], vcc
	s_xor_b64 s[34:35], exec, s[28:29]
	s_cbranch_execz .LBB6_28087
; %bb.28070:                            ;   in Loop: Header=BB6_25823 Depth=3
	v_and_b32_e32 v24, 0x7fffffff, v2
	v_mov_b32_e32 v25, v33
	v_cmp_gt_u64_e32 vcc, s[78:79], v[24:25]
	v_and_b32_sdwa v25, v2, s97 dst_sel:DWORD dst_unused:UNUSED_PAD src0_sel:BYTE_3 src1_sel:DWORD
                                        ; implicit-def: $vgpr24
	s_and_saveexec_b64 s[28:29], vcc
	s_xor_b64 s[36:37], exec, s[28:29]
	s_cbranch_execz .LBB6_28084
; %bb.28071:                            ;   in Loop: Header=BB6_25823 Depth=3
	v_cmp_ne_u32_e32 vcc, 0, v2
	v_mov_b32_e32 v24, 0
	s_and_saveexec_b64 s[38:39], vcc
	s_cbranch_execz .LBB6_28083
; %bb.28072:                            ;   in Loop: Header=BB6_25823 Depth=3
	v_bfe_u32 v24, v2, 23, 8
	v_cmp_gt_u32_e64 s[28:29], s47, v24
	v_sub_u32_e32 v2, 0x71, v24
	v_cmp_eq_u32_e32 vcc, 0, v24
	v_cndmask_b32_e64 v2, 0, v2, s[28:29]
	v_mov_b32_e32 v26, 0x70
	v_cndmask_b32_e32 v26, v2, v26, vcc
	v_add_u32_e32 v2, 21, v26
	v_or_b32_e32 v27, 0x800000, v0
	v_lshlrev_b64 v[38:39], v2, -1
	v_cndmask_b32_e32 v0, v27, v0, vcc
	v_add_u32_e32 v2, 20, v26
	v_bfi_b32 v38, v38, 0, v0
	v_lshlrev_b64 v[40:41], v2, 1
	v_lshrrev_b64 v[0:1], v26, v[0:1]
	v_bfi_b32 v39, v39, 0, 0
	v_cmp_eq_u64_e64 s[28:29], v[38:39], v[40:41]
	v_mov_b32_e32 v2, v1
	v_mov_b32_e32 v1, v0
	s_and_saveexec_b64 s[48:49], s[28:29]
; %bb.28073:                            ;   in Loop: Header=BB6_25823 Depth=3
	v_bfe_u32 v1, v0, 21, 1
	v_add_co_u32_e64 v1, s[28:29], v0, v1
	v_add_co_u32_e64 v1, s[28:29], -1, v1
; %bb.28074:                            ;   in Loop: Header=BB6_25823 Depth=3
	s_or_b64 exec, exec, s[48:49]
	v_add_u32_e32 v2, 0xffffff81, v24
	v_mov_b32_e32 v24, 0xffffff82
	v_cndmask_b32_e32 v2, v2, v24, vcc
	v_lshrrev_b32_e32 v24, 23, v0
	v_add3_u32 v26, v26, v2, v24
	v_add_u32_e32 v24, 14, v26
	v_and_b32_e32 v1, 0x1fffff, v1
	v_add_u32_e32 v0, v1, v0
	v_mov_b32_e32 v1, v33
	v_cmp_ne_u32_e32 vcc, 0, v24
                                        ; implicit-def: $vgpr2
	s_and_saveexec_b64 s[28:29], vcc
	s_xor_b64 s[28:29], exec, s[28:29]
; %bb.28075:                            ;   in Loop: Header=BB6_25823 Depth=3
	v_cmp_lt_u64_e32 vcc, s[88:89], v[0:1]
	v_add_u32_e32 v2, 15, v26
	v_cndmask_b32_e32 v2, v24, v2, vcc
	v_cndmask_b32_e64 v24, 0, 1, vcc
	v_lshrrev_b64 v[0:1], v24, v[0:1]
; %bb.28076:                            ;   in Loop: Header=BB6_25823 Depth=3
	s_andn2_saveexec_b64 s[28:29], s[28:29]
; %bb.28077:                            ;   in Loop: Header=BB6_25823 Depth=3
	v_bfe_u32 v2, v0, 23, 1
; %bb.28078:                            ;   in Loop: Header=BB6_25823 Depth=3
	s_or_b64 exec, exec, s[28:29]
	v_lshrrev_b64 v[0:1], 21, v[0:1]
	v_cmp_gt_i32_e32 vcc, 32, v2
	v_cndmask_b32_e32 v1, 0, v1, vcc
	v_cndmask_b32_e32 v0, 3, v0, vcc
	v_cmp_ne_u64_e32 vcc, 0, v[0:1]
	v_cmp_ne_u32_e64 s[28:29], 0, v2
	s_or_b64 s[28:29], s[28:29], vcc
                                        ; implicit-def: $vgpr24
	s_and_saveexec_b64 s[62:63], s[28:29]
	s_xor_b64 s[28:29], exec, s[62:63]
; %bb.28079:                            ;   in Loop: Header=BB6_25823 Depth=3
	v_min_i32_e32 v1, 31, v2
	v_lshl_or_b32 v1, v1, 2, v25
	v_and_or_b32 v24, v0, 3, v1
                                        ; implicit-def: $vgpr25
; %bb.28080:                            ;   in Loop: Header=BB6_25823 Depth=3
	s_andn2_saveexec_b64 s[28:29], s[28:29]
; %bb.28081:                            ;   in Loop: Header=BB6_25823 Depth=3
	v_mov_b32_e32 v24, v25
; %bb.28082:                            ;   in Loop: Header=BB6_25823 Depth=3
	s_or_b64 exec, exec, s[28:29]
.LBB6_28083:                            ;   in Loop: Header=BB6_25823 Depth=3
	s_or_b64 exec, exec, s[38:39]
                                        ; implicit-def: $vgpr25
.LBB6_28084:                            ;   in Loop: Header=BB6_25823 Depth=3
	s_andn2_saveexec_b64 s[28:29], s[36:37]
; %bb.28085:                            ;   in Loop: Header=BB6_25823 Depth=3
	v_or_b32_e32 v24, 0x7b, v25
; %bb.28086:                            ;   in Loop: Header=BB6_25823 Depth=3
	s_or_b64 exec, exec, s[28:29]
                                        ; implicit-def: $vgpr2
                                        ; implicit-def: $vgpr0_vgpr1
.LBB6_28087:                            ;   in Loop: Header=BB6_25823 Depth=3
	s_andn2_saveexec_b64 s[28:29], s[34:35]
	s_cbranch_execz .LBB6_28093
; %bb.28088:                            ;   in Loop: Header=BB6_25823 Depth=3
	v_cmp_ne_u64_e32 vcc, 0, v[0:1]
                                        ; implicit-def: $vgpr24
	s_and_saveexec_b64 s[62:63], vcc
	s_xor_b64 vcc, exec, s[62:63]
; %bb.28089:                            ;   in Loop: Header=BB6_25823 Depth=3
	v_or_b32_sdwa v24, v2, s44 dst_sel:DWORD dst_unused:UNUSED_PAD src0_sel:BYTE_3 src1_sel:DWORD
                                        ; implicit-def: $vgpr2
; %bb.28090:                            ;   in Loop: Header=BB6_25823 Depth=3
	s_andn2_saveexec_b64 s[34:35], vcc
; %bb.28091:                            ;   in Loop: Header=BB6_25823 Depth=3
	v_cmp_lt_i32_e32 vcc, -1, v2
	v_mov_b32_e32 v0, 0x7c
	v_cndmask_b32_e32 v24, -4, v0, vcc
; %bb.28092:                            ;   in Loop: Header=BB6_25823 Depth=3
	s_or_b64 exec, exec, s[34:35]
.LBB6_28093:                            ;   in Loop: Header=BB6_25823 Depth=3
	s_or_b64 exec, exec, s[28:29]
	buffer_load_dword v0, off, s[0:3], s33 offset:84 ; 4-byte Folded Reload
	buffer_load_dword v1, off, s[0:3], s33 offset:88 ; 4-byte Folded Reload
	s_waitcnt vmcnt(0)
	v_mov_b32_e32 v1, 0
	v_and_b32_e32 v25, 0xff, v0
	v_cmp_ne_u16_e32 vcc, 0, v25
	v_mov_b32_e32 v0, 0
	s_and_saveexec_b64 s[28:29], vcc
	s_cbranch_execz .LBB6_28101
; %bb.28094:                            ;   in Loop: Header=BB6_25823 Depth=3
	v_cmp_ne_u16_e32 vcc, s97, v25
	v_bfrev_b32_e32 v1, 1
	s_and_saveexec_b64 s[34:35], vcc
	s_cbranch_execz .LBB6_28100
; %bb.28095:                            ;   in Loop: Header=BB6_25823 Depth=3
	buffer_load_dword v1, off, s[0:3], s33 offset:84 ; 4-byte Folded Reload
	buffer_load_dword v2, off, s[0:3], s33 offset:88 ; 4-byte Folded Reload
	s_waitcnt vmcnt(0)
	v_and_b32_e32 v2, 3, v1
	v_and_b32_e32 v1, 0x7c, v1
	v_cmp_ne_u32_e32 vcc, s86, v1
                                        ; implicit-def: $vgpr1
	s_and_saveexec_b64 s[62:63], vcc
	s_xor_b64 s[36:37], exec, s[62:63]
	s_cbranch_execz .LBB6_28097
; %bb.28096:                            ;   in Loop: Header=BB6_25823 Depth=3
	buffer_load_dword v38, off, s[0:3], s33 offset:84 ; 4-byte Folded Reload
	buffer_load_dword v39, off, s[0:3], s33 offset:88 ; 4-byte Folded Reload
	v_bfe_u32 v1, v25, 2, 5
	v_ffbh_u32_e32 v25, v2
	v_min_u32_e32 v27, 32, v25
	s_waitcnt vmcnt(0)
	v_mov_b32_e32 v39, v33
	v_subrev_u32_e32 v25, 29, v27
	v_cmp_eq_u32_e32 vcc, 0, v1
	v_lshlrev_b64 v[25:26], v25, v[38:39]
	v_sub_u32_e32 v26, 30, v27
	v_and_b32_e32 v25, 3, v25
	v_cndmask_b32_e32 v2, v2, v25, vcc
	v_lshlrev_b32_e32 v25, 24, v38
	v_cndmask_b32_e32 v1, v1, v26, vcc
	v_and_b32_e32 v25, 0x80000000, v25
	v_lshl_add_u32 v1, v1, 23, v25
	v_lshl_or_b32 v1, v2, 21, v1
	v_add_u32_e32 v1, 0x38000000, v1
                                        ; implicit-def: $vgpr25
                                        ; implicit-def: $vgpr2
	buffer_store_dword v25, off, s[0:3], s33 offset:84 ; 4-byte Folded Spill
	s_nop 0
	buffer_store_dword v26, off, s[0:3], s33 offset:88 ; 4-byte Folded Spill
.LBB6_28097:                            ;   in Loop: Header=BB6_25823 Depth=3
	s_andn2_saveexec_b64 s[36:37], s[36:37]
	s_cbranch_execz .LBB6_28099
; %bb.28098:                            ;   in Loop: Header=BB6_25823 Depth=3
	buffer_load_dword v25, off, s[0:3], s33 offset:84 ; 4-byte Folded Reload
	buffer_load_dword v26, off, s[0:3], s33 offset:88 ; 4-byte Folded Reload
	v_mov_b32_e32 v1, -1
	s_waitcnt vmcnt(1)
	v_cmp_gt_i16_sdwa vcc, sext(v25), v1 src0_sel:BYTE_0 src1_sel:DWORD
	v_mov_b32_e32 v1, 0xff800000
	v_mov_b32_e32 v25, 0x7f800000
	v_cndmask_b32_e32 v1, v1, v25, vcc
	v_cmp_eq_u32_e32 vcc, 0, v2
	v_mov_b32_e32 v2, 0x7f800001
	v_cndmask_b32_e32 v1, v2, v1, vcc
.LBB6_28099:                            ;   in Loop: Header=BB6_25823 Depth=3
	s_or_b64 exec, exec, s[36:37]
.LBB6_28100:                            ;   in Loop: Header=BB6_25823 Depth=3
	s_or_b64 exec, exec, s[34:35]
.LBB6_28101:                            ;   in Loop: Header=BB6_25823 Depth=3
	s_or_b64 exec, exec, s[28:29]
	buffer_load_dword v25, off, s[0:3], s33 offset:268 ; 4-byte Folded Reload
	buffer_load_dword v26, off, s[0:3], s33 offset:272 ; 4-byte Folded Reload
	s_waitcnt vmcnt(1)
	v_cmp_ne_u16_e32 vcc, 0, v25
	s_and_saveexec_b64 s[28:29], vcc
	s_cbranch_execz .LBB6_28109
; %bb.28102:                            ;   in Loop: Header=BB6_25823 Depth=3
	v_cmp_ne_u16_e32 vcc, s46, v25
	v_bfrev_b32_e32 v0, 1
	s_and_saveexec_b64 s[34:35], vcc
	s_cbranch_execz .LBB6_28108
; %bb.28103:                            ;   in Loop: Header=BB6_25823 Depth=3
	v_and_b32_e32 v0, 0x7c, v25
	v_and_b32_e32 v2, 3, v25
	v_cmp_ne_u32_e32 vcc, s86, v0
                                        ; implicit-def: $vgpr0
	s_and_saveexec_b64 s[62:63], vcc
	s_xor_b64 s[36:37], exec, s[62:63]
	s_cbranch_execz .LBB6_28105
; %bb.28104:                            ;   in Loop: Header=BB6_25823 Depth=3
	buffer_load_dword v38, off, s[0:3], s33 offset:268 ; 4-byte Folded Reload
	buffer_load_dword v39, off, s[0:3], s33 offset:272 ; 4-byte Folded Reload
	v_ffbh_u32_e32 v25, v2
	v_min_u32_e32 v27, 32, v25
	s_waitcnt vmcnt(0)
	v_mov_b32_e32 v39, v33
	v_subrev_u32_e32 v25, 29, v27
	v_and_b32_e32 v0, 0xff, v38
	v_lshlrev_b64 v[25:26], v25, v[38:39]
	v_bfe_u32 v0, v0, 2, 5
	v_sub_u32_e32 v26, 30, v27
	v_and_b32_e32 v25, 3, v25
	v_cmp_eq_u32_e32 vcc, 0, v0
	v_cndmask_b32_e32 v0, v0, v26, vcc
	v_cndmask_b32_e32 v2, v2, v25, vcc
	v_and_b32_sdwa v25, sext(v38), s87 dst_sel:DWORD dst_unused:UNUSED_PAD src0_sel:WORD_0 src1_sel:DWORD
	v_lshl_add_u32 v0, v0, 23, v25
	v_lshl_or_b32 v0, v2, 21, v0
	v_add_u32_e32 v0, 0x38000000, v0
                                        ; implicit-def: $vgpr25
                                        ; implicit-def: $vgpr2
	buffer_store_dword v25, off, s[0:3], s33 offset:268 ; 4-byte Folded Spill
	s_nop 0
	buffer_store_dword v26, off, s[0:3], s33 offset:272 ; 4-byte Folded Spill
.LBB6_28105:                            ;   in Loop: Header=BB6_25823 Depth=3
	s_andn2_saveexec_b64 s[36:37], s[36:37]
	s_cbranch_execz .LBB6_28107
; %bb.28106:                            ;   in Loop: Header=BB6_25823 Depth=3
	buffer_load_dword v25, off, s[0:3], s33 offset:268 ; 4-byte Folded Reload
	buffer_load_dword v26, off, s[0:3], s33 offset:272 ; 4-byte Folded Reload
	v_mov_b32_e32 v0, 0xff800000
	s_waitcnt vmcnt(1)
	v_cmp_lt_i16_e32 vcc, -1, v25
	v_mov_b32_e32 v25, 0x7f800000
	v_cndmask_b32_e32 v0, v0, v25, vcc
	v_cmp_eq_u32_e32 vcc, 0, v2
	v_mov_b32_e32 v2, 0x7f800001
	v_cndmask_b32_e32 v0, v2, v0, vcc
.LBB6_28107:                            ;   in Loop: Header=BB6_25823 Depth=3
	s_or_b64 exec, exec, s[36:37]
.LBB6_28108:                            ;   in Loop: Header=BB6_25823 Depth=3
	s_or_b64 exec, exec, s[34:35]
.LBB6_28109:                            ;   in Loop: Header=BB6_25823 Depth=3
	s_or_b64 exec, exec, s[28:29]
	s_waitcnt vmcnt(0)
	v_add_f32_e32 v26, v1, v0
	v_and_b32_e32 v1, 0x7f800000, v26
	v_mov_b32_e32 v2, v33
	v_cmp_ne_u64_e32 vcc, s[76:77], v[1:2]
	v_and_b32_e32 v0, 0x7fffff, v26
	v_mov_b32_e32 v1, v33
                                        ; implicit-def: $vgpr2
	s_and_saveexec_b64 s[28:29], vcc
	s_xor_b64 s[34:35], exec, s[28:29]
	s_cbranch_execz .LBB6_28127
; %bb.28110:                            ;   in Loop: Header=BB6_25823 Depth=3
	v_and_b32_e32 v38, 0x7fffffff, v26
	v_mov_b32_e32 v39, v33
	v_cmp_gt_u64_e32 vcc, s[78:79], v[38:39]
	v_and_b32_sdwa v25, v26, s97 dst_sel:DWORD dst_unused:UNUSED_PAD src0_sel:BYTE_3 src1_sel:DWORD
                                        ; implicit-def: $vgpr2
	s_and_saveexec_b64 s[28:29], vcc
	s_xor_b64 s[36:37], exec, s[28:29]
	s_cbranch_execz .LBB6_28124
; %bb.28111:                            ;   in Loop: Header=BB6_25823 Depth=3
	v_cmp_ne_u32_e32 vcc, 0, v26
	v_mov_b32_e32 v2, 0
	s_and_saveexec_b64 s[38:39], vcc
	s_cbranch_execz .LBB6_28123
; %bb.28112:                            ;   in Loop: Header=BB6_25823 Depth=3
	v_bfe_u32 v26, v26, 23, 8
	v_cmp_gt_u32_e64 s[28:29], s47, v26
	v_sub_u32_e32 v2, 0x71, v26
	v_cmp_eq_u32_e32 vcc, 0, v26
	v_cndmask_b32_e64 v2, 0, v2, s[28:29]
	v_mov_b32_e32 v27, 0x70
	v_cndmask_b32_e32 v27, v2, v27, vcc
	v_or_b32_e32 v38, 0x800000, v0
	v_add_u32_e32 v2, 21, v27
	v_cndmask_b32_e32 v0, v38, v0, vcc
	v_lshlrev_b64 v[38:39], v2, -1
	v_add_u32_e32 v2, 20, v27
	v_bfi_b32 v38, v38, 0, v0
	v_lshlrev_b64 v[40:41], v2, 1
	v_lshrrev_b64 v[0:1], v27, v[0:1]
	v_bfi_b32 v39, v39, 0, 0
	v_cmp_eq_u64_e64 s[28:29], v[38:39], v[40:41]
	v_mov_b32_e32 v2, v1
	v_mov_b32_e32 v1, v0
	s_and_saveexec_b64 s[48:49], s[28:29]
; %bb.28113:                            ;   in Loop: Header=BB6_25823 Depth=3
	v_bfe_u32 v1, v0, 21, 1
	v_add_co_u32_e64 v1, s[28:29], v0, v1
	v_add_co_u32_e64 v1, s[28:29], -1, v1
; %bb.28114:                            ;   in Loop: Header=BB6_25823 Depth=3
	s_or_b64 exec, exec, s[48:49]
	v_add_u32_e32 v2, 0xffffff81, v26
	v_mov_b32_e32 v26, 0xffffff82
	v_cndmask_b32_e32 v2, v2, v26, vcc
	v_lshrrev_b32_e32 v26, 23, v0
	v_add3_u32 v27, v27, v2, v26
	v_add_u32_e32 v2, 14, v27
	v_and_b32_e32 v1, 0x1fffff, v1
	v_add_u32_e32 v0, v1, v0
	v_mov_b32_e32 v1, v33
	v_cmp_ne_u32_e32 vcc, 0, v2
                                        ; implicit-def: $vgpr26
	s_and_saveexec_b64 s[28:29], vcc
	s_xor_b64 s[28:29], exec, s[28:29]
; %bb.28115:                            ;   in Loop: Header=BB6_25823 Depth=3
	v_cmp_lt_u64_e32 vcc, s[88:89], v[0:1]
	v_add_u32_e32 v26, 15, v27
	v_cndmask_b32_e32 v26, v2, v26, vcc
	v_cndmask_b32_e64 v2, 0, 1, vcc
	v_lshrrev_b64 v[0:1], v2, v[0:1]
; %bb.28116:                            ;   in Loop: Header=BB6_25823 Depth=3
	s_andn2_saveexec_b64 s[28:29], s[28:29]
; %bb.28117:                            ;   in Loop: Header=BB6_25823 Depth=3
	v_bfe_u32 v26, v0, 23, 1
; %bb.28118:                            ;   in Loop: Header=BB6_25823 Depth=3
	s_or_b64 exec, exec, s[28:29]
	v_lshrrev_b64 v[0:1], 21, v[0:1]
	v_cmp_gt_i32_e32 vcc, 32, v26
	v_cndmask_b32_e32 v1, 0, v1, vcc
	v_cndmask_b32_e32 v0, 3, v0, vcc
	v_cmp_ne_u64_e32 vcc, 0, v[0:1]
	v_cmp_ne_u32_e64 s[28:29], 0, v26
	s_or_b64 s[28:29], s[28:29], vcc
                                        ; implicit-def: $vgpr2
	s_and_saveexec_b64 s[62:63], s[28:29]
	s_xor_b64 s[28:29], exec, s[62:63]
; %bb.28119:                            ;   in Loop: Header=BB6_25823 Depth=3
	v_min_i32_e32 v1, 31, v26
	v_lshl_or_b32 v1, v1, 2, v25
	v_and_or_b32 v2, v0, 3, v1
                                        ; implicit-def: $vgpr25
; %bb.28120:                            ;   in Loop: Header=BB6_25823 Depth=3
	s_andn2_saveexec_b64 s[28:29], s[28:29]
; %bb.28121:                            ;   in Loop: Header=BB6_25823 Depth=3
	v_mov_b32_e32 v2, v25
; %bb.28122:                            ;   in Loop: Header=BB6_25823 Depth=3
	s_or_b64 exec, exec, s[28:29]
.LBB6_28123:                            ;   in Loop: Header=BB6_25823 Depth=3
	s_or_b64 exec, exec, s[38:39]
                                        ; implicit-def: $vgpr25
.LBB6_28124:                            ;   in Loop: Header=BB6_25823 Depth=3
	s_andn2_saveexec_b64 s[28:29], s[36:37]
; %bb.28125:                            ;   in Loop: Header=BB6_25823 Depth=3
	v_or_b32_e32 v2, 0x7b, v25
; %bb.28126:                            ;   in Loop: Header=BB6_25823 Depth=3
	s_or_b64 exec, exec, s[28:29]
                                        ; implicit-def: $vgpr26
                                        ; implicit-def: $vgpr0_vgpr1
.LBB6_28127:                            ;   in Loop: Header=BB6_25823 Depth=3
	s_andn2_saveexec_b64 s[28:29], s[34:35]
	s_cbranch_execz .LBB6_25822
; %bb.28128:                            ;   in Loop: Header=BB6_25823 Depth=3
	v_cmp_ne_u64_e32 vcc, 0, v[0:1]
                                        ; implicit-def: $vgpr2
	s_and_saveexec_b64 s[62:63], vcc
	s_xor_b64 vcc, exec, s[62:63]
; %bb.28129:                            ;   in Loop: Header=BB6_25823 Depth=3
	v_or_b32_sdwa v2, v26, s44 dst_sel:DWORD dst_unused:UNUSED_PAD src0_sel:BYTE_3 src1_sel:DWORD
                                        ; implicit-def: $vgpr26
; %bb.28130:                            ;   in Loop: Header=BB6_25823 Depth=3
	s_andn2_saveexec_b64 s[34:35], vcc
	s_cbranch_execz .LBB6_25821
; %bb.28131:                            ;   in Loop: Header=BB6_25823 Depth=3
	v_cmp_lt_i32_e32 vcc, -1, v26
	v_mov_b32_e32 v0, 0x7c
	v_cndmask_b32_e32 v2, -4, v0, vcc
	s_branch .LBB6_25821
.LBB6_28132:                            ;   in Loop: Header=BB6_13101 Depth=2
	s_or_b64 exec, exec, s[30:31]
	buffer_load_dword v3, off, s[0:3], s33 offset:288 ; 4-byte Folded Reload
	buffer_load_dword v5, off, s[0:3], s33 offset:296 ; 4-byte Folded Reload
	;; [unrolled: 1-line block ×5, first 2 shown]
.LBB6_28133:                            ;   in Loop: Header=BB6_13101 Depth=2
	s_or_b64 exec, exec, s[42:43]
	s_waitcnt vmcnt(0)
	v_lshlrev_b32_e32 v0, 11, v1
	v_cmp_ne_u32_e32 vcc, v5, v0
	s_and_b64 exec, exec, vcc
	s_cbranch_execz .LBB6_28215
; %bb.28134:                            ;   in Loop: Header=BB6_13101 Depth=2
	v_lshlrev_b32_e32 v1, 6, v4
	v_sub_u32_e32 v1, v2, v1
	v_lshlrev_b32_e32 v2, 6, v34
	v_sub_u32_e32 v1, v1, v2
	v_add_u32_e32 v0, v0, v1
	v_sub_u32_e32 v10, v5, v0
	v_cmp_lt_i32_e32 vcc, 0, v10
	s_and_b64 exec, exec, vcc
	s_cbranch_execz .LBB6_28215
; %bb.28135:                            ;   in Loop: Header=BB6_13101 Depth=2
	v_add_u32_e32 v6, v0, v3
	s_trap 2
	ds_read_b128 v[0:3], v0
	v_ashrrev_i32_e32 v7, 31, v6
	s_mov_b64 s[42:43], 0
	s_waitcnt lgkmcnt(0)
	v_add_co_u32_e32 v0, vcc, v0, v6
	ds_read_b64 v[4:5], v0
	v_addc_co_u32_e32 v1, vcc, v1, v7, vcc
	v_add_co_u32_e32 v2, vcc, v2, v6
	v_addc_co_u32_e32 v3, vcc, v3, v7, vcc
	s_waitcnt lgkmcnt(0)
	v_add_co_u32_e32 v4, vcc, v4, v6
	v_addc_co_u32_e32 v5, vcc, v5, v7, vcc
	s_branch .LBB6_28138
.LBB6_28136:                            ;   in Loop: Header=BB6_28138 Depth=3
	s_or_b64 exec, exec, s[30:31]
.LBB6_28137:                            ;   in Loop: Header=BB6_28138 Depth=3
	s_or_b64 exec, exec, s[28:29]
	buffer_load_dword v6, off, s[0:3], s33 offset:404 ; 4-byte Folded Reload
	s_waitcnt vmcnt(0)
	v_add_co_u32_e32 v0, vcc, v0, v6
	v_addc_co_u32_e32 v1, vcc, 0, v1, vcc
	v_add_co_u32_e32 v2, vcc, v2, v6
	v_addc_co_u32_e32 v3, vcc, 0, v3, vcc
	v_sub_u32_e32 v10, v10, v6
	v_cmp_gt_i32_e32 vcc, 1, v10
	flat_store_byte v[4:5], v8 glc slc
	s_or_b64 s[42:43], vcc, s[42:43]
	v_add_co_u32_e32 v4, vcc, v4, v6
	v_addc_co_u32_e32 v5, vcc, 0, v5, vcc
	s_andn2_b64 exec, exec, s[42:43]
	s_cbranch_execz .LBB6_28215
.LBB6_28138:                            ;   Parent Loop BB6_47 Depth=1
                                        ;     Parent Loop BB6_13101 Depth=2
                                        ; =>    This Inner Loop Header: Depth=3
	s_trap 2
	ds_read_b64 v[6:7], v0
	v_mov_b32_e32 v8, 0
	s_waitcnt lgkmcnt(0)
	v_cmp_eq_u32_sdwa s[62:63], v6, v33 src0_sel:BYTE_0 src1_sel:DWORD
	v_readfirstlane_b32 s28, v6
	v_readfirstlane_b32 s29, v7
	v_mov_b32_e32 v7, 0
	s_and_b64 vcc, exec, s[62:63]
	s_cbranch_vccnz .LBB6_28144
; %bb.28139:                            ;   in Loop: Header=BB6_28138 Depth=3
	s_bfe_i32 s63, s28, 0x80000
	s_and_b32 s62, 0xffff, s63
	s_cmpk_eq_u32 s62, 0xff80
	v_bfrev_b32_e32 v8, 1
	s_cbranch_scc1 .LBB6_28144
; %bb.28140:                            ;   in Loop: Header=BB6_28138 Depth=3
	s_and_b32 s62, s28, 3
	s_and_b32 s30, s28, 0x7c
	s_mov_b64 vcc, -1
	s_cmpk_lg_i32 s30, 0x7c
	s_sext_i32_i16 s63, s63
                                        ; implicit-def: $sgpr30
	s_cbranch_scc0 .LBB6_28142
; %bb.28141:                            ;   in Loop: Header=BB6_28138 Depth=3
	s_flbit_i32_b32 vcc_hi, s62
	s_min_u32 vcc_hi, vcc_hi, 32
	s_sub_i32 s30, vcc_hi, 29
	s_bfe_u32 vcc_lo, s28, 0x50002
	s_lshl_b64 s[28:29], s[28:29], s30
	s_sub_i32 s29, 30, vcc_hi
	s_and_b32 s28, s28, 3
	s_cmp_eq_u32 vcc_lo, 0
	s_cselect_b32 s29, s29, vcc_lo
	s_cselect_b32 s28, s28, s62
	s_and_b32 vcc_lo, s63, 0x80000000
	s_lshl_b32 s29, s29, 23
	s_add_i32 s29, s29, vcc_lo
	s_lshl_b32 s28, s28, 21
	s_or_b32 s28, s29, s28
	s_add_i32 s30, s28, 0x38000000
	s_mov_b64 vcc, 0
.LBB6_28142:                            ;   in Loop: Header=BB6_28138 Depth=3
	s_andn2_b64 vcc, exec, vcc
	v_mov_b32_e32 v8, s30
	s_cbranch_vccnz .LBB6_28144
; %bb.28143:                            ;   in Loop: Header=BB6_28138 Depth=3
	s_cmp_eq_u32 s62, 0
	s_cselect_b64 vcc, -1, 0
	s_cmp_gt_i32 s63, -1
	s_cselect_b64 s[28:29], -1, 0
	v_mov_b32_e32 v6, 0xff800000
	v_mov_b32_e32 v8, 0x7f800000
	v_cndmask_b32_e64 v6, v6, v8, s[28:29]
	v_mov_b32_e32 v8, 0x7f800001
	v_cndmask_b32_e32 v8, v8, v6, vcc
.LBB6_28144:                            ;   in Loop: Header=BB6_28138 Depth=3
	flat_load_sbyte v6, v[0:1] glc slc
	s_waitcnt vmcnt(0) lgkmcnt(0)
	v_cmp_ne_u16_e32 vcc, 0, v6
	s_and_saveexec_b64 s[28:29], vcc
	s_cbranch_execz .LBB6_28152
; %bb.28145:                            ;   in Loop: Header=BB6_28138 Depth=3
	v_cmp_ne_u16_e32 vcc, s46, v6
	v_bfrev_b32_e32 v7, 1
	s_and_saveexec_b64 s[30:31], vcc
	s_cbranch_execz .LBB6_28151
; %bb.28146:                            ;   in Loop: Header=BB6_28138 Depth=3
	v_and_b32_e32 v7, 0x7c, v6
	v_and_b32_e32 v9, 3, v6
	v_cmp_ne_u32_e32 vcc, s86, v7
                                        ; implicit-def: $vgpr7
	s_and_saveexec_b64 s[62:63], vcc
	s_xor_b64 s[34:35], exec, s[62:63]
	s_cbranch_execz .LBB6_28148
; %bb.28147:                            ;   in Loop: Header=BB6_28138 Depth=3
	v_and_b32_e32 v11, 0xff, v6
	v_bfe_u32 v13, v11, 2, 5
	v_ffbh_u32_e32 v11, v9
	v_min_u32_e32 v14, 32, v11
	v_mov_b32_e32 v7, v33
	v_subrev_u32_e32 v11, 29, v14
	v_lshlrev_b64 v[11:12], v11, v[6:7]
	v_sub_u32_e32 v7, 30, v14
	v_cmp_eq_u32_e32 vcc, 0, v13
	v_and_b32_e32 v11, 3, v11
	v_cndmask_b32_e32 v7, v13, v7, vcc
	v_and_b32_sdwa v6, sext(v6), s87 dst_sel:DWORD dst_unused:UNUSED_PAD src0_sel:WORD_0 src1_sel:DWORD
	v_cndmask_b32_e32 v9, v9, v11, vcc
	v_lshl_add_u32 v6, v7, 23, v6
	v_lshl_or_b32 v6, v9, 21, v6
	v_add_u32_e32 v7, 0x38000000, v6
                                        ; implicit-def: $vgpr9
                                        ; implicit-def: $vgpr6
.LBB6_28148:                            ;   in Loop: Header=BB6_28138 Depth=3
	s_andn2_saveexec_b64 s[34:35], s[34:35]
; %bb.28149:                            ;   in Loop: Header=BB6_28138 Depth=3
	v_cmp_lt_i16_e32 vcc, -1, v6
	v_mov_b32_e32 v6, 0xff800000
	v_mov_b32_e32 v7, 0x7f800000
	v_cndmask_b32_e32 v6, v6, v7, vcc
	v_cmp_eq_u32_e32 vcc, 0, v9
	v_mov_b32_e32 v7, 0x7f800001
	v_cndmask_b32_e32 v7, v7, v6, vcc
; %bb.28150:                            ;   in Loop: Header=BB6_28138 Depth=3
	s_or_b64 exec, exec, s[34:35]
.LBB6_28151:                            ;   in Loop: Header=BB6_28138 Depth=3
	s_or_b64 exec, exec, s[30:31]
.LBB6_28152:                            ;   in Loop: Header=BB6_28138 Depth=3
	s_or_b64 exec, exec, s[28:29]
	v_mul_f32_e32 v11, v8, v7
	v_and_b32_e32 v8, 0x7f800000, v11
	v_mov_b32_e32 v9, v33
	v_cmp_ne_u64_e32 vcc, s[76:77], v[8:9]
	v_and_b32_e32 v7, 0x7fffff, v11
	v_mov_b32_e32 v8, v33
                                        ; implicit-def: $vgpr6
	s_and_saveexec_b64 s[28:29], vcc
	s_xor_b64 s[30:31], exec, s[28:29]
	s_cbranch_execz .LBB6_28170
; %bb.28153:                            ;   in Loop: Header=BB6_28138 Depth=3
	v_and_b32_e32 v12, 0x7fffffff, v11
	v_mov_b32_e32 v13, v33
	v_cmp_gt_u64_e32 vcc, s[78:79], v[12:13]
	v_and_b32_sdwa v9, v11, s97 dst_sel:DWORD dst_unused:UNUSED_PAD src0_sel:BYTE_3 src1_sel:DWORD
                                        ; implicit-def: $vgpr6
	s_and_saveexec_b64 s[28:29], vcc
	s_xor_b64 s[34:35], exec, s[28:29]
	s_cbranch_execz .LBB6_28167
; %bb.28154:                            ;   in Loop: Header=BB6_28138 Depth=3
	v_cmp_ne_u32_e32 vcc, 0, v11
	v_mov_b32_e32 v6, 0
	s_and_saveexec_b64 s[36:37], vcc
	s_cbranch_execz .LBB6_28166
; %bb.28155:                            ;   in Loop: Header=BB6_28138 Depth=3
	v_bfe_u32 v11, v11, 23, 8
	v_cmp_gt_u32_e64 s[28:29], s47, v11
	v_sub_u32_e32 v6, 0x71, v11
	v_cmp_eq_u32_e32 vcc, 0, v11
	v_cndmask_b32_e64 v6, 0, v6, s[28:29]
	v_mov_b32_e32 v12, 0x70
	v_cndmask_b32_e32 v12, v6, v12, vcc
	v_or_b32_e32 v13, 0x800000, v7
	v_add_u32_e32 v6, 21, v12
	v_cndmask_b32_e32 v7, v13, v7, vcc
	v_lshlrev_b64 v[13:14], v6, -1
	v_add_u32_e32 v6, 20, v12
	v_bfi_b32 v13, v13, 0, v7
	v_lshlrev_b64 v[15:16], v6, 1
	v_lshrrev_b64 v[6:7], v12, v[7:8]
	v_bfi_b32 v14, v14, 0, 0
	v_cmp_eq_u64_e64 s[28:29], v[13:14], v[15:16]
	v_mov_b32_e32 v8, v7
	v_mov_b32_e32 v7, v6
	s_and_saveexec_b64 s[38:39], s[28:29]
; %bb.28156:                            ;   in Loop: Header=BB6_28138 Depth=3
	v_bfe_u32 v7, v6, 21, 1
	v_add_co_u32_e64 v7, s[28:29], v6, v7
	v_add_co_u32_e64 v7, s[28:29], -1, v7
; %bb.28157:                            ;   in Loop: Header=BB6_28138 Depth=3
	s_or_b64 exec, exec, s[38:39]
	v_add_u32_e32 v8, 0xffffff81, v11
	v_mov_b32_e32 v11, 0xffffff82
	v_cndmask_b32_e32 v8, v8, v11, vcc
	v_lshrrev_b32_e32 v11, 23, v6
	v_add3_u32 v12, v12, v8, v11
	v_add_u32_e32 v8, 14, v12
	v_and_b32_e32 v7, 0x1fffff, v7
	v_add_u32_e32 v6, v7, v6
	v_mov_b32_e32 v7, v33
	v_cmp_ne_u32_e32 vcc, 0, v8
                                        ; implicit-def: $vgpr11
	s_and_saveexec_b64 s[28:29], vcc
	s_xor_b64 s[28:29], exec, s[28:29]
; %bb.28158:                            ;   in Loop: Header=BB6_28138 Depth=3
	v_cmp_lt_u64_e32 vcc, s[88:89], v[6:7]
	v_add_u32_e32 v11, 15, v12
	v_cndmask_b32_e32 v11, v8, v11, vcc
	v_cndmask_b32_e64 v8, 0, 1, vcc
	v_lshrrev_b64 v[6:7], v8, v[6:7]
; %bb.28159:                            ;   in Loop: Header=BB6_28138 Depth=3
	s_andn2_saveexec_b64 s[28:29], s[28:29]
; %bb.28160:                            ;   in Loop: Header=BB6_28138 Depth=3
	v_bfe_u32 v11, v6, 23, 1
; %bb.28161:                            ;   in Loop: Header=BB6_28138 Depth=3
	s_or_b64 exec, exec, s[28:29]
	v_lshrrev_b64 v[6:7], 21, v[6:7]
	v_cmp_gt_i32_e32 vcc, 32, v11
	v_cndmask_b32_e32 v8, 0, v7, vcc
	v_cndmask_b32_e32 v7, 3, v6, vcc
	v_cmp_ne_u64_e32 vcc, 0, v[7:8]
	v_cmp_ne_u32_e64 s[28:29], 0, v11
	s_or_b64 s[28:29], s[28:29], vcc
                                        ; implicit-def: $vgpr6
	s_and_saveexec_b64 s[62:63], s[28:29]
	s_xor_b64 s[28:29], exec, s[62:63]
; %bb.28162:                            ;   in Loop: Header=BB6_28138 Depth=3
	v_min_i32_e32 v6, 31, v11
	v_lshl_or_b32 v6, v6, 2, v9
	v_and_or_b32 v6, v7, 3, v6
                                        ; implicit-def: $vgpr9
; %bb.28163:                            ;   in Loop: Header=BB6_28138 Depth=3
	s_andn2_saveexec_b64 s[28:29], s[28:29]
; %bb.28164:                            ;   in Loop: Header=BB6_28138 Depth=3
	v_mov_b32_e32 v6, v9
; %bb.28165:                            ;   in Loop: Header=BB6_28138 Depth=3
	s_or_b64 exec, exec, s[28:29]
.LBB6_28166:                            ;   in Loop: Header=BB6_28138 Depth=3
	s_or_b64 exec, exec, s[36:37]
                                        ; implicit-def: $vgpr9
.LBB6_28167:                            ;   in Loop: Header=BB6_28138 Depth=3
	s_andn2_saveexec_b64 s[28:29], s[34:35]
; %bb.28168:                            ;   in Loop: Header=BB6_28138 Depth=3
	v_or_b32_e32 v6, 0x7b, v9
; %bb.28169:                            ;   in Loop: Header=BB6_28138 Depth=3
	s_or_b64 exec, exec, s[28:29]
                                        ; implicit-def: $vgpr11
                                        ; implicit-def: $vgpr7_vgpr8
.LBB6_28170:                            ;   in Loop: Header=BB6_28138 Depth=3
	s_andn2_saveexec_b64 s[28:29], s[30:31]
	s_cbranch_execz .LBB6_28176
; %bb.28171:                            ;   in Loop: Header=BB6_28138 Depth=3
	v_cmp_ne_u64_e32 vcc, 0, v[7:8]
                                        ; implicit-def: $vgpr6
	s_and_saveexec_b64 s[62:63], vcc
	s_xor_b64 vcc, exec, s[62:63]
; %bb.28172:                            ;   in Loop: Header=BB6_28138 Depth=3
	v_or_b32_sdwa v6, v11, s44 dst_sel:DWORD dst_unused:UNUSED_PAD src0_sel:BYTE_3 src1_sel:DWORD
                                        ; implicit-def: $vgpr11
; %bb.28173:                            ;   in Loop: Header=BB6_28138 Depth=3
	s_andn2_saveexec_b64 s[30:31], vcc
; %bb.28174:                            ;   in Loop: Header=BB6_28138 Depth=3
	v_cmp_lt_i32_e32 vcc, -1, v11
	v_mov_b32_e32 v6, 0x7c
	v_cndmask_b32_e32 v6, -4, v6, vcc
; %bb.28175:                            ;   in Loop: Header=BB6_28138 Depth=3
	s_or_b64 exec, exec, s[30:31]
.LBB6_28176:                            ;   in Loop: Header=BB6_28138 Depth=3
	s_or_b64 exec, exec, s[28:29]
	flat_load_sbyte v8, v[2:3] glc slc
	v_and_b32_e32 v12, 0xff, v6
	v_cmp_ne_u16_e32 vcc, 0, v12
	v_mov_b32_e32 v9, 0
	v_mov_b32_e32 v7, 0
	s_and_saveexec_b64 s[28:29], vcc
	s_cbranch_execz .LBB6_28184
; %bb.28177:                            ;   in Loop: Header=BB6_28138 Depth=3
	v_cmp_ne_u16_e32 vcc, s97, v12
	v_bfrev_b32_e32 v7, 1
	s_and_saveexec_b64 s[30:31], vcc
	s_cbranch_execz .LBB6_28183
; %bb.28178:                            ;   in Loop: Header=BB6_28138 Depth=3
	v_and_b32_e32 v7, 0x7c, v6
	v_and_b32_e32 v11, 3, v6
	v_cmp_ne_u32_e32 vcc, s86, v7
                                        ; implicit-def: $vgpr7
	s_and_saveexec_b64 s[62:63], vcc
	s_xor_b64 s[34:35], exec, s[62:63]
	s_cbranch_execz .LBB6_28180
; %bb.28179:                            ;   in Loop: Header=BB6_28138 Depth=3
	v_bfe_u32 v14, v12, 2, 5
	v_ffbh_u32_e32 v12, v11
	v_min_u32_e32 v15, 32, v12
	v_mov_b32_e32 v7, v33
	v_subrev_u32_e32 v12, 29, v15
	v_lshlrev_b64 v[12:13], v12, v[6:7]
	v_sub_u32_e32 v7, 30, v15
	v_cmp_eq_u32_e32 vcc, 0, v14
	v_lshlrev_b32_e32 v6, 24, v6
	v_and_b32_e32 v12, 3, v12
	v_cndmask_b32_e32 v7, v14, v7, vcc
	v_and_b32_e32 v6, 0x80000000, v6
	v_cndmask_b32_e32 v11, v11, v12, vcc
	v_lshl_add_u32 v6, v7, 23, v6
	v_lshl_or_b32 v6, v11, 21, v6
	v_add_u32_e32 v7, 0x38000000, v6
                                        ; implicit-def: $vgpr11
                                        ; implicit-def: $vgpr6
.LBB6_28180:                            ;   in Loop: Header=BB6_28138 Depth=3
	s_andn2_saveexec_b64 s[34:35], s[34:35]
; %bb.28181:                            ;   in Loop: Header=BB6_28138 Depth=3
	v_mov_b32_e32 v7, -1
	v_cmp_gt_i16_sdwa vcc, sext(v6), v7 src0_sel:BYTE_0 src1_sel:DWORD
	v_mov_b32_e32 v6, 0xff800000
	v_mov_b32_e32 v7, 0x7f800000
	v_cndmask_b32_e32 v6, v6, v7, vcc
	v_cmp_eq_u32_e32 vcc, 0, v11
	v_mov_b32_e32 v7, 0x7f800001
	v_cndmask_b32_e32 v7, v7, v6, vcc
; %bb.28182:                            ;   in Loop: Header=BB6_28138 Depth=3
	s_or_b64 exec, exec, s[34:35]
.LBB6_28183:                            ;   in Loop: Header=BB6_28138 Depth=3
	s_or_b64 exec, exec, s[30:31]
.LBB6_28184:                            ;   in Loop: Header=BB6_28138 Depth=3
	s_or_b64 exec, exec, s[28:29]
	s_waitcnt vmcnt(0) lgkmcnt(0)
	v_cmp_ne_u16_e32 vcc, 0, v8
	s_and_saveexec_b64 s[28:29], vcc
	s_cbranch_execz .LBB6_28192
; %bb.28185:                            ;   in Loop: Header=BB6_28138 Depth=3
	v_cmp_ne_u16_e32 vcc, s46, v8
	v_bfrev_b32_e32 v9, 1
	s_and_saveexec_b64 s[30:31], vcc
	s_cbranch_execz .LBB6_28191
; %bb.28186:                            ;   in Loop: Header=BB6_28138 Depth=3
	v_and_b32_e32 v9, 0x7c, v8
	v_and_b32_e32 v6, 3, v8
	v_cmp_ne_u32_e32 vcc, s86, v9
                                        ; implicit-def: $vgpr9
	s_and_saveexec_b64 s[62:63], vcc
	s_xor_b64 s[34:35], exec, s[62:63]
	s_cbranch_execz .LBB6_28188
; %bb.28187:                            ;   in Loop: Header=BB6_28138 Depth=3
	v_ffbh_u32_e32 v13, v6
	v_and_b32_e32 v9, 0xff, v8
	v_min_u32_e32 v13, 32, v13
	v_bfe_u32 v11, v9, 2, 5
	v_mov_b32_e32 v9, v33
	v_subrev_u32_e32 v14, 29, v13
	v_and_b32_sdwa v12, sext(v8), s87 dst_sel:DWORD dst_unused:UNUSED_PAD src0_sel:WORD_0 src1_sel:DWORD
	v_lshlrev_b64 v[8:9], v14, v[8:9]
	v_sub_u32_e32 v9, 30, v13
	v_cmp_eq_u32_e32 vcc, 0, v11
	v_and_b32_e32 v8, 3, v8
	v_cndmask_b32_e32 v9, v11, v9, vcc
	v_cndmask_b32_e32 v6, v6, v8, vcc
	v_lshl_add_u32 v8, v9, 23, v12
	v_lshl_or_b32 v6, v6, 21, v8
	v_add_u32_e32 v9, 0x38000000, v6
                                        ; implicit-def: $vgpr8
                                        ; implicit-def: $vgpr6
.LBB6_28188:                            ;   in Loop: Header=BB6_28138 Depth=3
	s_andn2_saveexec_b64 s[34:35], s[34:35]
; %bb.28189:                            ;   in Loop: Header=BB6_28138 Depth=3
	v_cmp_lt_i16_e32 vcc, -1, v8
	v_mov_b32_e32 v8, 0xff800000
	v_mov_b32_e32 v9, 0x7f800000
	v_cndmask_b32_e32 v8, v8, v9, vcc
	v_cmp_eq_u32_e32 vcc, 0, v6
	v_mov_b32_e32 v6, 0x7f800001
	v_cndmask_b32_e32 v9, v6, v8, vcc
; %bb.28190:                            ;   in Loop: Header=BB6_28138 Depth=3
	s_or_b64 exec, exec, s[34:35]
.LBB6_28191:                            ;   in Loop: Header=BB6_28138 Depth=3
	s_or_b64 exec, exec, s[30:31]
.LBB6_28192:                            ;   in Loop: Header=BB6_28138 Depth=3
	s_or_b64 exec, exec, s[28:29]
	v_add_f32_e32 v11, v7, v9
	v_and_b32_e32 v7, 0x7f800000, v11
	v_mov_b32_e32 v8, v33
	v_cmp_ne_u64_e32 vcc, s[76:77], v[7:8]
	v_and_b32_e32 v6, 0x7fffff, v11
	v_mov_b32_e32 v7, v33
                                        ; implicit-def: $vgpr8
	s_and_saveexec_b64 s[28:29], vcc
	s_xor_b64 s[30:31], exec, s[28:29]
	s_cbranch_execz .LBB6_28210
; %bb.28193:                            ;   in Loop: Header=BB6_28138 Depth=3
	v_and_b32_e32 v8, 0x7fffffff, v11
	v_mov_b32_e32 v9, v33
	v_cmp_gt_u64_e32 vcc, s[78:79], v[8:9]
	v_and_b32_sdwa v9, v11, s97 dst_sel:DWORD dst_unused:UNUSED_PAD src0_sel:BYTE_3 src1_sel:DWORD
                                        ; implicit-def: $vgpr8
	s_and_saveexec_b64 s[28:29], vcc
	s_xor_b64 s[34:35], exec, s[28:29]
	s_cbranch_execz .LBB6_28207
; %bb.28194:                            ;   in Loop: Header=BB6_28138 Depth=3
	v_cmp_ne_u32_e32 vcc, 0, v11
	v_mov_b32_e32 v8, 0
	s_and_saveexec_b64 s[36:37], vcc
	s_cbranch_execz .LBB6_28206
; %bb.28195:                            ;   in Loop: Header=BB6_28138 Depth=3
	v_bfe_u32 v11, v11, 23, 8
	v_cmp_gt_u32_e64 s[28:29], s47, v11
	v_sub_u32_e32 v8, 0x71, v11
	v_cmp_eq_u32_e32 vcc, 0, v11
	v_cndmask_b32_e64 v8, 0, v8, s[28:29]
	v_mov_b32_e32 v12, 0x70
	v_cndmask_b32_e32 v12, v8, v12, vcc
	v_or_b32_e32 v13, 0x800000, v6
	v_add_u32_e32 v8, 21, v12
	v_cndmask_b32_e32 v6, v13, v6, vcc
	v_lshlrev_b64 v[13:14], v8, -1
	v_add_u32_e32 v8, 20, v12
	v_bfi_b32 v13, v13, 0, v6
	v_lshlrev_b64 v[15:16], v8, 1
	v_lshrrev_b64 v[6:7], v12, v[6:7]
	v_bfi_b32 v14, v14, 0, 0
	v_cmp_eq_u64_e64 s[28:29], v[13:14], v[15:16]
	v_mov_b32_e32 v8, v7
	v_mov_b32_e32 v7, v6
	s_and_saveexec_b64 s[38:39], s[28:29]
; %bb.28196:                            ;   in Loop: Header=BB6_28138 Depth=3
	v_bfe_u32 v7, v6, 21, 1
	v_add_co_u32_e64 v7, s[28:29], v6, v7
	v_add_co_u32_e64 v7, s[28:29], -1, v7
; %bb.28197:                            ;   in Loop: Header=BB6_28138 Depth=3
	s_or_b64 exec, exec, s[38:39]
	v_add_u32_e32 v8, 0xffffff81, v11
	v_mov_b32_e32 v11, 0xffffff82
	v_cndmask_b32_e32 v8, v8, v11, vcc
	v_lshrrev_b32_e32 v11, 23, v6
	v_add3_u32 v12, v12, v8, v11
	v_add_u32_e32 v8, 14, v12
	v_and_b32_e32 v7, 0x1fffff, v7
	v_add_u32_e32 v6, v7, v6
	v_mov_b32_e32 v7, v33
	v_cmp_ne_u32_e32 vcc, 0, v8
                                        ; implicit-def: $vgpr11
	s_and_saveexec_b64 s[28:29], vcc
	s_xor_b64 s[28:29], exec, s[28:29]
; %bb.28198:                            ;   in Loop: Header=BB6_28138 Depth=3
	v_cmp_lt_u64_e32 vcc, s[88:89], v[6:7]
	v_add_u32_e32 v11, 15, v12
	v_cndmask_b32_e32 v11, v8, v11, vcc
	v_cndmask_b32_e64 v8, 0, 1, vcc
	v_lshrrev_b64 v[6:7], v8, v[6:7]
; %bb.28199:                            ;   in Loop: Header=BB6_28138 Depth=3
	s_andn2_saveexec_b64 s[28:29], s[28:29]
; %bb.28200:                            ;   in Loop: Header=BB6_28138 Depth=3
	v_bfe_u32 v11, v6, 23, 1
; %bb.28201:                            ;   in Loop: Header=BB6_28138 Depth=3
	s_or_b64 exec, exec, s[28:29]
	v_lshrrev_b64 v[6:7], 21, v[6:7]
	v_cmp_gt_i32_e32 vcc, 32, v11
	v_cndmask_b32_e32 v7, 0, v7, vcc
	v_cndmask_b32_e32 v6, 3, v6, vcc
	v_cmp_ne_u64_e32 vcc, 0, v[6:7]
	v_cmp_ne_u32_e64 s[28:29], 0, v11
	s_or_b64 s[28:29], s[28:29], vcc
                                        ; implicit-def: $vgpr8
	s_and_saveexec_b64 s[62:63], s[28:29]
	s_xor_b64 s[28:29], exec, s[62:63]
; %bb.28202:                            ;   in Loop: Header=BB6_28138 Depth=3
	v_min_i32_e32 v7, 31, v11
	v_lshl_or_b32 v7, v7, 2, v9
	v_and_or_b32 v8, v6, 3, v7
                                        ; implicit-def: $vgpr9
; %bb.28203:                            ;   in Loop: Header=BB6_28138 Depth=3
	s_andn2_saveexec_b64 s[28:29], s[28:29]
; %bb.28204:                            ;   in Loop: Header=BB6_28138 Depth=3
	v_mov_b32_e32 v8, v9
; %bb.28205:                            ;   in Loop: Header=BB6_28138 Depth=3
	s_or_b64 exec, exec, s[28:29]
.LBB6_28206:                            ;   in Loop: Header=BB6_28138 Depth=3
	s_or_b64 exec, exec, s[36:37]
                                        ; implicit-def: $vgpr9
.LBB6_28207:                            ;   in Loop: Header=BB6_28138 Depth=3
	s_andn2_saveexec_b64 s[28:29], s[34:35]
; %bb.28208:                            ;   in Loop: Header=BB6_28138 Depth=3
	v_or_b32_e32 v8, 0x7b, v9
; %bb.28209:                            ;   in Loop: Header=BB6_28138 Depth=3
	s_or_b64 exec, exec, s[28:29]
                                        ; implicit-def: $vgpr11
                                        ; implicit-def: $vgpr6_vgpr7
.LBB6_28210:                            ;   in Loop: Header=BB6_28138 Depth=3
	s_andn2_saveexec_b64 s[28:29], s[30:31]
	s_cbranch_execz .LBB6_28137
; %bb.28211:                            ;   in Loop: Header=BB6_28138 Depth=3
	v_cmp_ne_u64_e32 vcc, 0, v[6:7]
                                        ; implicit-def: $vgpr8
	s_and_saveexec_b64 s[62:63], vcc
	s_xor_b64 vcc, exec, s[62:63]
; %bb.28212:                            ;   in Loop: Header=BB6_28138 Depth=3
	v_or_b32_sdwa v8, v11, s44 dst_sel:DWORD dst_unused:UNUSED_PAD src0_sel:BYTE_3 src1_sel:DWORD
                                        ; implicit-def: $vgpr11
; %bb.28213:                            ;   in Loop: Header=BB6_28138 Depth=3
	s_andn2_saveexec_b64 s[30:31], vcc
	s_cbranch_execz .LBB6_28136
; %bb.28214:                            ;   in Loop: Header=BB6_28138 Depth=3
	v_cmp_lt_i32_e32 vcc, -1, v11
	v_mov_b32_e32 v6, 0x7c
	v_cndmask_b32_e32 v8, -4, v6, vcc
	s_branch .LBB6_28136
.LBB6_28215:                            ;   in Loop: Header=BB6_13101 Depth=2
	s_or_b64 exec, exec, s[40:41]
	buffer_load_dword v9, off, s[0:3], s33 offset:560 ; 4-byte Folded Reload
	buffer_load_dword v10, off, s[0:3], s33 offset:532 ; 4-byte Folded Reload
	;; [unrolled: 1-line block ×4, first 2 shown]
.LBB6_28216:                            ;   in Loop: Header=BB6_13101 Depth=2
	buffer_load_dword v0, off, s[0:3], s33 offset:452 ; 4-byte Folded Reload
	s_waitcnt vmcnt(0)
	v_cmp_lt_i32_e64 s[28:29], 0, v0
	s_and_saveexec_b64 s[40:41], s[12:13]
	s_cbranch_execnz .LBB6_28217
; %bb.28931:                            ;   in Loop: Header=BB6_13101 Depth=2
	s_getpc_b64 s[98:99]
.Lpost_getpc74:
	s_add_u32 s98, s98, (.LBB6_13177-.Lpost_getpc74)&4294967295
	s_addc_u32 s99, s99, (.LBB6_13177-.Lpost_getpc74)>>32
	s_setpc_b64 s[98:99]
.LBB6_28217:                            ;   in Loop: Header=BB6_13101 Depth=2
	s_and_saveexec_b64 s[42:43], s[58:59]
	s_xor_b64 s[42:43], exec, s[42:43]
	s_cbranch_execz .LBB6_28232
; %bb.28218:                            ;   in Loop: Header=BB6_13101 Depth=2
	s_and_saveexec_b64 s[30:31], s[6:7]
	s_cbranch_execz .LBB6_28231
; %bb.28219:                            ;   in Loop: Header=BB6_13101 Depth=2
	s_mov_b64 s[36:37], exec
	v_mbcnt_lo_u32_b32 v0, s36, 0
	v_mbcnt_hi_u32_b32 v0, s37, v0
	v_cmp_eq_u32_e32 vcc, 0, v0
	s_waitcnt vmcnt(0) lgkmcnt(0)
	buffer_wbinvl1_vol
	s_and_saveexec_b64 s[34:35], vcc
	s_cbranch_execz .LBB6_28221
; %bb.28220:                            ;   in Loop: Header=BB6_13101 Depth=2
	s_bcnt1_i32_b64 s62, s[36:37]
	v_mov_b32_e32 v0, s62
	v_mov_b32_e32 v1, v33
	ds_add_u64 v0, v[0:1]
	s_trap 2
.LBB6_28221:                            ;   in Loop: Header=BB6_13101 Depth=2
	s_or_b64 exec, exec, s[34:35]
	s_trap 2
	ds_read_b64 v[0:1], v0
	s_waitcnt lgkmcnt(0)
	buffer_load_dword v2, off, s[0:3], s33 offset:76 ; 4-byte Folded Reload
	buffer_load_dword v3, off, s[0:3], s33 offset:80 ; 4-byte Folded Reload
	;; [unrolled: 1-line block ×3, first 2 shown]
	s_waitcnt vmcnt(0)
	v_add_co_u32_e32 v2, vcc, v2, v4
	v_addc_co_u32_e32 v3, vcc, 0, v3, vcc
	buffer_store_dword v2, off, s[0:3], s33 offset:76 ; 4-byte Folded Spill
	s_nop 0
	buffer_store_dword v3, off, s[0:3], s33 offset:80 ; 4-byte Folded Spill
	v_cmp_lt_u64_e32 vcc, v[0:1], v[2:3]
	s_and_saveexec_b64 s[34:35], vcc
	s_cbranch_execz .LBB6_28230
; %bb.28222:                            ;   in Loop: Header=BB6_13101 Depth=2
	s_mov_b32 s62, 0
	s_mov_b64 s[36:37], 0
                                        ; implicit-def: $sgpr38_sgpr39
                                        ; implicit-def: $sgpr48_sgpr49
	s_branch .LBB6_28224
.LBB6_28223:                            ;   in Loop: Header=BB6_28224 Depth=3
	s_or_b64 exec, exec, s[52:53]
	s_and_b64 vcc, exec, vcc
	s_or_b64 s[36:37], vcc, s[36:37]
	s_andn2_b64 vcc, s[38:39], exec
	s_and_b64 s[38:39], s[48:49], exec
	s_or_b64 s[38:39], vcc, s[38:39]
	s_andn2_b64 exec, exec, s[36:37]
	s_cbranch_execz .LBB6_28228
.LBB6_28224:                            ;   Parent Loop BB6_47 Depth=1
                                        ;     Parent Loop BB6_13101 Depth=2
                                        ; =>    This Inner Loop Header: Depth=3
	s_add_i32 s62, s62, 1
	s_cmpk_lg_i32 s62, 0x2710
	s_cselect_b64 s[50:51], -1, 0
	s_and_b64 vcc, exec, s[50:51]
	s_cbranch_vccz .LBB6_28226
; %bb.28225:                            ;   in Loop: Header=BB6_28224 Depth=3
	s_mov_b64 vcc, -1
	s_or_b64 s[48:49], s[48:49], exec
	s_and_saveexec_b64 s[52:53], s[50:51]
	s_cbranch_execz .LBB6_28223
	s_branch .LBB6_28227
.LBB6_28226:                            ;   in Loop: Header=BB6_28224 Depth=3
	s_trap 2
	ds_read_b64 v[0:1], v0
	s_andn2_b64 s[50:51], s[50:51], exec
	s_mov_b32 s62, 0
	s_waitcnt vmcnt(0) lgkmcnt(0)
	flat_load_dword v0, v[0:1] glc
	s_waitcnt vmcnt(0) lgkmcnt(0)
	buffer_wbinvl1_vol
	v_cmp_eq_u32_e32 vcc, 0, v0
	s_and_b64 vcc, vcc, exec
	s_or_b64 s[50:51], s[50:51], vcc
	s_mov_b64 vcc, -1
	s_or_b64 s[48:49], s[48:49], exec
	s_and_saveexec_b64 s[52:53], s[50:51]
	s_cbranch_execz .LBB6_28223
.LBB6_28227:                            ;   in Loop: Header=BB6_28224 Depth=3
	s_sleep 1
	s_trap 2
	ds_read_b64 v[0:1], v0
	s_waitcnt lgkmcnt(0)
	buffer_load_dword v2, off, s[0:3], s33 offset:76 ; 4-byte Folded Reload
	buffer_load_dword v3, off, s[0:3], s33 offset:80 ; 4-byte Folded Reload
	s_andn2_b64 s[48:49], s[48:49], exec
	s_waitcnt vmcnt(0)
	v_cmp_ge_u64_e32 vcc, v[0:1], v[2:3]
	s_orn2_b64 vcc, vcc, exec
	s_branch .LBB6_28223
.LBB6_28228:                            ;   in Loop: Header=BB6_13101 Depth=2
	s_or_b64 exec, exec, s[36:37]
	s_and_saveexec_b64 s[62:63], s[38:39]
	s_xor_b64 s[62:63], exec, s[62:63]
	s_cbranch_execz .LBB6_28230
; %bb.28229:                            ;   in Loop: Header=BB6_13101 Depth=2
	v_mov_b32_e32 v0, 1
	ds_write_b32 v0, v0
	s_trap 2
.LBB6_28230:                            ;   in Loop: Header=BB6_13101 Depth=2
	s_or_b64 exec, exec, s[34:35]
	;;#ASMSTART
	s_wakeup
	;;#ASMEND
.LBB6_28231:                            ;   in Loop: Header=BB6_13101 Depth=2
	s_or_b64 exec, exec, s[30:31]
.LBB6_28232:                            ;   in Loop: Header=BB6_13101 Depth=2
	s_andn2_saveexec_b64 s[42:43], s[42:43]
	s_cbranch_execz .LBB6_28234
; %bb.28233:                            ;   in Loop: Header=BB6_13101 Depth=2
	s_waitcnt vmcnt(0) lgkmcnt(0)
	buffer_wbinvl1_vol
	s_barrier
.LBB6_28234:                            ;   in Loop: Header=BB6_13101 Depth=2
	s_or_b64 exec, exec, s[42:43]
	s_or_b64 exec, exec, s[40:41]
                                        ; implicit-def: $vgpr0
	s_and_saveexec_b64 s[40:41], s[18:19]
	s_xor_b64 s[40:41], exec, s[40:41]
	s_cbranch_execz .LBB6_28235
; %bb.28933:                            ;   in Loop: Header=BB6_13101 Depth=2
	s_getpc_b64 s[98:99]
.Lpost_getpc75:
	s_add_u32 s98, s98, (.LBB6_13178-.Lpost_getpc75)&4294967295
	s_addc_u32 s99, s99, (.LBB6_13178-.Lpost_getpc75)>>32
	s_setpc_b64 s[98:99]
.LBB6_28235:                            ;   in Loop: Header=BB6_13101 Depth=2
	s_andn2_saveexec_b64 s[28:29], s[40:41]
	s_cbranch_execz .LBB6_28254
.LBB6_28236:                            ;   in Loop: Header=BB6_13101 Depth=2
	s_and_saveexec_b64 s[40:41], s[58:59]
	s_xor_b64 s[40:41], exec, s[40:41]
	s_cbranch_execz .LBB6_28251
; %bb.28237:                            ;   in Loop: Header=BB6_13101 Depth=2
	s_and_saveexec_b64 s[42:43], s[6:7]
	s_cbranch_execz .LBB6_28250
; %bb.28238:                            ;   in Loop: Header=BB6_13101 Depth=2
	s_mov_b64 s[34:35], exec
	v_mbcnt_lo_u32_b32 v0, s34, 0
	v_mbcnt_hi_u32_b32 v0, s35, v0
	v_cmp_eq_u32_e32 vcc, 0, v0
	;;#ASMSTART
	s_waitcnt lgkmcnt(0) vmcnt(0)
	;;#ASMEND
	s_and_saveexec_b64 s[30:31], vcc
	s_cbranch_execz .LBB6_28240
; %bb.28239:                            ;   in Loop: Header=BB6_13101 Depth=2
	s_bcnt1_i32_b64 s62, s[34:35]
	v_mov_b32_e32 v0, s62
	v_mov_b32_e32 v1, v33
	s_waitcnt lgkmcnt(0)
	ds_add_u64 v0, v[0:1]
	s_trap 2
.LBB6_28240:                            ;   in Loop: Header=BB6_13101 Depth=2
	s_or_b64 exec, exec, s[30:31]
	s_trap 2
	ds_read_b64 v[0:1], v0
	s_waitcnt lgkmcnt(0)
	buffer_load_dword v2, off, s[0:3], s33 offset:76 ; 4-byte Folded Reload
	buffer_load_dword v3, off, s[0:3], s33 offset:80 ; 4-byte Folded Reload
	;; [unrolled: 1-line block ×3, first 2 shown]
	s_waitcnt vmcnt(0)
	v_add_co_u32_e32 v2, vcc, v2, v4
	v_addc_co_u32_e32 v3, vcc, 0, v3, vcc
	buffer_store_dword v2, off, s[0:3], s33 offset:76 ; 4-byte Folded Spill
	s_nop 0
	buffer_store_dword v3, off, s[0:3], s33 offset:80 ; 4-byte Folded Spill
	v_cmp_lt_u64_e32 vcc, v[0:1], v[2:3]
	s_and_saveexec_b64 s[30:31], vcc
	s_cbranch_execz .LBB6_28249
; %bb.28241:                            ;   in Loop: Header=BB6_13101 Depth=2
	s_mov_b32 s62, 0
	s_mov_b64 s[34:35], 0
                                        ; implicit-def: $sgpr36_sgpr37
                                        ; implicit-def: $sgpr38_sgpr39
	s_branch .LBB6_28243
.LBB6_28242:                            ;   in Loop: Header=BB6_28243 Depth=3
	s_or_b64 exec, exec, s[50:51]
	s_and_b64 vcc, exec, vcc
	s_or_b64 s[34:35], vcc, s[34:35]
	s_andn2_b64 vcc, s[36:37], exec
	s_and_b64 s[36:37], s[38:39], exec
	s_or_b64 s[36:37], vcc, s[36:37]
	s_andn2_b64 exec, exec, s[34:35]
	s_cbranch_execz .LBB6_28247
.LBB6_28243:                            ;   Parent Loop BB6_47 Depth=1
                                        ;     Parent Loop BB6_13101 Depth=2
                                        ; =>    This Inner Loop Header: Depth=3
	s_add_i32 s62, s62, 1
	s_cmpk_lg_i32 s62, 0x2710
	s_cselect_b64 s[48:49], -1, 0
	s_and_b64 vcc, exec, s[48:49]
	s_cbranch_vccz .LBB6_28245
; %bb.28244:                            ;   in Loop: Header=BB6_28243 Depth=3
	s_mov_b64 vcc, -1
	s_or_b64 s[38:39], s[38:39], exec
	s_and_saveexec_b64 s[50:51], s[48:49]
	s_cbranch_execz .LBB6_28242
	s_branch .LBB6_28246
.LBB6_28245:                            ;   in Loop: Header=BB6_28243 Depth=3
	s_trap 2
	ds_read_b64 v[0:1], v0
	s_andn2_b64 s[48:49], s[48:49], exec
	s_mov_b32 s62, 0
	s_waitcnt vmcnt(0) lgkmcnt(0)
	flat_load_dword v0, v[0:1] glc
	s_waitcnt vmcnt(0) lgkmcnt(0)
	buffer_wbinvl1_vol
	v_cmp_eq_u32_e32 vcc, 0, v0
	s_and_b64 vcc, vcc, exec
	s_or_b64 s[48:49], s[48:49], vcc
	s_mov_b64 vcc, -1
	s_or_b64 s[38:39], s[38:39], exec
	s_and_saveexec_b64 s[50:51], s[48:49]
	s_cbranch_execz .LBB6_28242
.LBB6_28246:                            ;   in Loop: Header=BB6_28243 Depth=3
	s_sleep 1
	s_trap 2
	ds_read_b64 v[0:1], v0
	s_waitcnt lgkmcnt(0)
	buffer_load_dword v2, off, s[0:3], s33 offset:76 ; 4-byte Folded Reload
	buffer_load_dword v3, off, s[0:3], s33 offset:80 ; 4-byte Folded Reload
	s_andn2_b64 s[38:39], s[38:39], exec
	s_waitcnt vmcnt(0)
	v_cmp_ge_u64_e32 vcc, v[0:1], v[2:3]
	s_orn2_b64 vcc, vcc, exec
	s_branch .LBB6_28242
.LBB6_28247:                            ;   in Loop: Header=BB6_13101 Depth=2
	s_or_b64 exec, exec, s[34:35]
	s_and_saveexec_b64 s[62:63], s[36:37]
	s_xor_b64 s[62:63], exec, s[62:63]
	s_cbranch_execz .LBB6_28249
; %bb.28248:                            ;   in Loop: Header=BB6_13101 Depth=2
	v_mov_b32_e32 v0, 1
	ds_write_b32 v0, v0
	s_trap 2
.LBB6_28249:                            ;   in Loop: Header=BB6_13101 Depth=2
	s_or_b64 exec, exec, s[30:31]
	;;#ASMSTART
	s_wakeup
	;;#ASMEND
.LBB6_28250:                            ;   in Loop: Header=BB6_13101 Depth=2
	s_or_b64 exec, exec, s[42:43]
.LBB6_28251:                            ;   in Loop: Header=BB6_13101 Depth=2
	s_andn2_saveexec_b64 s[40:41], s[40:41]
	s_cbranch_execz .LBB6_28253
; %bb.28252:                            ;   in Loop: Header=BB6_13101 Depth=2
	;;#ASMSTART
	s_waitcnt lgkmcnt(0) vmcnt(0)
	;;#ASMEND
	s_waitcnt vmcnt(0) lgkmcnt(0)
	s_barrier
.LBB6_28253:                            ;   in Loop: Header=BB6_13101 Depth=2
	s_or_b64 exec, exec, s[40:41]
	buffer_load_dword v0, off, s[0:3], s33 offset:72 ; 4-byte Folded Reload
	s_waitcnt vmcnt(0)
	v_and_b32_e32 v0, 16, v0
.LBB6_28254:                            ;   in Loop: Header=BB6_13101 Depth=2
	s_or_b64 exec, exec, s[28:29]
	v_cmp_ne_u32_e32 vcc, 0, v0
	s_xor_b64 s[28:29], s[20:21], -1
	s_and_b64 s[40:41], vcc, s[28:29]
	s_and_saveexec_b64 s[28:29], s[40:41]
	s_cbranch_execz .LBB6_28256
; %bb.28255:                            ;   in Loop: Header=BB6_13101 Depth=2
	buffer_load_dword v0, off, s[0:3], s33 offset:436 ; 4-byte Folded Reload
	buffer_load_dword v1, off, s[0:3], s33 offset:440 ; 4-byte Folded Reload
	v_mov_b32_e32 v2, 1
	s_waitcnt vmcnt(0)
	flat_store_dword v[0:1], v2
.LBB6_28256:                            ;   in Loop: Header=BB6_13101 Depth=2
	s_or_b64 exec, exec, s[28:29]
	buffer_load_dword v0, off, s[0:3], s33 offset:72 ; 4-byte Folded Reload
	s_waitcnt vmcnt(0)
	v_and_b32_e32 v0, 48, v0
	v_cmp_ne_u32_e32 vcc, 0, v0
	s_and_saveexec_b64 s[28:29], vcc
	s_cbranch_execnz .LBB6_28257
; %bb.28935:                            ;   in Loop: Header=BB6_13101 Depth=2
	s_getpc_b64 s[98:99]
.Lpost_getpc76:
	s_add_u32 s98, s98, (.LBB6_13100-.Lpost_getpc76)&4294967295
	s_addc_u32 s99, s99, (.LBB6_13100-.Lpost_getpc76)>>32
	s_setpc_b64 s[98:99]
.LBB6_28257:                            ;   in Loop: Header=BB6_13101 Depth=2
	buffer_load_dword v2, off, s[0:3], s33 offset:276 ; 4-byte Folded Reload
	buffer_load_dword v3, off, s[0:3], s33 offset:280 ; 4-byte Folded Reload
	;; [unrolled: 1-line block ×4, first 2 shown]
	s_waitcnt vmcnt(0)
	v_add_co_u32_e32 v2, vcc, 2, v2
	v_addc_co_u32_e32 v3, vcc, 0, v3, vcc
	buffer_store_dword v2, off, s[0:3], s33 offset:276 ; 4-byte Folded Spill
	s_nop 0
	buffer_store_dword v3, off, s[0:3], s33 offset:280 ; 4-byte Folded Spill
	flat_store_dwordx2 v[0:1], v[2:3]
; %bb.28861:                            ;   in Loop: Header=BB6_13101 Depth=2
	s_getpc_b64 s[98:99]
.Lpost_getpc39:
	s_add_u32 s98, s98, (.LBB6_13100-.Lpost_getpc39)&4294967295
	s_addc_u32 s99, s99, (.LBB6_13100-.Lpost_getpc39)>>32
	s_setpc_b64 s[98:99]
.LBB6_28258:                            ;   in Loop: Header=BB6_47 Depth=1
	s_or_b64 exec, exec, s[90:91]
	v_cmp_gt_i32_e32 vcc, 2, v2
	s_and_saveexec_b64 s[40:41], vcc
	s_cbranch_execz .LBB6_28334
.LBB6_28259:                            ;   in Loop: Header=BB6_47 Depth=1
	v_cmp_eq_u32_e64 s[90:91], 0, v2
	s_mov_b64 s[42:43], 0
	s_branch .LBB6_28261
.LBB6_28260:                            ;   in Loop: Header=BB6_28261 Depth=2
	s_or_b64 exec, exec, s[28:29]
	v_add_u32_e32 v12, v10, v12
	s_mov_b64 s[90:91], 0
	s_andn2_b64 exec, exec, s[42:43]
	s_cbranch_execz .LBB6_28335
.LBB6_28261:                            ;   Parent Loop BB6_47 Depth=1
                                        ; =>  This Loop Header: Depth=2
                                        ;       Child Loop BB6_28267 Depth 3
                                        ;       Child Loop BB6_28295 Depth 3
	;; [unrolled: 1-line block ×3, first 2 shown]
	v_sub_u32_e32 v0, v9, v12
	v_min_i32_e32 v10, v10, v0
	buffer_load_dword v0, off, s[0:3], s33 offset:72 ; 4-byte Folded Reload
	s_waitcnt vmcnt(0)
	v_and_b32_e32 v0, 12, v0
	v_cmp_ne_u32_e32 vcc, 0, v0
	s_and_saveexec_b64 s[92:93], vcc
	s_cbranch_execz .LBB6_28287
; %bb.28262:                            ;   in Loop: Header=BB6_28261 Depth=2
	buffer_load_dword v0, off, s[0:3], s33 offset:72 ; 4-byte Folded Reload
	s_waitcnt vmcnt(0)
	v_and_b32_e32 v8, 8, v0
	buffer_load_dword v0, off, s[0:3], s33 offset:56 ; 4-byte Folded Reload
	buffer_load_dword v1, off, s[0:3], s33 offset:60 ; 4-byte Folded Reload
	s_waitcnt vmcnt(0)
	v_add_co_u32_e32 v2, vcc, v0, v8
	v_addc_co_u32_e32 v3, vcc, 0, v1, vcc
	buffer_load_dword v0, off, s[0:3], s33 offset:276 ; 4-byte Folded Reload
	buffer_load_dword v1, off, s[0:3], s33 offset:280 ; 4-byte Folded Reload
	s_waitcnt vmcnt(0)
	v_add_co_u32_e32 v0, vcc, 2, v0
	v_addc_co_u32_e32 v1, vcc, 0, v1, vcc
	v_cmp_lt_u64_e32 vcc, v[2:3], v[0:1]
	s_and_saveexec_b64 s[94:95], vcc
	s_cbranch_execz .LBB6_28274
; %bb.28263:                            ;   in Loop: Header=BB6_28261 Depth=2
	buffer_load_dword v2, off, s[0:3], s33 offset:72 ; 4-byte Folded Reload
	s_mov_b32 s80, 0
	s_mov_b64 s[30:31], 0
                                        ; implicit-def: $sgpr34_sgpr35
                                        ; implicit-def: $sgpr36_sgpr37
                                        ; implicit-def: $sgpr38_sgpr39
	s_waitcnt vmcnt(0)
	v_and_b32_e32 v2, 64, v2
	v_cmp_eq_u32_e32 vcc, 0, v2
	s_branch .LBB6_28267
.LBB6_28264:                            ;   in Loop: Header=BB6_28267 Depth=3
	buffer_load_dword v3, off, s[0:3], s33 offset:56 ; 4-byte Folded Reload
	buffer_load_dword v4, off, s[0:3], s33 offset:60 ; 4-byte Folded Reload
	s_or_b64 s[52:53], s[52:53], exec
	s_waitcnt vmcnt(1)
	v_add_co_u32_e64 v3, s[28:29], v3, v8
	s_waitcnt vmcnt(0)
	v_addc_co_u32_e64 v4, s[28:29], 0, v4, s[28:29]
	v_cmp_ge_u64_e64 s[28:29], v[3:4], v[0:1]
	s_orn2_b64 s[50:51], s[28:29], exec
.LBB6_28265:                            ;   in Loop: Header=BB6_28267 Depth=3
	s_or_b64 exec, exec, s[64:65]
	s_andn2_b64 s[28:29], s[38:39], exec
	s_and_b64 s[62:63], s[52:53], exec
	s_or_b64 s[38:39], s[28:29], s[62:63]
	s_andn2_b64 s[28:29], s[36:37], exec
	s_and_b64 s[62:63], s[50:51], exec
	s_or_b64 s[36:37], s[28:29], s[62:63]
.LBB6_28266:                            ;   in Loop: Header=BB6_28267 Depth=3
	s_or_b64 exec, exec, s[48:49]
	s_and_b64 s[28:29], exec, s[36:37]
	s_or_b64 s[30:31], s[28:29], s[30:31]
	s_andn2_b64 s[28:29], s[34:35], exec
	s_and_b64 s[62:63], s[38:39], exec
	s_or_b64 s[34:35], s[28:29], s[62:63]
	s_andn2_b64 exec, exec, s[30:31]
	s_cbranch_execz .LBB6_28271
.LBB6_28267:                            ;   Parent Loop BB6_47 Depth=1
                                        ;     Parent Loop BB6_28261 Depth=2
                                        ; =>    This Inner Loop Header: Depth=3
	s_sleep 1
	buffer_load_dword v2, off, s[0:3], s33 offset:64 ; 4-byte Folded Reload
	buffer_load_dword v3, off, s[0:3], s33 offset:68 ; 4-byte Folded Reload
	s_or_b64 s[38:39], s[38:39], exec
	s_or_b64 s[36:37], s[36:37], exec
	s_waitcnt vmcnt(0)
	flat_load_dwordx2 v[2:3], v[2:3] glc
	s_waitcnt vmcnt(0) lgkmcnt(0)
	buffer_store_dword v2, off, s[0:3], s33 offset:56 ; 4-byte Folded Spill
	s_nop 0
	buffer_store_dword v3, off, s[0:3], s33 offset:60 ; 4-byte Folded Spill
                                        ; implicit-def: $vgpr2
	s_and_saveexec_b64 s[48:49], vcc
	s_cbranch_execz .LBB6_28266
; %bb.28268:                            ;   in Loop: Header=BB6_28267 Depth=3
	s_cmpk_lt_i32 s80, 0x270f
	s_cselect_b64 s[54:55], -1, 0
	s_cmpk_gt_i32 s80, 0x270e
	s_mov_b64 s[50:51], -1
	s_cbranch_scc0 .LBB6_28270
; %bb.28269:                            ;   in Loop: Header=BB6_28267 Depth=3
	s_trap 2
	ds_read_b64 v[2:3], v0
	s_andn2_b64 s[62:63], s[54:55], exec
	s_mov_b32 s80, 0
	s_mov_b64 s[52:53], 0
	s_waitcnt vmcnt(0) lgkmcnt(0)
	flat_load_dword v2, v[2:3] glc
	s_waitcnt vmcnt(0) lgkmcnt(0)
	buffer_wbinvl1_vol
	v_cmp_eq_u32_e64 s[28:29], 0, v2
	s_and_b64 s[28:29], s[28:29], exec
	s_or_b64 s[54:55], s[62:63], s[28:29]
	s_and_saveexec_b64 s[64:65], s[54:55]
	s_cbranch_execz .LBB6_28265
	s_branch .LBB6_28264
.LBB6_28270:                            ;   in Loop: Header=BB6_28267 Depth=3
	s_add_i32 s80, s80, 1
	s_mov_b64 s[52:53], -1
                                        ; implicit-def: $vgpr2
	s_and_saveexec_b64 s[64:65], s[54:55]
	s_cbranch_execz .LBB6_28265
	s_branch .LBB6_28264
.LBB6_28271:                            ;   in Loop: Header=BB6_28261 Depth=2
	s_or_b64 exec, exec, s[30:31]
	s_xor_b64 s[28:29], s[34:35], -1
	s_and_saveexec_b64 s[62:63], s[28:29]
	s_xor_b64 s[28:29], exec, s[62:63]
	s_cbranch_execz .LBB6_28273
; %bb.28272:                            ;   in Loop: Header=BB6_28261 Depth=2
	ds_write_b32 v0, v2
	s_trap 2
	buffer_load_dword v2, off, s[0:3], s33 offset:72 ; 4-byte Folded Reload
	s_waitcnt vmcnt(0)
	v_or_b32_e32 v2, 64, v2
	buffer_store_dword v2, off, s[0:3], s33 offset:72 ; 4-byte Folded Spill
.LBB6_28273:                            ;   in Loop: Header=BB6_28261 Depth=2
	s_or_b64 exec, exec, s[28:29]
.LBB6_28274:                            ;   in Loop: Header=BB6_28261 Depth=2
	s_or_b64 exec, exec, s[94:95]
	;;#ASMSTART
	s_wakeup
	;;#ASMEND
	buffer_load_dword v2, off, s[0:3], s33 offset:72 ; 4-byte Folded Reload
	s_waitcnt vmcnt(0)
	v_and_b32_e32 v2, 0x108, v2
	v_cmp_ne_u32_e32 vcc, s69, v2
                                        ; implicit-def: $vgpr2_vgpr3
	s_and_saveexec_b64 s[28:29], vcc
	s_xor_b64 s[28:29], exec, s[28:29]
	s_cbranch_execz .LBB6_28276
; %bb.28275:                            ;   in Loop: Header=BB6_28261 Depth=2
	buffer_load_dword v2, off, s[0:3], s33 offset:276 ; 4-byte Folded Reload
	buffer_load_dword v3, off, s[0:3], s33 offset:280 ; 4-byte Folded Reload
	s_waitcnt vmcnt(0)
	v_mov_b32_e32 v3, v33
                                        ; implicit-def: $vgpr4_vgpr5
                                        ; kill: killed $vgpr4_vgpr5
	v_and_b32_e32 v2, 7, v2
.LBB6_28276:                            ;   in Loop: Header=BB6_28261 Depth=2
	s_andn2_saveexec_b64 s[28:29], s[28:29]
	s_cbranch_execz .LBB6_28278
; %bb.28277:                            ;   in Loop: Header=BB6_28261 Depth=2
	buffer_load_dword v2, off, s[0:3], s33 offset:276 ; 4-byte Folded Reload
	buffer_load_dword v3, off, s[0:3], s33 offset:280 ; 4-byte Folded Reload
	;; [unrolled: 1-line block ×6, first 2 shown]
	v_ashrrev_i32_e32 v11, 31, v10
	s_waitcnt vmcnt(0)
	v_and_b32_e32 v2, 7, v2
	v_mad_u64_u32 v[4:5], s[62:63], v2, 24, v[3:4]
	v_mov_b32_e32 v3, v33
	flat_store_dwordx2 v[4:5], v[10:11] offset:8
.LBB6_28278:                            ;   in Loop: Header=BB6_28261 Depth=2
	s_or_b64 exec, exec, s[28:29]
	buffer_load_dword v4, off, s[0:3], s33 offset:72 ; 4-byte Folded Reload
	s_mov_b64 s[28:29], -1
	s_waitcnt vmcnt(0)
	v_and_b32_e32 v4, 0x100, v4
	v_cmp_ne_u32_e32 vcc, 0, v4
                                        ; implicit-def: $vgpr4_vgpr5
	s_and_saveexec_b64 s[94:95], vcc
	s_cbranch_execz .LBB6_28282
; %bb.28279:                            ;   in Loop: Header=BB6_28261 Depth=2
	buffer_load_dword v4, off, s[0:3], s33 offset:420 ; 4-byte Folded Reload
	buffer_load_dword v5, off, s[0:3], s33 offset:424 ; 4-byte Folded Reload
	;; [unrolled: 1-line block ×4, first 2 shown]
	s_waitcnt vmcnt(0)
	v_mad_u64_u32 v[6:7], s[28:29], v2, 24, v[4:5]
	v_mov_b32_e32 v4, v7
	v_mad_u64_u32 v[4:5], s[28:29], v3, 24, v[4:5]
	v_mov_b32_e32 v7, v4
	flat_load_dword v4, v[6:7]
	s_waitcnt vmcnt(0) lgkmcnt(0)
	v_cmp_ne_u32_e32 vcc, 1, v4
	v_cmp_eq_u32_e64 s[28:29], 1, v4
                                        ; implicit-def: $vgpr4_vgpr5
	s_and_saveexec_b64 s[30:31], s[28:29]
	s_cbranch_execz .LBB6_28281
; %bb.28280:                            ;   in Loop: Header=BB6_28261 Depth=2
	flat_load_dword v4, v[6:7] offset:4 glc
	s_waitcnt vmcnt(0) lgkmcnt(0)
	v_ashrrev_i32_e32 v5, 31, v4
.LBB6_28281:                            ;   in Loop: Header=BB6_28261 Depth=2
	s_or_b64 exec, exec, s[30:31]
	s_orn2_b64 s[28:29], vcc, exec
.LBB6_28282:                            ;   in Loop: Header=BB6_28261 Depth=2
	s_or_b64 exec, exec, s[94:95]
	s_and_saveexec_b64 s[94:95], s[28:29]
	s_cbranch_execz .LBB6_28284
; %bb.28283:                            ;   in Loop: Header=BB6_28261 Depth=2
	buffer_load_dword v4, off, s[0:3], s33 offset:456 ; 4-byte Folded Reload
	buffer_load_dword v5, off, s[0:3], s33 offset:476 ; 4-byte Folded Reload
	s_waitcnt vmcnt(0)
	v_mul_lo_u32 v3, v3, v4
	v_mul_lo_u32 v6, v2, v5
	v_mad_u64_u32 v[4:5], s[28:29], v2, v4, 0
	v_add3_u32 v5, v5, v6, v3
.LBB6_28284:                            ;   in Loop: Header=BB6_28261 Depth=2
	s_or_b64 exec, exec, s[94:95]
	v_cmp_eq_u32_e32 vcc, 0, v8
	v_mov_b32_e32 v2, 0x90
	v_mov_b32_e32 v3, 0xd0
	v_cndmask_b32_e32 v6, v3, v2, vcc
	buffer_load_dword v2, off, s[0:3], s33 offset:412 ; 4-byte Folded Reload
	buffer_load_dword v3, off, s[0:3], s33 offset:416 ; 4-byte Folded Reload
	s_waitcnt vmcnt(0)
	v_add_co_u32_e32 v2, vcc, v2, v4
	v_addc_co_u32_e32 v3, vcc, v3, v5, vcc
	v_add_u32_e32 v4, v0, v6
	ds_write_b64 v4, v[2:3] offset:584
	buffer_load_dword v2, off, s[0:3], s33 offset:72 ; 4-byte Folded Reload
	s_waitcnt vmcnt(0)
	v_and_b32_e32 v2, 0x2000, v2
	v_cmp_ne_u32_e32 vcc, 0, v2
	s_and_saveexec_b64 s[28:29], vcc
	s_cbranch_execz .LBB6_28286
; %bb.28285:                            ;   in Loop: Header=BB6_28261 Depth=2
	ds_read_b64 v[2:3], v0 offset:872
	s_waitcnt lgkmcnt(0)
	v_add_co_u32_e32 v2, vcc, 1, v2
	v_addc_co_u32_e32 v3, vcc, 0, v3, vcc
	ds_write_b64 v0, v[2:3] offset:872
.LBB6_28286:                            ;   in Loop: Header=BB6_28261 Depth=2
	s_or_b64 exec, exec, s[28:29]
	buffer_store_dword v0, off, s[0:3], s33 offset:276 ; 4-byte Folded Spill
	s_nop 0
	buffer_store_dword v1, off, s[0:3], s33 offset:280 ; 4-byte Folded Spill
.LBB6_28287:                            ;   in Loop: Header=BB6_28261 Depth=2
	s_or_b64 exec, exec, s[92:93]
	s_xor_b64 s[28:29], s[90:91], -1
	s_and_b64 s[28:29], exec, s[28:29]
	s_or_b64 s[42:43], s[28:29], s[42:43]
	s_and_saveexec_b64 s[28:29], s[12:13]
	s_cbranch_execz .LBB6_28306
; %bb.28288:                            ;   in Loop: Header=BB6_28261 Depth=2
	s_and_saveexec_b64 s[62:63], s[58:59]
	s_xor_b64 s[90:91], exec, s[62:63]
	s_cbranch_execz .LBB6_28303
; %bb.28289:                            ;   in Loop: Header=BB6_28261 Depth=2
	s_and_saveexec_b64 s[92:93], s[6:7]
	s_cbranch_execz .LBB6_28302
; %bb.28290:                            ;   in Loop: Header=BB6_28261 Depth=2
	s_mov_b64 s[30:31], exec
	v_mbcnt_lo_u32_b32 v0, s30, 0
	v_mbcnt_hi_u32_b32 v0, s31, v0
	v_cmp_eq_u32_e32 vcc, 0, v0
	s_waitcnt vmcnt(0) lgkmcnt(0)
	buffer_wbinvl1_vol
	s_and_saveexec_b64 s[94:95], vcc
	s_cbranch_execz .LBB6_28292
; %bb.28291:                            ;   in Loop: Header=BB6_28261 Depth=2
	s_bcnt1_i32_b64 s62, s[30:31]
	v_mov_b32_e32 v0, s62
	v_mov_b32_e32 v1, v33
	ds_add_u64 v0, v[0:1]
	s_trap 2
.LBB6_28292:                            ;   in Loop: Header=BB6_28261 Depth=2
	s_or_b64 exec, exec, s[94:95]
	s_trap 2
	ds_read_b64 v[0:1], v0
	s_waitcnt lgkmcnt(0)
	buffer_load_dword v2, off, s[0:3], s33 offset:76 ; 4-byte Folded Reload
	buffer_load_dword v3, off, s[0:3], s33 offset:80 ; 4-byte Folded Reload
	;; [unrolled: 1-line block ×3, first 2 shown]
	s_waitcnt vmcnt(0)
	v_add_co_u32_e32 v2, vcc, v2, v4
	v_addc_co_u32_e32 v3, vcc, 0, v3, vcc
	buffer_store_dword v2, off, s[0:3], s33 offset:76 ; 4-byte Folded Spill
	s_nop 0
	buffer_store_dword v3, off, s[0:3], s33 offset:80 ; 4-byte Folded Spill
	v_cmp_lt_u64_e32 vcc, v[0:1], v[2:3]
	s_and_saveexec_b64 s[94:95], vcc
	s_cbranch_execz .LBB6_28301
; %bb.28293:                            ;   in Loop: Header=BB6_28261 Depth=2
	s_mov_b32 s62, 0
	s_mov_b64 s[30:31], 0
                                        ; implicit-def: $sgpr34_sgpr35
                                        ; implicit-def: $sgpr36_sgpr37
	s_branch .LBB6_28295
.LBB6_28294:                            ;   in Loop: Header=BB6_28295 Depth=3
	s_or_b64 exec, exec, s[48:49]
	s_and_b64 vcc, exec, vcc
	s_or_b64 s[30:31], vcc, s[30:31]
	s_andn2_b64 vcc, s[34:35], exec
	s_and_b64 s[34:35], s[36:37], exec
	s_or_b64 s[34:35], vcc, s[34:35]
	s_andn2_b64 exec, exec, s[30:31]
	s_cbranch_execz .LBB6_28299
.LBB6_28295:                            ;   Parent Loop BB6_47 Depth=1
                                        ;     Parent Loop BB6_28261 Depth=2
                                        ; =>    This Inner Loop Header: Depth=3
	s_add_i32 s62, s62, 1
	s_cmpk_lg_i32 s62, 0x2710
	s_cselect_b64 s[38:39], -1, 0
	s_and_b64 vcc, exec, s[38:39]
	s_cbranch_vccz .LBB6_28297
; %bb.28296:                            ;   in Loop: Header=BB6_28295 Depth=3
	s_mov_b64 vcc, -1
	s_or_b64 s[36:37], s[36:37], exec
	s_and_saveexec_b64 s[48:49], s[38:39]
	s_cbranch_execz .LBB6_28294
	s_branch .LBB6_28298
.LBB6_28297:                            ;   in Loop: Header=BB6_28295 Depth=3
	s_trap 2
	ds_read_b64 v[0:1], v0
	s_andn2_b64 s[38:39], s[38:39], exec
	s_mov_b32 s62, 0
	s_waitcnt vmcnt(0) lgkmcnt(0)
	flat_load_dword v0, v[0:1] glc
	s_waitcnt vmcnt(0) lgkmcnt(0)
	buffer_wbinvl1_vol
	v_cmp_eq_u32_e32 vcc, 0, v0
	s_and_b64 vcc, vcc, exec
	s_or_b64 s[38:39], s[38:39], vcc
	s_mov_b64 vcc, -1
	s_or_b64 s[36:37], s[36:37], exec
	s_and_saveexec_b64 s[48:49], s[38:39]
	s_cbranch_execz .LBB6_28294
.LBB6_28298:                            ;   in Loop: Header=BB6_28295 Depth=3
	s_sleep 1
	s_trap 2
	ds_read_b64 v[0:1], v0
	s_waitcnt lgkmcnt(0)
	buffer_load_dword v2, off, s[0:3], s33 offset:76 ; 4-byte Folded Reload
	buffer_load_dword v3, off, s[0:3], s33 offset:80 ; 4-byte Folded Reload
	s_andn2_b64 s[36:37], s[36:37], exec
	s_waitcnt vmcnt(0)
	v_cmp_ge_u64_e32 vcc, v[0:1], v[2:3]
	s_orn2_b64 vcc, vcc, exec
	s_branch .LBB6_28294
.LBB6_28299:                            ;   in Loop: Header=BB6_28261 Depth=2
	s_or_b64 exec, exec, s[30:31]
	s_and_saveexec_b64 s[62:63], s[34:35]
	s_xor_b64 s[62:63], exec, s[62:63]
	s_cbranch_execz .LBB6_28301
; %bb.28300:                            ;   in Loop: Header=BB6_28261 Depth=2
	v_mov_b32_e32 v0, 1
	ds_write_b32 v0, v0
	s_trap 2
.LBB6_28301:                            ;   in Loop: Header=BB6_28261 Depth=2
	s_or_b64 exec, exec, s[94:95]
	;;#ASMSTART
	s_wakeup
	;;#ASMEND
.LBB6_28302:                            ;   in Loop: Header=BB6_28261 Depth=2
	s_or_b64 exec, exec, s[92:93]
.LBB6_28303:                            ;   in Loop: Header=BB6_28261 Depth=2
	s_andn2_saveexec_b64 s[90:91], s[90:91]
	s_cbranch_execz .LBB6_28305
; %bb.28304:                            ;   in Loop: Header=BB6_28261 Depth=2
	s_waitcnt vmcnt(0) lgkmcnt(0)
	buffer_wbinvl1_vol
	s_barrier
.LBB6_28305:                            ;   in Loop: Header=BB6_28261 Depth=2
	s_or_b64 exec, exec, s[90:91]
.LBB6_28306:                            ;   in Loop: Header=BB6_28261 Depth=2
	s_or_b64 exec, exec, s[28:29]
                                        ; implicit-def: $vgpr0
	s_and_saveexec_b64 s[28:29], s[18:19]
	s_xor_b64 s[28:29], exec, s[28:29]
	s_cbranch_execz .LBB6_28310
; %bb.28307:                            ;   in Loop: Header=BB6_28261 Depth=2
	s_trap 2
	buffer_load_dword v1, off, s[0:3], s33 offset:72 ; 4-byte Folded Reload
	ds_read_b32 v0, v0
	v_cmp_lt_i32_e32 vcc, 0, v10
	s_waitcnt lgkmcnt(0)
	v_readfirstlane_b32 s62, v0
	s_cmp_eq_u32 s62, 0
	s_cselect_b64 s[62:63], -1, 0
	s_and_b64 s[62:63], vcc, s[62:63]
	s_waitcnt vmcnt(0)
	v_and_b32_e32 v0, 16, v1
	v_and_b32_e32 v1, 16, v1
	v_cmp_ne_u32_e32 vcc, 0, v1
	s_and_b64 s[62:63], vcc, s[62:63]
	s_and_saveexec_b64 s[90:91], s[62:63]
	s_cbranch_execz .LBB6_28309
; %bb.28308:                            ;   in Loop: Header=BB6_28261 Depth=2
	v_mov_b32_e32 v0, 1
	buffer_wbinvl1_vol
.LBB6_28309:                            ;   in Loop: Header=BB6_28261 Depth=2
	s_or_b64 exec, exec, s[90:91]
	s_andn2_saveexec_b64 s[28:29], s[28:29]
	s_cbranch_execz .LBB6_28329
	s_branch .LBB6_28311
.LBB6_28310:                            ;   in Loop: Header=BB6_28261 Depth=2
	s_andn2_saveexec_b64 s[28:29], s[28:29]
	s_cbranch_execz .LBB6_28329
.LBB6_28311:                            ;   in Loop: Header=BB6_28261 Depth=2
	s_and_saveexec_b64 s[62:63], s[58:59]
	s_xor_b64 s[90:91], exec, s[62:63]
	s_cbranch_execz .LBB6_28326
; %bb.28312:                            ;   in Loop: Header=BB6_28261 Depth=2
	s_and_saveexec_b64 s[92:93], s[6:7]
	s_cbranch_execz .LBB6_28325
; %bb.28313:                            ;   in Loop: Header=BB6_28261 Depth=2
	s_mov_b64 s[30:31], exec
	v_mbcnt_lo_u32_b32 v0, s30, 0
	v_mbcnt_hi_u32_b32 v0, s31, v0
	v_cmp_eq_u32_e32 vcc, 0, v0
	;;#ASMSTART
	s_waitcnt lgkmcnt(0) vmcnt(0)
	;;#ASMEND
	s_and_saveexec_b64 s[94:95], vcc
	s_cbranch_execz .LBB6_28315
; %bb.28314:                            ;   in Loop: Header=BB6_28261 Depth=2
	s_bcnt1_i32_b64 s62, s[30:31]
	v_mov_b32_e32 v0, s62
	v_mov_b32_e32 v1, v33
	s_waitcnt lgkmcnt(0)
	ds_add_u64 v0, v[0:1]
	s_trap 2
.LBB6_28315:                            ;   in Loop: Header=BB6_28261 Depth=2
	s_or_b64 exec, exec, s[94:95]
	s_trap 2
	ds_read_b64 v[0:1], v0
	s_waitcnt lgkmcnt(0)
	buffer_load_dword v2, off, s[0:3], s33 offset:76 ; 4-byte Folded Reload
	buffer_load_dword v3, off, s[0:3], s33 offset:80 ; 4-byte Folded Reload
	;; [unrolled: 1-line block ×3, first 2 shown]
	s_waitcnt vmcnt(0)
	v_add_co_u32_e32 v2, vcc, v2, v4
	v_addc_co_u32_e32 v3, vcc, 0, v3, vcc
	buffer_store_dword v2, off, s[0:3], s33 offset:76 ; 4-byte Folded Spill
	s_nop 0
	buffer_store_dword v3, off, s[0:3], s33 offset:80 ; 4-byte Folded Spill
	v_cmp_lt_u64_e32 vcc, v[0:1], v[2:3]
	s_and_saveexec_b64 s[94:95], vcc
	s_cbranch_execz .LBB6_28324
; %bb.28316:                            ;   in Loop: Header=BB6_28261 Depth=2
	s_mov_b32 s62, 0
	s_mov_b64 s[30:31], 0
                                        ; implicit-def: $sgpr34_sgpr35
                                        ; implicit-def: $sgpr36_sgpr37
	s_branch .LBB6_28318
.LBB6_28317:                            ;   in Loop: Header=BB6_28318 Depth=3
	s_or_b64 exec, exec, s[48:49]
	s_and_b64 vcc, exec, vcc
	s_or_b64 s[30:31], vcc, s[30:31]
	s_andn2_b64 vcc, s[34:35], exec
	s_and_b64 s[34:35], s[36:37], exec
	s_or_b64 s[34:35], vcc, s[34:35]
	s_andn2_b64 exec, exec, s[30:31]
	s_cbranch_execz .LBB6_28322
.LBB6_28318:                            ;   Parent Loop BB6_47 Depth=1
                                        ;     Parent Loop BB6_28261 Depth=2
                                        ; =>    This Inner Loop Header: Depth=3
	s_add_i32 s62, s62, 1
	s_cmpk_lg_i32 s62, 0x2710
	s_cselect_b64 s[38:39], -1, 0
	s_and_b64 vcc, exec, s[38:39]
	s_cbranch_vccz .LBB6_28320
; %bb.28319:                            ;   in Loop: Header=BB6_28318 Depth=3
	s_mov_b64 vcc, -1
	s_or_b64 s[36:37], s[36:37], exec
	s_and_saveexec_b64 s[48:49], s[38:39]
	s_cbranch_execz .LBB6_28317
	s_branch .LBB6_28321
.LBB6_28320:                            ;   in Loop: Header=BB6_28318 Depth=3
	s_trap 2
	ds_read_b64 v[0:1], v0
	s_andn2_b64 s[38:39], s[38:39], exec
	s_mov_b32 s62, 0
	s_waitcnt vmcnt(0) lgkmcnt(0)
	flat_load_dword v0, v[0:1] glc
	s_waitcnt vmcnt(0) lgkmcnt(0)
	buffer_wbinvl1_vol
	v_cmp_eq_u32_e32 vcc, 0, v0
	s_and_b64 vcc, vcc, exec
	s_or_b64 s[38:39], s[38:39], vcc
	s_mov_b64 vcc, -1
	s_or_b64 s[36:37], s[36:37], exec
	s_and_saveexec_b64 s[48:49], s[38:39]
	s_cbranch_execz .LBB6_28317
.LBB6_28321:                            ;   in Loop: Header=BB6_28318 Depth=3
	s_sleep 1
	s_trap 2
	ds_read_b64 v[0:1], v0
	s_waitcnt lgkmcnt(0)
	buffer_load_dword v2, off, s[0:3], s33 offset:76 ; 4-byte Folded Reload
	buffer_load_dword v3, off, s[0:3], s33 offset:80 ; 4-byte Folded Reload
	s_andn2_b64 s[36:37], s[36:37], exec
	s_waitcnt vmcnt(0)
	v_cmp_ge_u64_e32 vcc, v[0:1], v[2:3]
	s_orn2_b64 vcc, vcc, exec
	s_branch .LBB6_28317
.LBB6_28322:                            ;   in Loop: Header=BB6_28261 Depth=2
	s_or_b64 exec, exec, s[30:31]
	s_and_saveexec_b64 s[62:63], s[34:35]
	s_xor_b64 s[62:63], exec, s[62:63]
	s_cbranch_execz .LBB6_28324
; %bb.28323:                            ;   in Loop: Header=BB6_28261 Depth=2
	v_mov_b32_e32 v0, 1
	ds_write_b32 v0, v0
	s_trap 2
.LBB6_28324:                            ;   in Loop: Header=BB6_28261 Depth=2
	s_or_b64 exec, exec, s[94:95]
	;;#ASMSTART
	s_wakeup
	;;#ASMEND
.LBB6_28325:                            ;   in Loop: Header=BB6_28261 Depth=2
	s_or_b64 exec, exec, s[92:93]
.LBB6_28326:                            ;   in Loop: Header=BB6_28261 Depth=2
	s_andn2_saveexec_b64 s[90:91], s[90:91]
	s_cbranch_execz .LBB6_28328
; %bb.28327:                            ;   in Loop: Header=BB6_28261 Depth=2
	;;#ASMSTART
	s_waitcnt lgkmcnt(0) vmcnt(0)
	;;#ASMEND
	s_waitcnt vmcnt(0) lgkmcnt(0)
	s_barrier
.LBB6_28328:                            ;   in Loop: Header=BB6_28261 Depth=2
	s_or_b64 exec, exec, s[90:91]
	buffer_load_dword v0, off, s[0:3], s33 offset:72 ; 4-byte Folded Reload
	s_waitcnt vmcnt(0)
	v_and_b32_e32 v0, 16, v0
.LBB6_28329:                            ;   in Loop: Header=BB6_28261 Depth=2
	s_or_b64 exec, exec, s[28:29]
	v_cmp_ne_u32_e32 vcc, 0, v0
	s_xor_b64 s[28:29], s[20:21], -1
	s_and_b64 s[62:63], vcc, s[28:29]
	s_and_saveexec_b64 s[28:29], s[62:63]
	s_cbranch_execz .LBB6_28331
; %bb.28330:                            ;   in Loop: Header=BB6_28261 Depth=2
	buffer_load_dword v0, off, s[0:3], s33 offset:436 ; 4-byte Folded Reload
	buffer_load_dword v1, off, s[0:3], s33 offset:440 ; 4-byte Folded Reload
	v_mov_b32_e32 v2, 1
	s_waitcnt vmcnt(0)
	flat_store_dword v[0:1], v2
.LBB6_28331:                            ;   in Loop: Header=BB6_28261 Depth=2
	s_or_b64 exec, exec, s[28:29]
	buffer_load_dword v0, off, s[0:3], s33 offset:72 ; 4-byte Folded Reload
	s_waitcnt vmcnt(0)
	v_and_b32_e32 v0, 48, v0
	v_cmp_ne_u32_e32 vcc, 0, v0
	s_and_saveexec_b64 s[28:29], vcc
	s_cbranch_execz .LBB6_28260
; %bb.28332:                            ;   in Loop: Header=BB6_28261 Depth=2
	buffer_load_dword v2, off, s[0:3], s33 offset:276 ; 4-byte Folded Reload
	buffer_load_dword v3, off, s[0:3], s33 offset:280 ; 4-byte Folded Reload
	buffer_load_dword v0, off, s[0:3], s33 offset:64 ; 4-byte Folded Reload
	buffer_load_dword v1, off, s[0:3], s33 offset:68 ; 4-byte Folded Reload
	s_waitcnt vmcnt(0)
	v_add_co_u32_e32 v2, vcc, 2, v2
	v_addc_co_u32_e32 v3, vcc, 0, v3, vcc
	buffer_store_dword v2, off, s[0:3], s33 offset:276 ; 4-byte Folded Spill
	s_nop 0
	buffer_store_dword v3, off, s[0:3], s33 offset:280 ; 4-byte Folded Spill
	flat_store_dwordx2 v[0:1], v[2:3]
	s_branch .LBB6_28260
.LBB6_28333:                            ;   in Loop: Header=BB6_47 Depth=1
	s_or_b64 exec, exec, s[92:93]
	s_or_b64 exec, exec, s[90:91]
	v_cmp_gt_i32_e32 vcc, 2, v2
	s_and_saveexec_b64 s[40:41], vcc
	s_cbranch_execnz .LBB6_28259
.LBB6_28334:                            ;   in Loop: Header=BB6_47 Depth=1
	s_or_b64 exec, exec, s[40:41]
	s_and_b64 vcc, exec, s[26:27]
	s_cbranch_vccz .LBB6_28336
	s_branch .LBB6_28592
.LBB6_28335:                            ;   in Loop: Header=BB6_47 Depth=1
	s_or_b64 exec, exec, s[42:43]
	s_or_b64 exec, exec, s[40:41]
	s_and_b64 vcc, exec, s[26:27]
	s_cbranch_vccnz .LBB6_28592
.LBB6_28336:                            ;   in Loop: Header=BB6_47 Depth=1
	s_mov_b32 s64, 1
.LBB6_28337:                            ;   Parent Loop BB6_47 Depth=1
                                        ; =>  This Loop Header: Depth=2
                                        ;       Child Loop BB6_28340 Depth 3
                                        ;         Child Loop BB6_28348 Depth 4
                                        ;         Child Loop BB6_28376 Depth 4
	;; [unrolled: 1-line block ×9, first 2 shown]
                                        ;           Child Loop BB6_28430 Depth 5
                                        ;         Child Loop BB6_28437 Depth 4
                                        ;         Child Loop BB6_28442 Depth 4
                                        ;           Child Loop BB6_28443 Depth 5
                                        ;         Child Loop BB6_28479 Depth 4
                                        ;         Child Loop BB6_28498 Depth 4
                                        ;       Child Loop BB6_28516 Depth 3
                                        ;         Child Loop BB6_28522 Depth 4
                                        ;         Child Loop BB6_28550 Depth 4
	;; [unrolled: 1-line block ×3, first 2 shown]
	buffer_load_dword v5, off, s[0:3], s33 offset:700 ; 4-byte Folded Reload
	buffer_load_dword v6, off, s[0:3], s33 offset:704 ; 4-byte Folded Reload
	s_sub_i32 s26, s70, s64
	s_cmp_ge_i32 s26, s66
	s_cselect_b32 s27, s66, 0
	s_sub_i32 s26, s26, s27
	s_ashr_i32 s28, s26, 31
	v_mov_b32_e32 v15, 0
	s_waitcnt vmcnt(0)
	v_mul_lo_u32 v3, v5, s28
	v_mul_lo_u32 v0, v6, s26
	v_mad_u64_u32 v[1:2], s[26:27], v5, s26, 0
	v_add3_u32 v2, v2, v3, v0
	buffer_load_dword v3, off, s[0:3], s33 offset:692 ; 4-byte Folded Reload
	buffer_load_dword v4, off, s[0:3], s33 offset:696 ; 4-byte Folded Reload
	s_waitcnt vmcnt(0)
	v_sub_co_u32_e32 v3, vcc, v3, v1
	v_subb_co_u32_e32 v4, vcc, v4, v2, vcc
	v_cmp_lt_i64_e32 vcc, v[5:6], v[3:4]
	v_cndmask_b32_e32 v3, v3, v5, vcc
	v_max_i32_e32 v14, 0, v3
	v_add_u32_e32 v0, 31, v14
	v_lshrrev_b32_e32 v0, 1, v0
	v_and_b32_e32 v0, 0x3ffffff0, v0
	v_cmp_lt_i32_e32 vcc, 0, v3
	v_max_i32_e32 v0, s81, v0
	s_and_b64 s[26:27], s[74:75], vcc
	v_mov_b32_e32 v3, 0
	s_and_saveexec_b64 s[42:43], s[26:27]
	s_cbranch_execz .LBB6_28513
; %bb.28338:                            ;   in Loop: Header=BB6_28337 Depth=2
	buffer_load_dword v3, off, s[0:3], s33 offset:500 ; 4-byte Folded Reload
	s_mov_b32 s65, 1
	s_mov_b64 s[92:93], -1
	v_mov_b32_e32 v15, 0
	s_mov_b64 s[90:91], 0
	s_waitcnt vmcnt(0)
	v_add_co_u32_e32 v16, vcc, v1, v3
	buffer_load_dword v1, off, s[0:3], s33 offset:504 ; 4-byte Folded Reload
	s_waitcnt vmcnt(0)
	v_addc_co_u32_e32 v17, vcc, v2, v1, vcc
	s_branch .LBB6_28340
.LBB6_28339:                            ;   in Loop: Header=BB6_28340 Depth=3
	s_or_b64 exec, exec, s[26:27]
	v_add_u32_e32 v15, v0, v15
	v_cmp_ge_i32_e32 vcc, v15, v14
	s_xor_b64 s[26:27], s[92:93], -1
	s_or_b64 s[26:27], s[26:27], vcc
	s_and_b64 s[26:27], exec, s[26:27]
	s_or_b64 s[90:91], s[26:27], s[90:91]
	s_mov_b64 s[92:93], 0
	v_mov_b32_e32 v3, s65
	s_mov_b32 s65, 2
	s_andn2_b64 exec, exec, s[90:91]
	s_cbranch_execz .LBB6_28588
.LBB6_28340:                            ;   Parent Loop BB6_47 Depth=1
                                        ;     Parent Loop BB6_28337 Depth=2
                                        ; =>    This Loop Header: Depth=3
                                        ;         Child Loop BB6_28348 Depth 4
                                        ;         Child Loop BB6_28376 Depth 4
	;; [unrolled: 1-line block ×9, first 2 shown]
                                        ;           Child Loop BB6_28430 Depth 5
                                        ;         Child Loop BB6_28437 Depth 4
                                        ;         Child Loop BB6_28442 Depth 4
                                        ;           Child Loop BB6_28443 Depth 5
                                        ;         Child Loop BB6_28479 Depth 4
                                        ;         Child Loop BB6_28498 Depth 4
	s_and_saveexec_b64 s[26:27], s[4:5]
	s_cbranch_execz .LBB6_28342
; %bb.28341:                            ;   in Loop: Header=BB6_28340 Depth=3
	s_trap 2
	ds_read_b128 v[1:4], v0
	v_ashrrev_i32_e32 v5, 31, v15
	s_waitcnt lgkmcnt(0)
	v_add_co_u32_e32 v1, vcc, v1, v16
	v_addc_co_u32_e32 v2, vcc, v2, v17, vcc
	v_add_co_u32_e32 v1, vcc, v1, v15
	v_addc_co_u32_e32 v2, vcc, v2, v5, vcc
	ds_write_b64 v0, v[1:2]
	v_add_co_u32_e32 v1, vcc, v3, v16
	v_addc_co_u32_e32 v2, vcc, v4, v17, vcc
	v_add_co_u32_e32 v1, vcc, v1, v15
	v_addc_co_u32_e32 v2, vcc, v2, v5, vcc
	v_cmp_ne_u64_e32 vcc, 0, v[3:4]
	v_cndmask_b32_e32 v2, 0, v2, vcc
	v_cndmask_b32_e32 v1, 0, v1, vcc
	ds_write_b64 v0, v[1:2]
.LBB6_28342:                            ;   in Loop: Header=BB6_28340 Depth=3
	s_or_b64 exec, exec, s[26:27]
	v_sub_u32_e32 v1, v14, v15
	v_min_i32_e32 v0, v0, v1
	buffer_load_dword v1, off, s[0:3], s33 offset:72 ; 4-byte Folded Reload
	s_waitcnt vmcnt(0)
	v_and_b32_e32 v1, 12, v1
	v_cmp_ne_u32_e32 vcc, 0, v1
	s_and_saveexec_b64 s[28:29], vcc
	s_cbranch_execz .LBB6_28368
; %bb.28343:                            ;   in Loop: Header=BB6_28340 Depth=3
	buffer_load_dword v1, off, s[0:3], s33 offset:72 ; 4-byte Folded Reload
	s_waitcnt vmcnt(0)
	v_and_b32_e32 v10, 8, v1
	buffer_load_dword v1, off, s[0:3], s33 offset:56 ; 4-byte Folded Reload
	buffer_load_dword v2, off, s[0:3], s33 offset:60 ; 4-byte Folded Reload
	s_waitcnt vmcnt(0)
	v_add_co_u32_e32 v4, vcc, v1, v10
	v_addc_co_u32_e32 v5, vcc, 0, v2, vcc
	buffer_load_dword v2, off, s[0:3], s33 offset:276 ; 4-byte Folded Reload
	buffer_load_dword v3, off, s[0:3], s33 offset:280 ; 4-byte Folded Reload
	s_waitcnt vmcnt(0)
	v_add_co_u32_e32 v2, vcc, 2, v2
	v_addc_co_u32_e32 v3, vcc, 0, v3, vcc
	v_cmp_lt_u64_e32 vcc, v[4:5], v[2:3]
	s_and_saveexec_b64 s[40:41], vcc
	s_cbranch_execz .LBB6_28355
; %bb.28344:                            ;   in Loop: Header=BB6_28340 Depth=3
	buffer_load_dword v1, off, s[0:3], s33 offset:72 ; 4-byte Folded Reload
	s_mov_b32 s62, 0
	s_mov_b64 s[94:95], 0
                                        ; implicit-def: $sgpr30_sgpr31
                                        ; implicit-def: $sgpr34_sgpr35
                                        ; implicit-def: $sgpr36_sgpr37
	s_waitcnt vmcnt(0)
	v_and_b32_e32 v1, 64, v1
	v_cmp_eq_u32_e32 vcc, 0, v1
	s_branch .LBB6_28348
.LBB6_28345:                            ;   in Loop: Header=BB6_28348 Depth=4
	buffer_load_dword v4, off, s[0:3], s33 offset:56 ; 4-byte Folded Reload
	buffer_load_dword v5, off, s[0:3], s33 offset:60 ; 4-byte Folded Reload
	s_or_b64 s[50:51], s[50:51], exec
	s_waitcnt vmcnt(1)
	v_add_co_u32_e64 v4, s[26:27], v4, v10
	s_waitcnt vmcnt(0)
	v_addc_co_u32_e64 v5, s[26:27], 0, v5, s[26:27]
	v_cmp_ge_u64_e64 s[26:27], v[4:5], v[2:3]
	s_orn2_b64 s[48:49], s[26:27], exec
.LBB6_28346:                            ;   in Loop: Header=BB6_28348 Depth=4
	s_or_b64 exec, exec, s[54:55]
	s_andn2_b64 s[26:27], s[36:37], exec
	s_and_b64 s[36:37], s[50:51], exec
	s_or_b64 s[36:37], s[26:27], s[36:37]
	s_andn2_b64 s[26:27], s[34:35], exec
	s_and_b64 s[34:35], s[48:49], exec
	s_or_b64 s[34:35], s[26:27], s[34:35]
.LBB6_28347:                            ;   in Loop: Header=BB6_28348 Depth=4
	s_or_b64 exec, exec, s[38:39]
	s_and_b64 s[26:27], exec, s[34:35]
	s_or_b64 s[94:95], s[26:27], s[94:95]
	s_andn2_b64 s[26:27], s[30:31], exec
	s_and_b64 s[30:31], s[36:37], exec
	s_or_b64 s[30:31], s[26:27], s[30:31]
	s_andn2_b64 exec, exec, s[94:95]
	s_cbranch_execz .LBB6_28352
.LBB6_28348:                            ;   Parent Loop BB6_47 Depth=1
                                        ;     Parent Loop BB6_28337 Depth=2
                                        ;       Parent Loop BB6_28340 Depth=3
                                        ; =>      This Inner Loop Header: Depth=4
	s_sleep 1
	buffer_load_dword v4, off, s[0:3], s33 offset:64 ; 4-byte Folded Reload
	buffer_load_dword v5, off, s[0:3], s33 offset:68 ; 4-byte Folded Reload
	s_or_b64 s[36:37], s[36:37], exec
	s_or_b64 s[34:35], s[34:35], exec
                                        ; implicit-def: $vgpr1
	s_waitcnt vmcnt(0)
	flat_load_dwordx2 v[4:5], v[4:5] glc
	s_waitcnt vmcnt(0) lgkmcnt(0)
	buffer_store_dword v4, off, s[0:3], s33 offset:56 ; 4-byte Folded Spill
	s_nop 0
	buffer_store_dword v5, off, s[0:3], s33 offset:60 ; 4-byte Folded Spill
	s_and_saveexec_b64 s[38:39], vcc
	s_cbranch_execz .LBB6_28347
; %bb.28349:                            ;   in Loop: Header=BB6_28348 Depth=4
	s_cmpk_lt_i32 s62, 0x270f
	s_cselect_b64 s[52:53], -1, 0
	s_cmpk_gt_i32 s62, 0x270e
	s_mov_b64 s[48:49], -1
	s_cbranch_scc0 .LBB6_28351
; %bb.28350:                            ;   in Loop: Header=BB6_28348 Depth=4
	s_trap 2
	ds_read_b64 v[4:5], v0
	s_andn2_b64 s[52:53], s[52:53], exec
	s_mov_b32 s62, 0
	s_mov_b64 s[50:51], 0
	s_waitcnt vmcnt(0) lgkmcnt(0)
	flat_load_dword v1, v[4:5] glc
	s_waitcnt vmcnt(0) lgkmcnt(0)
	buffer_wbinvl1_vol
	v_cmp_eq_u32_e64 s[26:27], 0, v1
	s_and_b64 s[26:27], s[26:27], exec
	s_or_b64 s[52:53], s[52:53], s[26:27]
	s_and_saveexec_b64 s[54:55], s[52:53]
	s_cbranch_execz .LBB6_28346
	s_branch .LBB6_28345
.LBB6_28351:                            ;   in Loop: Header=BB6_28348 Depth=4
	s_add_i32 s62, s62, 1
	s_mov_b64 s[50:51], -1
                                        ; implicit-def: $vgpr1
	s_and_saveexec_b64 s[54:55], s[52:53]
	s_cbranch_execz .LBB6_28346
	s_branch .LBB6_28345
.LBB6_28352:                            ;   in Loop: Header=BB6_28340 Depth=3
	s_or_b64 exec, exec, s[94:95]
	s_xor_b64 s[26:27], s[30:31], -1
	s_and_saveexec_b64 s[62:63], s[26:27]
	s_xor_b64 s[26:27], exec, s[62:63]
	s_cbranch_execz .LBB6_28354
; %bb.28353:                            ;   in Loop: Header=BB6_28340 Depth=3
	ds_write_b32 v0, v1
	s_trap 2
	buffer_load_dword v1, off, s[0:3], s33 offset:72 ; 4-byte Folded Reload
	s_waitcnt vmcnt(0)
	v_or_b32_e32 v1, 64, v1
	buffer_store_dword v1, off, s[0:3], s33 offset:72 ; 4-byte Folded Spill
.LBB6_28354:                            ;   in Loop: Header=BB6_28340 Depth=3
	s_or_b64 exec, exec, s[26:27]
.LBB6_28355:                            ;   in Loop: Header=BB6_28340 Depth=3
	s_or_b64 exec, exec, s[40:41]
	;;#ASMSTART
	s_wakeup
	;;#ASMEND
	buffer_load_dword v1, off, s[0:3], s33 offset:72 ; 4-byte Folded Reload
                                        ; implicit-def: $vgpr4_vgpr5
	s_waitcnt vmcnt(0)
	v_and_b32_e32 v1, 0x108, v1
	v_cmp_ne_u32_e32 vcc, s69, v1
	s_and_saveexec_b64 s[26:27], vcc
	s_xor_b64 s[26:27], exec, s[26:27]
	s_cbranch_execz .LBB6_28357
; %bb.28356:                            ;   in Loop: Header=BB6_28340 Depth=3
	buffer_load_dword v4, off, s[0:3], s33 offset:276 ; 4-byte Folded Reload
	buffer_load_dword v5, off, s[0:3], s33 offset:280 ; 4-byte Folded Reload
	s_waitcnt vmcnt(0)
	v_mov_b32_e32 v5, v33
                                        ; implicit-def: $vgpr6_vgpr7
                                        ; kill: killed $vgpr6_vgpr7
	v_and_b32_e32 v4, 7, v4
.LBB6_28357:                            ;   in Loop: Header=BB6_28340 Depth=3
	s_andn2_saveexec_b64 s[26:27], s[26:27]
	s_cbranch_execz .LBB6_28359
; %bb.28358:                            ;   in Loop: Header=BB6_28340 Depth=3
	buffer_load_dword v4, off, s[0:3], s33 offset:276 ; 4-byte Folded Reload
	buffer_load_dword v5, off, s[0:3], s33 offset:280 ; 4-byte Folded Reload
	;; [unrolled: 1-line block ×6, first 2 shown]
	v_ashrrev_i32_e32 v1, 31, v0
	s_waitcnt vmcnt(0)
	v_and_b32_e32 v4, 7, v4
	v_mad_u64_u32 v[6:7], s[40:41], v4, 24, v[5:6]
	v_mov_b32_e32 v5, v33
	flat_store_dwordx2 v[6:7], v[0:1] offset:8
.LBB6_28359:                            ;   in Loop: Header=BB6_28340 Depth=3
	s_or_b64 exec, exec, s[26:27]
	buffer_load_dword v1, off, s[0:3], s33 offset:72 ; 4-byte Folded Reload
	s_mov_b64 s[26:27], -1
                                        ; implicit-def: $vgpr6_vgpr7
	s_waitcnt vmcnt(0)
	v_and_b32_e32 v1, 0x100, v1
	v_cmp_ne_u32_e32 vcc, 0, v1
	s_and_saveexec_b64 s[40:41], vcc
	s_cbranch_execz .LBB6_28363
; %bb.28360:                            ;   in Loop: Header=BB6_28340 Depth=3
	buffer_load_dword v6, off, s[0:3], s33 offset:420 ; 4-byte Folded Reload
	buffer_load_dword v7, off, s[0:3], s33 offset:424 ; 4-byte Folded Reload
	;; [unrolled: 1-line block ×4, first 2 shown]
	s_waitcnt vmcnt(0)
	v_mad_u64_u32 v[8:9], s[26:27], v4, 24, v[6:7]
	v_mov_b32_e32 v1, v9
	v_mad_u64_u32 v[6:7], s[26:27], v5, 24, v[1:2]
	v_mov_b32_e32 v9, v6
	flat_load_dword v1, v[8:9]
                                        ; implicit-def: $vgpr6_vgpr7
	s_waitcnt vmcnt(0) lgkmcnt(0)
	v_cmp_ne_u32_e32 vcc, 1, v1
	v_cmp_eq_u32_e64 s[26:27], 1, v1
	s_and_saveexec_b64 s[94:95], s[26:27]
	s_cbranch_execz .LBB6_28362
; %bb.28361:                            ;   in Loop: Header=BB6_28340 Depth=3
	flat_load_dword v6, v[8:9] offset:4 glc
	s_waitcnt vmcnt(0) lgkmcnt(0)
	v_ashrrev_i32_e32 v7, 31, v6
.LBB6_28362:                            ;   in Loop: Header=BB6_28340 Depth=3
	s_or_b64 exec, exec, s[94:95]
	s_orn2_b64 s[26:27], vcc, exec
.LBB6_28363:                            ;   in Loop: Header=BB6_28340 Depth=3
	s_or_b64 exec, exec, s[40:41]
	s_and_saveexec_b64 s[40:41], s[26:27]
	s_cbranch_execz .LBB6_28365
; %bb.28364:                            ;   in Loop: Header=BB6_28340 Depth=3
	buffer_load_dword v6, off, s[0:3], s33 offset:456 ; 4-byte Folded Reload
	s_waitcnt vmcnt(0)
	v_mul_lo_u32 v1, v5, v6
	buffer_load_dword v5, off, s[0:3], s33 offset:476 ; 4-byte Folded Reload
	v_mad_u64_u32 v[6:7], s[26:27], v4, v6, 0
	s_waitcnt vmcnt(0)
	v_mul_lo_u32 v5, v4, v5
	v_add3_u32 v7, v7, v5, v1
.LBB6_28365:                            ;   in Loop: Header=BB6_28340 Depth=3
	s_or_b64 exec, exec, s[40:41]
	v_cmp_eq_u32_e32 vcc, 0, v10
	v_mov_b32_e32 v1, 0xd0
	v_mov_b32_e32 v4, 0x88
	v_cndmask_b32_e32 v1, v1, v4, vcc
	buffer_load_dword v4, off, s[0:3], s33 offset:412 ; 4-byte Folded Reload
	buffer_load_dword v5, off, s[0:3], s33 offset:416 ; 4-byte Folded Reload
	v_add_u32_e32 v1, v0, v1
	s_waitcnt vmcnt(0)
	v_add_co_u32_e32 v4, vcc, v4, v6
	v_addc_co_u32_e32 v5, vcc, v5, v7, vcc
	ds_write_b64 v1, v[4:5] offset:584
	buffer_load_dword v1, off, s[0:3], s33 offset:72 ; 4-byte Folded Reload
	s_waitcnt vmcnt(0)
	v_and_b32_e32 v1, 0x2000, v1
	v_cmp_ne_u32_e32 vcc, 0, v1
	s_and_saveexec_b64 s[26:27], vcc
	s_cbranch_execz .LBB6_28367
; %bb.28366:                            ;   in Loop: Header=BB6_28340 Depth=3
	ds_read_b64 v[4:5], v0 offset:872
	s_waitcnt lgkmcnt(0)
	v_add_co_u32_e32 v4, vcc, 1, v4
	v_addc_co_u32_e32 v5, vcc, 0, v5, vcc
	ds_write_b64 v0, v[4:5] offset:872
.LBB6_28367:                            ;   in Loop: Header=BB6_28340 Depth=3
	s_or_b64 exec, exec, s[26:27]
	buffer_store_dword v2, off, s[0:3], s33 offset:276 ; 4-byte Folded Spill
	s_nop 0
	buffer_store_dword v3, off, s[0:3], s33 offset:280 ; 4-byte Folded Spill
.LBB6_28368:                            ;   in Loop: Header=BB6_28340 Depth=3
	s_or_b64 exec, exec, s[28:29]
	s_and_saveexec_b64 s[26:27], s[12:13]
	s_cbranch_execz .LBB6_28387
; %bb.28369:                            ;   in Loop: Header=BB6_28340 Depth=3
	s_and_saveexec_b64 s[28:29], s[58:59]
	s_xor_b64 s[28:29], exec, s[28:29]
	s_cbranch_execz .LBB6_28384
; %bb.28370:                            ;   in Loop: Header=BB6_28340 Depth=3
	s_and_saveexec_b64 s[40:41], s[6:7]
	s_cbranch_execz .LBB6_28383
; %bb.28371:                            ;   in Loop: Header=BB6_28340 Depth=3
	s_mov_b64 s[30:31], exec
	v_mbcnt_lo_u32_b32 v1, s30, 0
	v_mbcnt_hi_u32_b32 v1, s31, v1
	v_cmp_eq_u32_e32 vcc, 0, v1
	s_waitcnt vmcnt(0) lgkmcnt(0)
	buffer_wbinvl1_vol
	s_and_saveexec_b64 s[94:95], vcc
	s_cbranch_execz .LBB6_28373
; %bb.28372:                            ;   in Loop: Header=BB6_28340 Depth=3
	s_bcnt1_i32_b64 s62, s[30:31]
	v_mov_b32_e32 v1, s62
	v_mov_b32_e32 v2, v33
	ds_add_u64 v0, v[1:2]
	s_trap 2
.LBB6_28373:                            ;   in Loop: Header=BB6_28340 Depth=3
	s_or_b64 exec, exec, s[94:95]
	s_trap 2
	ds_read_b64 v[1:2], v0
	s_waitcnt lgkmcnt(0)
	buffer_load_dword v3, off, s[0:3], s33 offset:76 ; 4-byte Folded Reload
	buffer_load_dword v4, off, s[0:3], s33 offset:80 ; 4-byte Folded Reload
	;; [unrolled: 1-line block ×3, first 2 shown]
	s_waitcnt vmcnt(0)
	v_add_co_u32_e32 v3, vcc, v3, v5
	v_addc_co_u32_e32 v4, vcc, 0, v4, vcc
	buffer_store_dword v3, off, s[0:3], s33 offset:76 ; 4-byte Folded Spill
	s_nop 0
	buffer_store_dword v4, off, s[0:3], s33 offset:80 ; 4-byte Folded Spill
	v_cmp_lt_u64_e32 vcc, v[1:2], v[3:4]
	s_and_saveexec_b64 s[94:95], vcc
	s_cbranch_execz .LBB6_28382
; %bb.28374:                            ;   in Loop: Header=BB6_28340 Depth=3
	s_mov_b32 s62, 0
	s_mov_b64 s[30:31], 0
                                        ; implicit-def: $sgpr34_sgpr35
                                        ; implicit-def: $sgpr36_sgpr37
	s_branch .LBB6_28376
.LBB6_28375:                            ;   in Loop: Header=BB6_28376 Depth=4
	s_or_b64 exec, exec, s[48:49]
	s_and_b64 vcc, exec, vcc
	s_or_b64 s[30:31], vcc, s[30:31]
	s_andn2_b64 vcc, s[34:35], exec
	s_and_b64 s[34:35], s[36:37], exec
	s_or_b64 s[34:35], vcc, s[34:35]
	s_andn2_b64 exec, exec, s[30:31]
	s_cbranch_execz .LBB6_28380
.LBB6_28376:                            ;   Parent Loop BB6_47 Depth=1
                                        ;     Parent Loop BB6_28337 Depth=2
                                        ;       Parent Loop BB6_28340 Depth=3
                                        ; =>      This Inner Loop Header: Depth=4
	s_add_i32 s62, s62, 1
	s_cmpk_lg_i32 s62, 0x2710
	s_cselect_b64 s[38:39], -1, 0
	s_and_b64 vcc, exec, s[38:39]
	s_cbranch_vccz .LBB6_28378
; %bb.28377:                            ;   in Loop: Header=BB6_28376 Depth=4
	s_mov_b64 vcc, -1
	s_or_b64 s[36:37], s[36:37], exec
	s_and_saveexec_b64 s[48:49], s[38:39]
	s_cbranch_execz .LBB6_28375
	s_branch .LBB6_28379
.LBB6_28378:                            ;   in Loop: Header=BB6_28376 Depth=4
	s_trap 2
	ds_read_b64 v[1:2], v0
	s_andn2_b64 s[38:39], s[38:39], exec
	s_mov_b32 s62, 0
	s_waitcnt vmcnt(0) lgkmcnt(0)
	flat_load_dword v1, v[1:2] glc
	s_waitcnt vmcnt(0) lgkmcnt(0)
	buffer_wbinvl1_vol
	v_cmp_eq_u32_e32 vcc, 0, v1
	s_and_b64 vcc, vcc, exec
	s_or_b64 s[38:39], s[38:39], vcc
	s_mov_b64 vcc, -1
	s_or_b64 s[36:37], s[36:37], exec
	s_and_saveexec_b64 s[48:49], s[38:39]
	s_cbranch_execz .LBB6_28375
.LBB6_28379:                            ;   in Loop: Header=BB6_28376 Depth=4
	s_sleep 1
	s_trap 2
	ds_read_b64 v[1:2], v0
	s_waitcnt lgkmcnt(0)
	buffer_load_dword v3, off, s[0:3], s33 offset:76 ; 4-byte Folded Reload
	buffer_load_dword v4, off, s[0:3], s33 offset:80 ; 4-byte Folded Reload
	s_andn2_b64 s[36:37], s[36:37], exec
	s_waitcnt vmcnt(0)
	v_cmp_ge_u64_e32 vcc, v[1:2], v[3:4]
	s_orn2_b64 vcc, vcc, exec
	s_branch .LBB6_28375
.LBB6_28380:                            ;   in Loop: Header=BB6_28340 Depth=3
	s_or_b64 exec, exec, s[30:31]
	s_and_saveexec_b64 s[62:63], s[34:35]
	s_xor_b64 s[62:63], exec, s[62:63]
	s_cbranch_execz .LBB6_28382
; %bb.28381:                            ;   in Loop: Header=BB6_28340 Depth=3
	v_mov_b32_e32 v1, 1
	ds_write_b32 v0, v1
	s_trap 2
.LBB6_28382:                            ;   in Loop: Header=BB6_28340 Depth=3
	s_or_b64 exec, exec, s[94:95]
	;;#ASMSTART
	s_wakeup
	;;#ASMEND
.LBB6_28383:                            ;   in Loop: Header=BB6_28340 Depth=3
	s_or_b64 exec, exec, s[40:41]
.LBB6_28384:                            ;   in Loop: Header=BB6_28340 Depth=3
	s_andn2_saveexec_b64 s[28:29], s[28:29]
	s_cbranch_execz .LBB6_28386
; %bb.28385:                            ;   in Loop: Header=BB6_28340 Depth=3
	s_waitcnt vmcnt(0) lgkmcnt(0)
	buffer_wbinvl1_vol
	s_barrier
.LBB6_28386:                            ;   in Loop: Header=BB6_28340 Depth=3
	s_or_b64 exec, exec, s[28:29]
.LBB6_28387:                            ;   in Loop: Header=BB6_28340 Depth=3
	s_or_b64 exec, exec, s[26:27]
	s_trap 2
	buffer_load_dword v1, off, s[0:3], s33 offset:72 ; 4-byte Folded Reload
	ds_read_b32 v5, v0
	s_xor_b64 s[26:27], s[10:11], -1
	s_waitcnt vmcnt(0)
	v_and_b32_e32 v1, 0x4000, v1
	v_cmp_ne_u32_e32 vcc, 0, v1
	s_and_b64 s[28:29], s[26:27], vcc
	s_and_saveexec_b64 s[26:27], s[28:29]
	s_cbranch_execz .LBB6_28406
; %bb.28388:                            ;   in Loop: Header=BB6_28340 Depth=3
	s_and_saveexec_b64 s[28:29], s[58:59]
	s_xor_b64 s[28:29], exec, s[28:29]
	s_cbranch_execz .LBB6_28403
; %bb.28389:                            ;   in Loop: Header=BB6_28340 Depth=3
	s_and_saveexec_b64 s[40:41], s[6:7]
	s_cbranch_execz .LBB6_28402
; %bb.28390:                            ;   in Loop: Header=BB6_28340 Depth=3
	s_mov_b64 s[30:31], exec
	v_mbcnt_lo_u32_b32 v1, s30, 0
	v_mbcnt_hi_u32_b32 v1, s31, v1
	v_cmp_eq_u32_e32 vcc, 0, v1
	s_waitcnt lgkmcnt(0)
	buffer_wbinvl1_vol
	s_and_saveexec_b64 s[94:95], vcc
	s_cbranch_execz .LBB6_28392
; %bb.28391:                            ;   in Loop: Header=BB6_28340 Depth=3
	s_bcnt1_i32_b64 s62, s[30:31]
	v_mov_b32_e32 v1, s62
	v_mov_b32_e32 v2, v33
	ds_add_u64 v0, v[1:2]
	s_trap 2
.LBB6_28392:                            ;   in Loop: Header=BB6_28340 Depth=3
	s_or_b64 exec, exec, s[94:95]
	s_trap 2
	ds_read_b64 v[1:2], v0
	s_waitcnt lgkmcnt(0)
	buffer_load_dword v3, off, s[0:3], s33 offset:76 ; 4-byte Folded Reload
	buffer_load_dword v4, off, s[0:3], s33 offset:80 ; 4-byte Folded Reload
	;; [unrolled: 1-line block ×3, first 2 shown]
	s_waitcnt vmcnt(0)
	v_add_co_u32_e32 v3, vcc, v3, v6
	v_addc_co_u32_e32 v4, vcc, 0, v4, vcc
	buffer_store_dword v3, off, s[0:3], s33 offset:76 ; 4-byte Folded Spill
	s_nop 0
	buffer_store_dword v4, off, s[0:3], s33 offset:80 ; 4-byte Folded Spill
	v_cmp_lt_u64_e32 vcc, v[1:2], v[3:4]
	s_and_saveexec_b64 s[94:95], vcc
	s_cbranch_execz .LBB6_28401
; %bb.28393:                            ;   in Loop: Header=BB6_28340 Depth=3
	s_mov_b32 s62, 0
	s_mov_b64 s[30:31], 0
                                        ; implicit-def: $sgpr34_sgpr35
                                        ; implicit-def: $sgpr36_sgpr37
	s_branch .LBB6_28395
.LBB6_28394:                            ;   in Loop: Header=BB6_28395 Depth=4
	s_or_b64 exec, exec, s[48:49]
	s_and_b64 vcc, exec, vcc
	s_or_b64 s[30:31], vcc, s[30:31]
	s_andn2_b64 vcc, s[34:35], exec
	s_and_b64 s[34:35], s[36:37], exec
	s_or_b64 s[34:35], vcc, s[34:35]
	s_andn2_b64 exec, exec, s[30:31]
	s_cbranch_execz .LBB6_28399
.LBB6_28395:                            ;   Parent Loop BB6_47 Depth=1
                                        ;     Parent Loop BB6_28337 Depth=2
                                        ;       Parent Loop BB6_28340 Depth=3
                                        ; =>      This Inner Loop Header: Depth=4
	s_add_i32 s62, s62, 1
	s_cmpk_lg_i32 s62, 0x2710
	s_cselect_b64 s[38:39], -1, 0
	s_and_b64 vcc, exec, s[38:39]
	s_cbranch_vccz .LBB6_28397
; %bb.28396:                            ;   in Loop: Header=BB6_28395 Depth=4
	s_mov_b64 vcc, -1
	s_or_b64 s[36:37], s[36:37], exec
	s_and_saveexec_b64 s[48:49], s[38:39]
	s_cbranch_execz .LBB6_28394
	s_branch .LBB6_28398
.LBB6_28397:                            ;   in Loop: Header=BB6_28395 Depth=4
	s_trap 2
	ds_read_b64 v[1:2], v0
	s_andn2_b64 s[38:39], s[38:39], exec
	s_mov_b32 s62, 0
	s_waitcnt vmcnt(0) lgkmcnt(0)
	flat_load_dword v1, v[1:2] glc
	s_waitcnt vmcnt(0) lgkmcnt(0)
	buffer_wbinvl1_vol
	v_cmp_eq_u32_e32 vcc, 0, v1
	s_and_b64 vcc, vcc, exec
	s_or_b64 s[38:39], s[38:39], vcc
	s_mov_b64 vcc, -1
	s_or_b64 s[36:37], s[36:37], exec
	s_and_saveexec_b64 s[48:49], s[38:39]
	s_cbranch_execz .LBB6_28394
.LBB6_28398:                            ;   in Loop: Header=BB6_28395 Depth=4
	s_sleep 1
	s_trap 2
	ds_read_b64 v[1:2], v0
	s_waitcnt lgkmcnt(0)
	buffer_load_dword v3, off, s[0:3], s33 offset:76 ; 4-byte Folded Reload
	buffer_load_dword v4, off, s[0:3], s33 offset:80 ; 4-byte Folded Reload
	s_andn2_b64 s[36:37], s[36:37], exec
	s_waitcnt vmcnt(0)
	v_cmp_ge_u64_e32 vcc, v[1:2], v[3:4]
	s_orn2_b64 vcc, vcc, exec
	s_branch .LBB6_28394
.LBB6_28399:                            ;   in Loop: Header=BB6_28340 Depth=3
	s_or_b64 exec, exec, s[30:31]
	s_and_saveexec_b64 s[62:63], s[34:35]
	s_xor_b64 s[62:63], exec, s[62:63]
	s_cbranch_execz .LBB6_28401
; %bb.28400:                            ;   in Loop: Header=BB6_28340 Depth=3
	v_mov_b32_e32 v1, 1
	ds_write_b32 v0, v1
	s_trap 2
.LBB6_28401:                            ;   in Loop: Header=BB6_28340 Depth=3
	s_or_b64 exec, exec, s[94:95]
	;;#ASMSTART
	s_wakeup
	;;#ASMEND
.LBB6_28402:                            ;   in Loop: Header=BB6_28340 Depth=3
	s_or_b64 exec, exec, s[40:41]
.LBB6_28403:                            ;   in Loop: Header=BB6_28340 Depth=3
	s_andn2_saveexec_b64 s[28:29], s[28:29]
	s_cbranch_execz .LBB6_28405
; %bb.28404:                            ;   in Loop: Header=BB6_28340 Depth=3
	s_waitcnt vmcnt(0) lgkmcnt(0)
	buffer_wbinvl1_vol
	s_barrier
.LBB6_28405:                            ;   in Loop: Header=BB6_28340 Depth=3
	s_or_b64 exec, exec, s[28:29]
.LBB6_28406:                            ;   in Loop: Header=BB6_28340 Depth=3
	s_or_b64 exec, exec, s[26:27]
	s_trap 2
	ds_read_b64 v[1:2], v0
	s_waitcnt lgkmcnt(0)
	v_cmp_eq_u64_e32 vcc, 0, v[1:2]
	s_cbranch_vccnz .LBB6_28415
; %bb.28407:                            ;   in Loop: Header=BB6_28340 Depth=3
	s_trap 2
	ds_read_b64 v[3:4], v0
	s_waitcnt lgkmcnt(0)
	v_cmp_eq_u64_e32 vcc, 0, v[3:4]
	s_cbranch_vccnz .LBB6_28415
; %bb.28408:                            ;   in Loop: Header=BB6_28340 Depth=3
	s_trap 2
	ds_read_b64 v[12:13], v0
	v_cmp_eq_u32_e64 s[26:27], 0, v5
	v_cndmask_b32_e64 v18, 0, v0, s[26:27]
	s_waitcnt lgkmcnt(0)
	v_cmp_ne_u64_e32 vcc, 0, v[12:13]
	s_cbranch_vccz .LBB6_28420
; %bb.28409:                            ;   in Loop: Header=BB6_28340 Depth=3
	s_mov_b64 s[28:29], -1
	s_and_saveexec_b64 s[26:27], s[16:17]
	s_cbranch_execz .LBB6_28411
; %bb.28410:                            ;   in Loop: Header=BB6_28340 Depth=3
	ds_read_b32 v5, v0 offset:720
	s_waitcnt lgkmcnt(0)
	v_and_b32_e32 v5, 15, v5
	v_cmp_eq_u32_e32 vcc, 0, v5
	s_orn2_b64 s[28:29], vcc, exec
.LBB6_28411:                            ;   in Loop: Header=BB6_28340 Depth=3
	s_or_b64 exec, exec, s[26:27]
	s_and_saveexec_b64 s[26:27], s[24:25]
	s_cbranch_execz .LBB6_28413
; %bb.28412:                            ;   in Loop: Header=BB6_28340 Depth=3
	ds_read_b32 v5, v0 offset:784
	s_waitcnt lgkmcnt(0)
	v_and_b32_e32 v5, 15, v5
	v_cmp_eq_u32_e32 vcc, 0, v5
	s_and_b64 s[40:41], s[28:29], vcc
	s_andn2_b64 s[28:29], s[28:29], exec
	s_and_b64 s[40:41], s[40:41], exec
	s_or_b64 s[28:29], s[28:29], s[40:41]
.LBB6_28413:                            ;   in Loop: Header=BB6_28340 Depth=3
	s_or_b64 exec, exec, s[26:27]
	buffer_load_dword v20, off, s[0:3], s33 offset:480 ; 4-byte Folded Reload
	s_xor_b64 s[28:29], s[28:29], -1
	v_cndmask_b32_e64 v5, 0, 1, s[28:29]
	s_mov_b64 s[26:27], -1
	v_mov_b32_e32 v11, 0
	v_cmp_ne_u32_e32 vcc, 0, v5
	v_mov_b32_e32 v19, v18
	s_cbranch_vccz .LBB6_28422
; %bb.28414:                            ;   in Loop: Header=BB6_28340 Depth=3
	s_and_saveexec_b64 s[40:41], s[26:27]
	s_cbranch_execnz .LBB6_28435
	s_branch .LBB6_28445
.LBB6_28415:                            ;   in Loop: Header=BB6_28340 Depth=3
	s_mov_b64 s[26:27], 0
	s_and_saveexec_b64 s[28:29], s[12:13]
	s_cbranch_execnz .LBB6_28472
.LBB6_28416:                            ;   in Loop: Header=BB6_28340 Depth=3
	s_or_b64 exec, exec, s[28:29]
                                        ; implicit-def: $vgpr1
	s_and_saveexec_b64 s[28:29], s[18:19]
	s_xor_b64 s[28:29], exec, s[28:29]
	s_cbranch_execz .LBB6_28490
.LBB6_28417:                            ;   in Loop: Header=BB6_28340 Depth=3
	buffer_load_dword v2, off, s[0:3], s33 offset:72 ; 4-byte Folded Reload
	s_waitcnt vmcnt(0)
	v_and_b32_e32 v1, 16, v2
	v_and_b32_e32 v2, 16, v2
	v_cmp_ne_u32_e32 vcc, 0, v2
	s_and_b64 s[40:41], vcc, s[26:27]
	s_and_saveexec_b64 s[26:27], s[40:41]
	s_cbranch_execz .LBB6_28419
; %bb.28418:                            ;   in Loop: Header=BB6_28340 Depth=3
	v_mov_b32_e32 v1, 1
	s_waitcnt lgkmcnt(0)
	buffer_wbinvl1_vol
.LBB6_28419:                            ;   in Loop: Header=BB6_28340 Depth=3
	s_or_b64 exec, exec, s[26:27]
	s_andn2_saveexec_b64 s[26:27], s[28:29]
	s_cbranch_execz .LBB6_28509
	s_branch .LBB6_28491
.LBB6_28420:                            ;   in Loop: Header=BB6_28340 Depth=3
	s_cbranch_execnz .LBB6_28446
.LBB6_28421:                            ;   in Loop: Header=BB6_28340 Depth=3
	v_cmp_lt_i32_e64 s[26:27], 0, v18
	s_and_saveexec_b64 s[28:29], s[12:13]
	s_cbranch_execnz .LBB6_28472
	s_branch .LBB6_28416
.LBB6_28422:                            ;   in Loop: Header=BB6_28340 Depth=3
	v_ashrrev_i32_e32 v5, 31, v18
	v_lshrrev_b32_e32 v5, 20, v5
	v_add_u32_e32 v5, v18, v5
	v_ashrrev_i32_e32 v11, 12, v5
	buffer_load_dword v5, off, s[0:3], s33 offset:524 ; 4-byte Folded Reload
	s_waitcnt vmcnt(0)
	v_sub_u32_e32 v21, v11, v5
	v_cmp_lt_i32_e32 vcc, 0, v21
	s_and_saveexec_b64 s[26:27], vcc
	s_cbranch_execz .LBB6_28426
; %bb.28423:                            ;   in Loop: Header=BB6_28340 Depth=3
	buffer_load_dword v9, off, s[0:3], s33 offset:680 ; 4-byte Folded Reload
	buffer_load_dword v19, off, s[0:3], s33 offset:284 ; 4-byte Folded Reload
	;; [unrolled: 1-line block ×3, first 2 shown]
	s_mov_b64 s[28:29], 0
	s_waitcnt vmcnt(2)
	v_add_co_u32_e32 v5, vcc, v1, v9
	v_addc_co_u32_e32 v6, vcc, 0, v2, vcc
	v_add_co_u32_e32 v7, vcc, v3, v9
	v_addc_co_u32_e32 v8, vcc, 0, v4, vcc
	;; [unrolled: 2-line block ×3, first 2 shown]
.LBB6_28424:                            ;   Parent Loop BB6_47 Depth=1
                                        ;     Parent Loop BB6_28337 Depth=2
                                        ;       Parent Loop BB6_28340 Depth=3
                                        ; =>      This Inner Loop Header: Depth=4
	global_load_dwordx4 v[22:25], v[5:6], off glc slc
	global_load_dwordx4 v[26:29], v[5:6], off offset:1024 glc slc
	global_load_dwordx4 v[34:37], v[5:6], off offset:2048 glc slc
	global_load_dwordx4 v[48:51], v[5:6], off offset:3072 glc slc
	s_waitcnt vmcnt(4)
	v_add_co_u32_e32 v5, vcc, v5, v20
	v_addc_co_u32_e32 v6, vcc, 0, v6, vcc
	v_sub_u32_e32 v21, v21, v19
	v_cmp_gt_i32_e32 vcc, 1, v21
	s_or_b64 s[28:29], vcc, s[28:29]
	s_waitcnt vmcnt(3)
	global_store_dwordx4 v[7:8], v[22:25], off glc slc
	s_waitcnt vmcnt(3)
	global_store_dwordx4 v[7:8], v[26:29], off offset:1024 glc slc
	s_waitcnt vmcnt(3)
	global_store_dwordx4 v[7:8], v[34:37], off offset:2048 glc slc
	;; [unrolled: 2-line block ×3, first 2 shown]
	global_store_dwordx4 v[9:10], v[22:25], off glc slc
	global_store_dwordx4 v[9:10], v[26:29], off offset:1024 glc slc
	global_store_dwordx4 v[9:10], v[34:37], off offset:2048 glc slc
	global_store_dwordx4 v[9:10], v[48:51], off offset:3072 glc slc
	v_add_co_u32_e32 v7, vcc, v7, v20
	v_addc_co_u32_e32 v8, vcc, 0, v8, vcc
	v_add_co_u32_e32 v9, vcc, v9, v20
	v_addc_co_u32_e32 v10, vcc, 0, v10, vcc
	s_andn2_b64 exec, exec, s[28:29]
	s_cbranch_execnz .LBB6_28424
; %bb.28425:                            ;   in Loop: Header=BB6_28340 Depth=3
	s_or_b64 exec, exec, s[28:29]
.LBB6_28426:                            ;   in Loop: Header=BB6_28340 Depth=3
	s_or_b64 exec, exec, s[26:27]
	v_lshlrev_b32_e32 v7, 12, v11
	v_cmp_ne_u32_e32 vcc, v18, v7
	s_mov_b64 s[26:27], 0
	v_mov_b32_e32 v11, 0
                                        ; implicit-def: $vgpr19
                                        ; implicit-def: $vgpr20
	s_and_saveexec_b64 s[94:95], vcc
	s_cbranch_execz .LBB6_28434
; %bb.28427:                            ;   in Loop: Header=BB6_28340 Depth=3
	buffer_load_dword v8, off, s[0:3], s33 offset:688 ; 4-byte Folded Reload
	v_lshlrev_b32_e32 v5, 6, v21
	v_sub_u32_e32 v6, v18, v7
	s_waitcnt vmcnt(0)
	v_sub_u32_e32 v5, v8, v5
	v_ashrrev_i32_e32 v8, 31, v5
	v_lshrrev_b32_e32 v8, 26, v8
	v_add_u32_e32 v8, v5, v8
	v_ashrrev_i32_e32 v9, 6, v8
	v_and_b32_e32 v8, 0xffffffc0, v8
	v_sub_u32_e32 v20, v5, v8
	v_ashrrev_i32_e32 v8, 31, v6
	v_lshrrev_b32_e32 v8, 22, v8
	v_add_u32_e32 v8, v6, v8
	v_and_b32_e32 v19, 0xfffffc00, v8
	v_lshlrev_b32_e32 v5, 4, v20
	v_sub_u32_e32 v21, v6, v19
	v_lshl_add_u32 v5, v9, 10, v5
	v_ashrrev_i32_e32 v10, 10, v8
	v_cmp_lt_i32_e64 s[26:27], 15, v21
	v_sub_u32_e32 v23, v6, v5
	v_addc_co_u32_e64 v6, vcc, 0, v10, s[26:27]
	v_sub_u32_e32 v22, v6, v9
	v_cmp_lt_i32_e32 vcc, 15, v23
	s_and_saveexec_b64 s[30:31], vcc
	s_cbranch_execz .LBB6_28433
; %bb.28428:                            ;   in Loop: Header=BB6_28340 Depth=3
	v_add_u32_e32 v8, v5, v7
	v_ashrrev_i32_e32 v9, 31, v8
	v_add_co_u32_e32 v5, vcc, v8, v1
	v_addc_co_u32_e32 v6, vcc, v9, v2, vcc
	v_add_co_u32_e32 v24, vcc, v8, v3
	v_addc_co_u32_e32 v25, vcc, v9, v4, vcc
	v_add_co_u32_e32 v26, vcc, v8, v12
	v_addc_co_u32_e32 v27, vcc, v9, v13, vcc
	s_mov_b64 s[34:35], 0
.LBB6_28429:                            ;   Parent Loop BB6_47 Depth=1
                                        ;     Parent Loop BB6_28337 Depth=2
                                        ;       Parent Loop BB6_28340 Depth=3
                                        ; =>      This Loop Header: Depth=4
                                        ;           Child Loop BB6_28430 Depth 5
	global_load_dwordx4 v[8:11], v[5:6], off glc slc
	s_mov_b64 s[36:37], -1
	s_mov_b64 s[38:39], 0
	s_waitcnt vmcnt(0)
.LBB6_28430:                            ;   Parent Loop BB6_47 Depth=1
                                        ;     Parent Loop BB6_28337 Depth=2
                                        ;       Parent Loop BB6_28340 Depth=3
                                        ;         Parent Loop BB6_28429 Depth=4
                                        ; =>        This Inner Loop Header: Depth=5
	s_cmp_eq_u32 s38, 1
	s_cselect_b64 s[28:29], -1, 0
	v_cndmask_b32_e64 v29, v25, v27, s[28:29]
	v_cndmask_b32_e64 v28, v24, v26, s[28:29]
	global_store_dwordx4 v[28:29], v[8:11], off glc slc
	v_add_co_u32_e32 v28, vcc, 0x400, v28
	s_cmp_eq_u32 s38, 0
	v_addc_co_u32_e32 v29, vcc, 0, v29, vcc
	s_cselect_b64 vcc, -1, 0
	s_and_b64 s[40:41], exec, s[36:37]
	s_mov_b64 s[38:39], 1
	v_cndmask_b32_e64 v26, v26, v28, s[28:29]
	s_mov_b64 s[36:37], 0
	v_cndmask_b32_e64 v27, v27, v29, s[28:29]
	v_cndmask_b32_e32 v25, v25, v29, vcc
	v_cndmask_b32_e32 v24, v24, v28, vcc
	s_mov_b64 vcc, s[40:41]
	s_cbranch_vccnz .LBB6_28430
; %bb.28431:                            ;   in Loop: Header=BB6_28429 Depth=4
	buffer_load_dword v8, off, s[0:3], s33 offset:484 ; 4-byte Folded Reload
	buffer_load_dword v9, off, s[0:3], s33 offset:488 ; 4-byte Folded Reload
	s_waitcnt vmcnt(1)
	v_add_co_u32_e32 v24, vcc, v24, v8
	s_waitcnt vmcnt(0)
	v_addc_co_u32_e32 v25, vcc, v25, v9, vcc
	v_add_co_u32_e32 v26, vcc, v26, v8
	buffer_load_dword v8, off, s[0:3], s33 offset:492 ; 4-byte Folded Reload
	v_addc_co_u32_e32 v27, vcc, v27, v9, vcc
	s_waitcnt vmcnt(0)
	v_add_co_u32_e32 v5, vcc, v8, v5
	buffer_load_dword v8, off, s[0:3], s33 offset:496 ; 4-byte Folded Reload
	s_waitcnt vmcnt(0)
	v_addc_co_u32_e32 v6, vcc, v8, v6, vcc
	buffer_load_dword v8, off, s[0:3], s33 offset:444 ; 4-byte Folded Reload
	s_waitcnt vmcnt(0)
	v_sub_u32_e32 v23, v23, v8
	buffer_load_dword v8, off, s[0:3], s33 offset:284 ; 4-byte Folded Reload
	v_cmp_gt_i32_e32 vcc, 16, v23
	s_or_b64 s[34:35], vcc, s[34:35]
	s_waitcnt vmcnt(0)
	v_sub_u32_e32 v22, v22, v8
	s_andn2_b64 exec, exec, s[34:35]
	s_cbranch_execnz .LBB6_28429
; %bb.28432:                            ;   in Loop: Header=BB6_28340 Depth=3
	s_or_b64 exec, exec, s[34:35]
.LBB6_28433:                            ;   in Loop: Header=BB6_28340 Depth=3
	s_or_b64 exec, exec, s[30:31]
	v_and_b32_e32 v5, 15, v18
	v_sub_u32_e32 v6, v21, v5
	v_cndmask_b32_e64 v6, 0, v6, s[26:27]
	v_add3_u32 v11, v19, v7, v6
	v_cndmask_b32_e64 v19, v21, v5, s[26:27]
	buffer_load_dword v5, off, s[0:3], s33 offset:284 ; 4-byte Folded Reload
	v_cmp_lt_i32_e32 vcc, 0, v22
	s_waitcnt vmcnt(0)
	v_cndmask_b32_e32 v5, 0, v5, vcc
	v_sub_u32_e32 v5, v5, v22
	v_cmp_ne_u32_e32 vcc, 0, v19
	v_lshl_add_u32 v20, v5, 6, v20
	s_and_b64 s[26:27], vcc, exec
.LBB6_28434:                            ;   in Loop: Header=BB6_28340 Depth=3
	s_or_b64 exec, exec, s[94:95]
	s_and_saveexec_b64 s[40:41], s[26:27]
	s_cbranch_execz .LBB6_28445
.LBB6_28435:                            ;   in Loop: Header=BB6_28340 Depth=3
	s_waitcnt vmcnt(0)
	v_ashrrev_i32_e32 v5, 31, v20
	v_ashrrev_i32_e32 v6, 31, v19
	v_lshrrev_b32_e32 v5, 26, v5
	v_lshrrev_b32_e32 v6, 21, v6
	v_add_u32_e32 v5, v20, v5
	v_add_u32_e32 v6, v19, v6
	v_ashrrev_i32_e32 v21, 6, v5
	v_ashrrev_i32_e32 v23, 11, v6
	v_sub_u32_e32 v22, v23, v21
	v_cmp_lt_i32_e32 vcc, 0, v22
	s_and_saveexec_b64 s[26:27], vcc
	s_cbranch_execz .LBB6_28439
; %bb.28436:                            ;   in Loop: Header=BB6_28340 Depth=3
	buffer_load_dword v47, off, s[0:3], s33 offset:284 ; 4-byte Folded Reload
	buffer_load_dword v56, off, s[0:3], s33 offset:396 ; 4-byte Folded Reload
	v_and_b32_e32 v5, 0xffffffc0, v5
	v_sub_u32_e32 v5, v20, v5
	v_lshlrev_b32_e32 v6, 11, v21
	v_add3_u32 v9, v11, v5, v6
	v_ashrrev_i32_e32 v10, 31, v9
	v_add_co_u32_e32 v5, vcc, v9, v3
	v_addc_co_u32_e32 v6, vcc, v10, v4, vcc
	v_add_co_u32_e32 v7, vcc, v9, v12
	v_addc_co_u32_e32 v8, vcc, v10, v13, vcc
	;; [unrolled: 2-line block ×4, first 2 shown]
	s_mov_b64 s[28:29], 0
.LBB6_28437:                            ;   Parent Loop BB6_47 Depth=1
                                        ;     Parent Loop BB6_28337 Depth=2
                                        ;       Parent Loop BB6_28340 Depth=3
                                        ; =>      This Inner Loop Header: Depth=4
	v_add_co_u32_e32 v12, vcc, 0xfffff840, v9
	v_addc_co_u32_e32 v13, vcc, -1, v10, vcc
	v_add_co_u32_e32 v24, vcc, 0xfffff880, v9
	v_addc_co_u32_e32 v25, vcc, -1, v10, vcc
	flat_load_ubyte v12, v[12:13] glc slc
	s_waitcnt vmcnt(0)
	v_sub_u32_e32 v22, v22, v47
	flat_load_ubyte v13, v[24:25] glc slc
	v_add_co_u32_e32 v24, vcc, 0xfffff8c0, v9
	v_addc_co_u32_e32 v25, vcc, -1, v10, vcc
	flat_load_ubyte v24, v[24:25] glc slc
	v_add_co_u32_e32 v25, vcc, 0xfffff900, v9
	v_addc_co_u32_e32 v26, vcc, -1, v10, vcc
	;; [unrolled: 3-line block ×8, first 2 shown]
	v_add_co_u32_e32 v34, vcc, 0xfffffac0, v9
	v_addc_co_u32_e32 v35, vcc, -1, v10, vcc
	flat_load_ubyte v31, v[31:32] glc slc
	s_nop 0
	flat_load_ubyte v32, v[34:35] glc slc
	v_add_co_u32_e32 v34, vcc, 0xfffffb00, v9
	v_addc_co_u32_e32 v35, vcc, -1, v10, vcc
	flat_load_ubyte v34, v[34:35] glc slc
	v_add_co_u32_e32 v35, vcc, 0xfffffb40, v9
	v_addc_co_u32_e32 v36, vcc, -1, v10, vcc
	;; [unrolled: 3-line block ×5, first 2 shown]
	v_add_co_u32_e32 v48, vcc, 0xfffffc40, v9
	v_addc_co_u32_e32 v49, vcc, -1, v10, vcc
	flat_load_ubyte v38, v[38:39] glc slc
	s_nop 0
	flat_load_ubyte v39, v[48:49] glc slc
	v_add_co_u32_e32 v48, vcc, 0xfffffc80, v9
	v_addc_co_u32_e32 v49, vcc, -1, v10, vcc
	flat_load_ubyte v48, v[48:49] glc slc
	v_add_co_u32_e32 v49, vcc, 0xfffffcc0, v9
	v_addc_co_u32_e32 v50, vcc, -1, v10, vcc
	;; [unrolled: 3-line block ×7, first 2 shown]
	v_add_co_u32_e32 v40, vcc, 0xfffffe40, v9
	v_addc_co_u32_e32 v41, vcc, -1, v10, vcc
	flat_load_ubyte v54, v[54:55] glc slc
	s_nop 0
	flat_load_ubyte v55, v[40:41] glc slc
	v_add_co_u32_e32 v40, vcc, 0xfffffe80, v9
	v_addc_co_u32_e32 v41, vcc, -1, v10, vcc
	flat_load_ubyte v40, v[40:41] glc slc
	v_add_co_u32_e32 v41, vcc, 0xfffffec0, v9
	v_addc_co_u32_e32 v42, vcc, -1, v10, vcc
	;; [unrolled: 3-line block ×6, first 2 shown]
	flat_load_ubyte v45, v[45:46] glc slc
	s_nop 0
	flat_load_ubyte v46, v[9:10] glc slc
	s_waitcnt lgkmcnt(0)
	flat_store_byte v[5:6], v12 glc slc
	s_waitcnt vmcnt(0)
	flat_store_byte v[5:6], v13 offset:64 glc slc
	flat_store_byte v[5:6], v24 offset:128 glc slc
	;; [unrolled: 1-line block ×31, first 2 shown]
	flat_store_byte v[7:8], v12 glc slc
	flat_store_byte v[7:8], v13 offset:64 glc slc
	flat_store_byte v[7:8], v24 offset:128 glc slc
	;; [unrolled: 1-line block ×31, first 2 shown]
	v_add_co_u32_e32 v5, vcc, v5, v56
	v_addc_co_u32_e32 v6, vcc, 0, v6, vcc
	v_add_co_u32_e32 v7, vcc, v7, v56
	v_addc_co_u32_e32 v8, vcc, 0, v8, vcc
	;; [unrolled: 2-line block ×3, first 2 shown]
	v_cmp_gt_i32_e32 vcc, 1, v22
	s_or_b64 s[28:29], vcc, s[28:29]
	s_andn2_b64 exec, exec, s[28:29]
	s_cbranch_execnz .LBB6_28437
; %bb.28438:                            ;   in Loop: Header=BB6_28340 Depth=3
	s_or_b64 exec, exec, s[28:29]
.LBB6_28439:                            ;   in Loop: Header=BB6_28340 Depth=3
	s_or_b64 exec, exec, s[26:27]
	v_lshlrev_b32_e32 v5, 11, v23
	v_cmp_ne_u32_e32 vcc, v19, v5
	s_and_b64 exec, exec, vcc
	s_cbranch_execz .LBB6_28445
; %bb.28440:                            ;   in Loop: Header=BB6_28340 Depth=3
	v_lshlrev_b32_e32 v6, 6, v21
	v_sub_u32_e32 v6, v20, v6
	v_lshlrev_b32_e32 v7, 6, v22
	v_sub_u32_e32 v6, v6, v7
	v_add_u32_e32 v5, v5, v6
	v_sub_u32_e32 v7, v19, v5
	v_cmp_lt_i32_e32 vcc, 0, v7
	s_and_b64 exec, exec, vcc
	s_cbranch_execz .LBB6_28445
; %bb.28441:                            ;   in Loop: Header=BB6_28340 Depth=3
	v_add_u32_e32 v12, v5, v11
	s_trap 2
	ds_read_b64 v[5:6], v0
	ds_read_b128 v[8:11], v0
	v_ashrrev_i32_e32 v13, 31, v12
	s_mov_b64 s[94:95], 0
	s_waitcnt lgkmcnt(0)
	v_add_co_u32_e32 v5, vcc, v5, v12
	v_addc_co_u32_e32 v6, vcc, v6, v13, vcc
	v_add_co_u32_e32 v8, vcc, v8, v12
	v_addc_co_u32_e32 v9, vcc, v9, v13, vcc
	;; [unrolled: 2-line block ×3, first 2 shown]
.LBB6_28442:                            ;   Parent Loop BB6_47 Depth=1
                                        ;     Parent Loop BB6_28337 Depth=2
                                        ;       Parent Loop BB6_28340 Depth=3
                                        ; =>      This Loop Header: Depth=4
                                        ;           Child Loop BB6_28443 Depth 5
	flat_load_ubyte v12, v[5:6] glc slc
	s_mov_b64 s[30:31], -1
	s_mov_b64 s[34:35], 0
	s_waitcnt vmcnt(0)
.LBB6_28443:                            ;   Parent Loop BB6_47 Depth=1
                                        ;     Parent Loop BB6_28337 Depth=2
                                        ;       Parent Loop BB6_28340 Depth=3
                                        ;         Parent Loop BB6_28442 Depth=4
                                        ; =>        This Inner Loop Header: Depth=5
	s_cmp_eq_u32 s34, 1
	s_cselect_b64 vcc, -1, 0
	v_cndmask_b32_e32 v19, v8, v10, vcc
	v_cndmask_b32_e32 v20, v9, v11, vcc
	v_add_co_u32_e64 v13, s[26:27], 64, v19
	s_cmp_eq_u32 s34, 0
	s_waitcnt lgkmcnt(0)
	flat_store_byte v[19:20], v12 glc slc
	v_addc_co_u32_e64 v19, s[26:27], 0, v20, s[26:27]
	s_cselect_b64 s[26:27], -1, 0
	s_and_b64 s[28:29], exec, s[30:31]
	s_mov_b64 s[34:35], 1
	s_mov_b64 s[30:31], 0
	v_cndmask_b32_e32 v11, v11, v19, vcc
	v_cndmask_b32_e32 v10, v10, v13, vcc
	v_cndmask_b32_e64 v9, v9, v19, s[26:27]
	v_cndmask_b32_e64 v8, v8, v13, s[26:27]
	s_mov_b64 vcc, s[28:29]
	s_cbranch_vccnz .LBB6_28443
; %bb.28444:                            ;   in Loop: Header=BB6_28442 Depth=4
	buffer_load_dword v12, off, s[0:3], s33 offset:460 ; 4-byte Folded Reload
	buffer_load_dword v13, off, s[0:3], s33 offset:464 ; 4-byte Folded Reload
	s_waitcnt vmcnt(0)
	v_add_co_u32_e32 v8, vcc, v8, v12
	v_addc_co_u32_e32 v9, vcc, v9, v13, vcc
	v_add_co_u32_e32 v10, vcc, v10, v12
	buffer_load_dword v12, off, s[0:3], s33 offset:404 ; 4-byte Folded Reload
	v_addc_co_u32_e32 v11, vcc, v11, v13, vcc
	s_waitcnt vmcnt(0)
	v_sub_u32_e32 v7, v7, v12
	buffer_load_dword v12, off, s[0:3], s33 offset:468 ; 4-byte Folded Reload
	v_cmp_gt_i32_e32 vcc, 1, v7
	s_or_b64 s[94:95], vcc, s[94:95]
	s_waitcnt vmcnt(0)
	v_add_co_u32_e32 v5, vcc, v12, v5
	buffer_load_dword v12, off, s[0:3], s33 offset:472 ; 4-byte Folded Reload
	s_waitcnt vmcnt(0)
	v_addc_co_u32_e32 v6, vcc, v12, v6, vcc
	s_andn2_b64 exec, exec, s[94:95]
	s_cbranch_execnz .LBB6_28442
.LBB6_28445:                            ;   in Loop: Header=BB6_28340 Depth=3
	s_or_b64 exec, exec, s[40:41]
	s_branch .LBB6_28421
.LBB6_28446:                            ;   in Loop: Header=BB6_28340 Depth=3
	s_mov_b64 s[26:27], -1
	s_and_saveexec_b64 s[28:29], s[16:17]
	s_cbranch_execz .LBB6_28448
; %bb.28447:                            ;   in Loop: Header=BB6_28340 Depth=3
	ds_read_b32 v5, v0 offset:720
	s_waitcnt lgkmcnt(0)
	v_and_b32_e32 v5, 15, v5
	v_cmp_eq_u32_e32 vcc, 0, v5
	s_orn2_b64 s[26:27], vcc, exec
.LBB6_28448:                            ;   in Loop: Header=BB6_28340 Depth=3
	s_or_b64 exec, exec, s[28:29]
	s_and_saveexec_b64 s[28:29], s[14:15]
	s_cbranch_execz .LBB6_28450
; %bb.28449:                            ;   in Loop: Header=BB6_28340 Depth=3
	ds_read_b32 v5, v0 offset:784
	s_waitcnt lgkmcnt(0)
	v_and_b32_e32 v5, 15, v5
	v_cmp_eq_u32_e32 vcc, 0, v5
	s_and_b64 s[40:41], s[26:27], vcc
	s_andn2_b64 s[26:27], s[26:27], exec
	s_and_b64 s[40:41], s[40:41], exec
	s_or_b64 s[26:27], s[26:27], s[40:41]
.LBB6_28450:                            ;   in Loop: Header=BB6_28340 Depth=3
	s_or_b64 exec, exec, s[28:29]
	buffer_load_dword v7, off, s[0:3], s33 offset:480 ; 4-byte Folded Reload
	s_xor_b64 s[26:27], s[26:27], -1
	v_cndmask_b32_e64 v6, 0, 1, s[26:27]
	s_mov_b64 s[40:41], -1
	v_mov_b32_e32 v5, 0
	v_cmp_ne_u32_e32 vcc, 0, v6
	v_mov_b32_e32 v6, v18
	s_cbranch_vccz .LBB6_28452
; %bb.28451:                            ;   in Loop: Header=BB6_28340 Depth=3
	s_and_saveexec_b64 s[26:27], s[40:41]
	s_cbranch_execnz .LBB6_28463
	s_branch .LBB6_28471
.LBB6_28452:                            ;   in Loop: Header=BB6_28340 Depth=3
	v_ashrrev_i32_e32 v5, 31, v18
	v_lshrrev_b32_e32 v5, 19, v5
	v_add_u32_e32 v5, v18, v5
	v_ashrrev_i32_e32 v10, 13, v5
	buffer_load_dword v5, off, s[0:3], s33 offset:524 ; 4-byte Folded Reload
	s_waitcnt vmcnt(0)
	v_sub_u32_e32 v9, v10, v5
	v_cmp_lt_i32_e32 vcc, 0, v9
	s_and_saveexec_b64 s[28:29], vcc
	s_cbranch_execz .LBB6_28456
; %bb.28453:                            ;   in Loop: Header=BB6_28340 Depth=3
	buffer_load_dword v13, off, s[0:3], s33 offset:284 ; 4-byte Folded Reload
	buffer_load_dword v46, off, s[0:3], s33 offset:684 ; 4-byte Folded Reload
	;; [unrolled: 1-line block ×3, first 2 shown]
	v_mov_b32_e32 v6, v4
	v_mov_b32_e32 v8, v2
	s_mov_b64 s[40:41], 0
	v_mov_b32_e32 v5, v3
	v_mov_b32_e32 v7, v1
.LBB6_28454:                            ;   Parent Loop BB6_47 Depth=1
                                        ;     Parent Loop BB6_28337 Depth=2
                                        ;       Parent Loop BB6_28340 Depth=3
                                        ; =>      This Inner Loop Header: Depth=4
	s_waitcnt vmcnt(0)
	v_add_co_u32_e32 v11, vcc, v47, v7
	v_addc_co_u32_e32 v12, vcc, 0, v8, vcc
	global_load_dwordx4 v[19:22], v[11:12], off glc slc
	global_load_dwordx4 v[23:26], v[11:12], off offset:1024 glc slc
	global_load_dwordx4 v[27:30], v[11:12], off offset:2048 glc slc
	;; [unrolled: 1-line block ×3, first 2 shown]
	v_add_co_u32_e32 v11, vcc, s9, v11
	v_addc_co_u32_e32 v12, vcc, 0, v12, vcc
	global_load_dwordx4 v[48:51], v[11:12], off glc slc
	global_load_dwordx4 v[52:55], v[11:12], off offset:1024 glc slc
	global_load_dwordx4 v[38:41], v[11:12], off offset:2048 glc slc
	;; [unrolled: 1-line block ×3, first 2 shown]
	v_add_co_u32_e32 v11, vcc, v47, v5
	v_addc_co_u32_e32 v12, vcc, 0, v6, vcc
	v_add_co_u32_e32 v7, vcc, v7, v46
	v_addc_co_u32_e32 v8, vcc, 0, v8, vcc
	v_sub_u32_e32 v9, v9, v13
	v_add_co_u32_e32 v5, vcc, v5, v46
	v_addc_co_u32_e32 v6, vcc, 0, v6, vcc
	v_cmp_gt_i32_e64 s[26:27], 1, v9
	v_add_co_u32_e32 v31, vcc, s9, v11
	s_or_b64 s[40:41], s[26:27], s[40:41]
	v_addc_co_u32_e32 v32, vcc, 0, v12, vcc
	s_waitcnt vmcnt(0)
	global_store_dwordx4 v[11:12], v[19:22], off glc slc
	global_store_dwordx4 v[11:12], v[23:26], off offset:1024 glc slc
	global_store_dwordx4 v[11:12], v[27:30], off offset:2048 glc slc
	;; [unrolled: 1-line block ×3, first 2 shown]
	global_store_dwordx4 v[31:32], v[48:51], off glc slc
	global_store_dwordx4 v[31:32], v[52:55], off offset:1024 glc slc
	global_store_dwordx4 v[31:32], v[38:41], off offset:2048 glc slc
	;; [unrolled: 1-line block ×3, first 2 shown]
	s_andn2_b64 exec, exec, s[40:41]
	s_cbranch_execnz .LBB6_28454
; %bb.28455:                            ;   in Loop: Header=BB6_28340 Depth=3
	s_or_b64 exec, exec, s[40:41]
.LBB6_28456:                            ;   in Loop: Header=BB6_28340 Depth=3
	s_or_b64 exec, exec, s[28:29]
	v_lshlrev_b32_e32 v8, 13, v10
	v_cmp_ne_u32_e32 vcc, v18, v8
	s_mov_b64 s[40:41], 0
	v_mov_b32_e32 v5, 0
                                        ; implicit-def: $vgpr6
                                        ; implicit-def: $vgpr7
	s_and_saveexec_b64 s[28:29], vcc
	s_cbranch_execz .LBB6_28462
; %bb.28457:                            ;   in Loop: Header=BB6_28340 Depth=3
	buffer_load_dword v7, off, s[0:3], s33 offset:688 ; 4-byte Folded Reload
	v_lshlrev_b32_e32 v5, 6, v9
	v_sub_u32_e32 v6, v18, v8
	s_waitcnt vmcnt(0)
	v_sub_u32_e32 v5, v7, v5
	v_ashrrev_i32_e32 v7, 31, v5
	v_lshrrev_b32_e32 v7, 26, v7
	v_add_u32_e32 v7, v5, v7
	v_ashrrev_i32_e32 v9, 6, v7
	v_and_b32_e32 v7, 0xffffffc0, v7
	v_sub_u32_e32 v7, v5, v7
	v_lshlrev_b32_e32 v5, 4, v7
	v_lshl_add_u32 v11, v9, 10, v5
	v_ashrrev_i32_e32 v5, 31, v6
	v_lshrrev_b32_e32 v5, 22, v5
	v_add_u32_e32 v5, v6, v5
	v_ashrrev_i32_e32 v12, 10, v5
	v_and_b32_e32 v5, 0xfffffc00, v5
	v_sub_u32_e32 v10, v6, v11
	v_sub_u32_e32 v6, v6, v5
	v_cmp_lt_i32_e32 vcc, 15, v6
	v_addc_co_u32_e64 v12, s[26:27], 0, v12, vcc
	v_sub_u32_e32 v9, v12, v9
	v_cmp_lt_i32_e64 s[26:27], 15, v10
	s_and_saveexec_b64 s[40:41], s[26:27]
	s_cbranch_execz .LBB6_28461
; %bb.28458:                            ;   in Loop: Header=BB6_28340 Depth=3
	buffer_load_dword v13, off, s[0:3], s33 offset:284 ; 4-byte Folded Reload
	buffer_load_dword v25, off, s[0:3], s33 offset:444 ; 4-byte Folded Reload
	v_add_u32_e32 v11, v11, v8
	v_ashrrev_i32_e32 v12, 31, v11
	s_mov_b64 s[94:95], 0
.LBB6_28459:                            ;   Parent Loop BB6_47 Depth=1
                                        ;     Parent Loop BB6_28337 Depth=2
                                        ;       Parent Loop BB6_28340 Depth=3
                                        ; =>      This Inner Loop Header: Depth=4
	v_add_co_u32_e64 v19, s[26:27], v1, v11
	v_addc_co_u32_e64 v20, s[26:27], v2, v12, s[26:27]
	global_load_dwordx4 v[19:22], v[19:20], off glc slc
	v_add_co_u32_e64 v23, s[26:27], v3, v11
	v_addc_co_u32_e64 v24, s[26:27], v4, v12, s[26:27]
	s_waitcnt vmcnt(0)
	v_add_co_u32_e64 v11, s[26:27], v11, v25
	v_sub_u32_e32 v10, v10, v25
	v_addc_co_u32_e64 v12, s[26:27], 0, v12, s[26:27]
	v_cmp_gt_i32_e64 s[26:27], 16, v10
	v_sub_u32_e32 v9, v9, v13
	s_or_b64 s[94:95], s[26:27], s[94:95]
	global_store_dwordx4 v[23:24], v[19:22], off glc slc
	s_andn2_b64 exec, exec, s[94:95]
	s_cbranch_execnz .LBB6_28459
; %bb.28460:                            ;   in Loop: Header=BB6_28340 Depth=3
	s_or_b64 exec, exec, s[94:95]
.LBB6_28461:                            ;   in Loop: Header=BB6_28340 Depth=3
	s_or_b64 exec, exec, s[40:41]
	v_and_b32_e32 v10, 15, v18
	v_sub_u32_e32 v11, v6, v10
	v_cndmask_b32_e32 v11, 0, v11, vcc
	v_add3_u32 v5, v5, v8, v11
	buffer_load_dword v8, off, s[0:3], s33 offset:284 ; 4-byte Folded Reload
	v_cndmask_b32_e32 v6, v6, v10, vcc
	v_cmp_lt_i32_e32 vcc, 0, v9
	s_waitcnt vmcnt(0)
	v_cndmask_b32_e32 v8, 0, v8, vcc
	v_sub_u32_e32 v8, v8, v9
	v_cmp_ne_u32_e32 vcc, 0, v6
	v_lshl_add_u32 v7, v8, 6, v7
	s_and_b64 s[40:41], vcc, exec
.LBB6_28462:                            ;   in Loop: Header=BB6_28340 Depth=3
	s_or_b64 exec, exec, s[28:29]
	s_and_saveexec_b64 s[26:27], s[40:41]
	s_cbranch_execz .LBB6_28471
.LBB6_28463:                            ;   in Loop: Header=BB6_28340 Depth=3
	s_waitcnt vmcnt(0)
	v_ashrrev_i32_e32 v8, 31, v7
	v_ashrrev_i32_e32 v9, 31, v6
	v_lshrrev_b32_e32 v8, 26, v8
	v_lshrrev_b32_e32 v9, 21, v9
	v_add_u32_e32 v11, v7, v8
	v_add_u32_e32 v9, v6, v9
	v_ashrrev_i32_e32 v8, 6, v11
	v_ashrrev_i32_e32 v10, 11, v9
	v_sub_u32_e32 v9, v10, v8
	v_cmp_lt_i32_e32 vcc, 0, v9
	s_and_saveexec_b64 s[28:29], vcc
	s_cbranch_execz .LBB6_28467
; %bb.28464:                            ;   in Loop: Header=BB6_28340 Depth=3
	buffer_load_dword v45, off, s[0:3], s33 offset:284 ; 4-byte Folded Reload
	buffer_load_dword v46, off, s[0:3], s33 offset:396 ; 4-byte Folded Reload
	v_and_b32_e32 v11, 0xffffffc0, v11
	v_sub_u32_e32 v11, v7, v11
	v_lshlrev_b32_e32 v12, 11, v8
	v_add3_u32 v11, v5, v11, v12
	v_ashrrev_i32_e32 v12, 31, v11
	s_mov_b64 s[40:41], 0
.LBB6_28465:                            ;   Parent Loop BB6_47 Depth=1
                                        ;     Parent Loop BB6_28337 Depth=2
                                        ;       Parent Loop BB6_28340 Depth=3
                                        ; =>      This Inner Loop Header: Depth=4
	v_add_co_u32_e32 v19, vcc, v11, v1
	v_addc_co_u32_e32 v20, vcc, v12, v2, vcc
	flat_load_ubyte v13, v[19:20] glc slc
	flat_load_ubyte v21, v[19:20] offset:64 glc slc
	flat_load_ubyte v22, v[19:20] offset:128 glc slc
	flat_load_ubyte v23, v[19:20] offset:192 glc slc
	flat_load_ubyte v24, v[19:20] offset:256 glc slc
	flat_load_ubyte v25, v[19:20] offset:320 glc slc
	flat_load_ubyte v26, v[19:20] offset:384 glc slc
	flat_load_ubyte v27, v[19:20] offset:448 glc slc
	flat_load_ubyte v28, v[19:20] offset:512 glc slc
	flat_load_ubyte v29, v[19:20] offset:576 glc slc
	flat_load_ubyte v30, v[19:20] offset:640 glc slc
	flat_load_ubyte v31, v[19:20] offset:704 glc slc
	flat_load_ubyte v32, v[19:20] offset:768 glc slc
	flat_load_ubyte v34, v[19:20] offset:832 glc slc
	flat_load_ubyte v35, v[19:20] offset:896 glc slc
	flat_load_ubyte v36, v[19:20] offset:960 glc slc
	flat_load_ubyte v37, v[19:20] offset:1024 glc slc
	flat_load_ubyte v38, v[19:20] offset:1088 glc slc
	flat_load_ubyte v39, v[19:20] offset:1152 glc slc
	flat_load_ubyte v48, v[19:20] offset:1216 glc slc
	flat_load_ubyte v49, v[19:20] offset:1280 glc slc
	flat_load_ubyte v50, v[19:20] offset:1344 glc slc
	flat_load_ubyte v51, v[19:20] offset:1408 glc slc
	flat_load_ubyte v52, v[19:20] offset:1472 glc slc
	flat_load_ubyte v53, v[19:20] offset:1536 glc slc
	flat_load_ubyte v54, v[19:20] offset:1600 glc slc
	flat_load_ubyte v55, v[19:20] offset:1664 glc slc
	flat_load_ubyte v40, v[19:20] offset:1728 glc slc
	flat_load_ubyte v41, v[19:20] offset:1792 glc slc
	flat_load_ubyte v42, v[19:20] offset:1856 glc slc
	flat_load_ubyte v43, v[19:20] offset:1920 glc slc
	flat_load_ubyte v44, v[19:20] offset:1984 glc slc
	v_add_co_u32_e32 v19, vcc, v11, v3
	v_addc_co_u32_e32 v20, vcc, v12, v4, vcc
	s_waitcnt vmcnt(0)
	v_add_co_u32_e32 v1, vcc, v1, v46
	v_addc_co_u32_e32 v2, vcc, 0, v2, vcc
	v_add_co_u32_e32 v3, vcc, v3, v46
	v_sub_u32_e32 v9, v9, v45
	v_addc_co_u32_e32 v4, vcc, 0, v4, vcc
	v_cmp_gt_i32_e32 vcc, 1, v9
	s_or_b64 s[40:41], vcc, s[40:41]
	s_waitcnt lgkmcnt(0)
	flat_store_byte v[19:20], v13 glc slc
	flat_store_byte v[19:20], v21 offset:64 glc slc
	flat_store_byte v[19:20], v22 offset:128 glc slc
	;; [unrolled: 1-line block ×31, first 2 shown]
	s_andn2_b64 exec, exec, s[40:41]
	s_cbranch_execnz .LBB6_28465
; %bb.28466:                            ;   in Loop: Header=BB6_28340 Depth=3
	s_or_b64 exec, exec, s[40:41]
.LBB6_28467:                            ;   in Loop: Header=BB6_28340 Depth=3
	s_or_b64 exec, exec, s[28:29]
	v_lshlrev_b32_e32 v1, 11, v10
	buffer_load_dword v10, off, s[0:3], s33 offset:404 ; 4-byte Folded Reload
	v_cmp_ne_u32_e32 vcc, v6, v1
	s_and_b64 s[28:29], exec, vcc
	s_mov_b64 exec, s[28:29]
	s_cbranch_execz .LBB6_28471
; %bb.28468:                            ;   in Loop: Header=BB6_28340 Depth=3
	v_lshlrev_b32_e32 v2, 6, v8
	v_sub_u32_e32 v2, v7, v2
	v_lshlrev_b32_e32 v3, 6, v9
	v_sub_u32_e32 v2, v2, v3
	v_add_u32_e32 v1, v1, v2
	v_sub_u32_e32 v3, v6, v1
	v_cmp_lt_i32_e32 vcc, 0, v3
	s_and_b64 exec, exec, vcc
	s_cbranch_execz .LBB6_28471
; %bb.28469:                            ;   in Loop: Header=BB6_28340 Depth=3
	v_add_u32_e32 v4, v1, v5
	s_trap 2
	ds_read_b64 v[1:2], v0
	v_ashrrev_i32_e32 v5, 31, v4
	s_mov_b64 s[28:29], 0
.LBB6_28470:                            ;   Parent Loop BB6_47 Depth=1
                                        ;     Parent Loop BB6_28337 Depth=2
                                        ;       Parent Loop BB6_28340 Depth=3
                                        ; =>      This Inner Loop Header: Depth=4
	s_waitcnt lgkmcnt(0)
	v_add_co_u32_e32 v6, vcc, v1, v4
	v_addc_co_u32_e32 v7, vcc, v2, v5, vcc
	flat_load_ubyte v8, v[6:7] glc slc
	s_waitcnt vmcnt(0)
	v_add_co_u32_e32 v4, vcc, v4, v10
	v_sub_u32_e32 v3, v3, v10
	v_addc_co_u32_e32 v5, vcc, 0, v5, vcc
	v_cmp_gt_i32_e32 vcc, 1, v3
	s_or_b64 s[28:29], vcc, s[28:29]
	s_waitcnt lgkmcnt(0)
	flat_store_byte v[6:7], v8 glc slc
	s_andn2_b64 exec, exec, s[28:29]
	s_cbranch_execnz .LBB6_28470
.LBB6_28471:                            ;   in Loop: Header=BB6_28340 Depth=3
	s_or_b64 exec, exec, s[26:27]
	v_cmp_lt_i32_e64 s[26:27], 0, v18
	s_and_saveexec_b64 s[28:29], s[12:13]
	s_cbranch_execz .LBB6_28416
.LBB6_28472:                            ;   in Loop: Header=BB6_28340 Depth=3
	s_and_saveexec_b64 s[40:41], s[58:59]
	s_xor_b64 s[40:41], exec, s[40:41]
	s_cbranch_execz .LBB6_28487
; %bb.28473:                            ;   in Loop: Header=BB6_28340 Depth=3
	s_and_saveexec_b64 s[94:95], s[6:7]
	s_cbranch_execz .LBB6_28486
; %bb.28474:                            ;   in Loop: Header=BB6_28340 Depth=3
	s_mov_b64 s[34:35], exec
	v_mbcnt_lo_u32_b32 v1, s34, 0
	v_mbcnt_hi_u32_b32 v1, s35, v1
	v_cmp_eq_u32_e32 vcc, 0, v1
	s_waitcnt vmcnt(0) lgkmcnt(0)
	buffer_wbinvl1_vol
	s_and_saveexec_b64 s[30:31], vcc
	s_cbranch_execz .LBB6_28476
; %bb.28475:                            ;   in Loop: Header=BB6_28340 Depth=3
	s_bcnt1_i32_b64 s62, s[34:35]
	v_mov_b32_e32 v1, s62
	v_mov_b32_e32 v2, v33
	ds_add_u64 v0, v[1:2]
	s_trap 2
.LBB6_28476:                            ;   in Loop: Header=BB6_28340 Depth=3
	s_or_b64 exec, exec, s[30:31]
	s_trap 2
	ds_read_b64 v[1:2], v0
	s_waitcnt lgkmcnt(0)
	buffer_load_dword v3, off, s[0:3], s33 offset:76 ; 4-byte Folded Reload
	buffer_load_dword v4, off, s[0:3], s33 offset:80 ; 4-byte Folded Reload
	;; [unrolled: 1-line block ×3, first 2 shown]
	s_waitcnt vmcnt(0)
	v_add_co_u32_e32 v3, vcc, v3, v5
	v_addc_co_u32_e32 v4, vcc, 0, v4, vcc
	buffer_store_dword v3, off, s[0:3], s33 offset:76 ; 4-byte Folded Spill
	s_nop 0
	buffer_store_dword v4, off, s[0:3], s33 offset:80 ; 4-byte Folded Spill
	v_cmp_lt_u64_e32 vcc, v[1:2], v[3:4]
	s_and_saveexec_b64 s[30:31], vcc
	s_cbranch_execz .LBB6_28485
; %bb.28477:                            ;   in Loop: Header=BB6_28340 Depth=3
	s_mov_b32 s62, 0
	s_mov_b64 s[34:35], 0
                                        ; implicit-def: $sgpr36_sgpr37
                                        ; implicit-def: $sgpr38_sgpr39
	s_branch .LBB6_28479
.LBB6_28478:                            ;   in Loop: Header=BB6_28479 Depth=4
	s_or_b64 exec, exec, s[50:51]
	s_and_b64 vcc, exec, vcc
	s_or_b64 s[34:35], vcc, s[34:35]
	s_andn2_b64 vcc, s[36:37], exec
	s_and_b64 s[36:37], s[38:39], exec
	s_or_b64 s[36:37], vcc, s[36:37]
	s_andn2_b64 exec, exec, s[34:35]
	s_cbranch_execz .LBB6_28483
.LBB6_28479:                            ;   Parent Loop BB6_47 Depth=1
                                        ;     Parent Loop BB6_28337 Depth=2
                                        ;       Parent Loop BB6_28340 Depth=3
                                        ; =>      This Inner Loop Header: Depth=4
	s_add_i32 s62, s62, 1
	s_cmpk_lg_i32 s62, 0x2710
	s_cselect_b64 s[48:49], -1, 0
	s_and_b64 vcc, exec, s[48:49]
	s_cbranch_vccz .LBB6_28481
; %bb.28480:                            ;   in Loop: Header=BB6_28479 Depth=4
	s_mov_b64 vcc, -1
	s_or_b64 s[38:39], s[38:39], exec
	s_and_saveexec_b64 s[50:51], s[48:49]
	s_cbranch_execz .LBB6_28478
	s_branch .LBB6_28482
.LBB6_28481:                            ;   in Loop: Header=BB6_28479 Depth=4
	s_trap 2
	ds_read_b64 v[1:2], v0
	s_andn2_b64 s[48:49], s[48:49], exec
	s_mov_b32 s62, 0
	s_waitcnt vmcnt(0) lgkmcnt(0)
	flat_load_dword v1, v[1:2] glc
	s_waitcnt vmcnt(0) lgkmcnt(0)
	buffer_wbinvl1_vol
	v_cmp_eq_u32_e32 vcc, 0, v1
	s_and_b64 vcc, vcc, exec
	s_or_b64 s[48:49], s[48:49], vcc
	s_mov_b64 vcc, -1
	s_or_b64 s[38:39], s[38:39], exec
	s_and_saveexec_b64 s[50:51], s[48:49]
	s_cbranch_execz .LBB6_28478
.LBB6_28482:                            ;   in Loop: Header=BB6_28479 Depth=4
	s_sleep 1
	s_trap 2
	ds_read_b64 v[1:2], v0
	s_waitcnt lgkmcnt(0)
	buffer_load_dword v3, off, s[0:3], s33 offset:76 ; 4-byte Folded Reload
	buffer_load_dword v4, off, s[0:3], s33 offset:80 ; 4-byte Folded Reload
	s_andn2_b64 s[38:39], s[38:39], exec
	s_waitcnt vmcnt(0)
	v_cmp_ge_u64_e32 vcc, v[1:2], v[3:4]
	s_orn2_b64 vcc, vcc, exec
	s_branch .LBB6_28478
.LBB6_28483:                            ;   in Loop: Header=BB6_28340 Depth=3
	s_or_b64 exec, exec, s[34:35]
	s_and_saveexec_b64 s[62:63], s[36:37]
	s_xor_b64 s[62:63], exec, s[62:63]
	s_cbranch_execz .LBB6_28485
; %bb.28484:                            ;   in Loop: Header=BB6_28340 Depth=3
	v_mov_b32_e32 v1, 1
	ds_write_b32 v0, v1
	s_trap 2
.LBB6_28485:                            ;   in Loop: Header=BB6_28340 Depth=3
	s_or_b64 exec, exec, s[30:31]
	;;#ASMSTART
	s_wakeup
	;;#ASMEND
.LBB6_28486:                            ;   in Loop: Header=BB6_28340 Depth=3
	s_or_b64 exec, exec, s[94:95]
.LBB6_28487:                            ;   in Loop: Header=BB6_28340 Depth=3
	s_andn2_saveexec_b64 s[40:41], s[40:41]
	s_cbranch_execz .LBB6_28489
; %bb.28488:                            ;   in Loop: Header=BB6_28340 Depth=3
	s_waitcnt vmcnt(0) lgkmcnt(0)
	buffer_wbinvl1_vol
	s_barrier
.LBB6_28489:                            ;   in Loop: Header=BB6_28340 Depth=3
	s_or_b64 exec, exec, s[40:41]
	s_or_b64 exec, exec, s[28:29]
                                        ; implicit-def: $vgpr1
	s_and_saveexec_b64 s[28:29], s[18:19]
	s_xor_b64 s[28:29], exec, s[28:29]
	s_cbranch_execnz .LBB6_28417
.LBB6_28490:                            ;   in Loop: Header=BB6_28340 Depth=3
	s_andn2_saveexec_b64 s[26:27], s[28:29]
	s_cbranch_execz .LBB6_28509
.LBB6_28491:                            ;   in Loop: Header=BB6_28340 Depth=3
	s_and_saveexec_b64 s[28:29], s[58:59]
	s_xor_b64 s[28:29], exec, s[28:29]
	s_cbranch_execz .LBB6_28506
; %bb.28492:                            ;   in Loop: Header=BB6_28340 Depth=3
	s_and_saveexec_b64 s[40:41], s[6:7]
	s_cbranch_execz .LBB6_28505
; %bb.28493:                            ;   in Loop: Header=BB6_28340 Depth=3
	s_mov_b64 s[30:31], exec
	v_mbcnt_lo_u32_b32 v1, s30, 0
	v_mbcnt_hi_u32_b32 v1, s31, v1
	v_cmp_eq_u32_e32 vcc, 0, v1
	;;#ASMSTART
	s_waitcnt lgkmcnt(0) vmcnt(0)
	;;#ASMEND
	s_and_saveexec_b64 s[94:95], vcc
	s_cbranch_execz .LBB6_28495
; %bb.28494:                            ;   in Loop: Header=BB6_28340 Depth=3
	s_bcnt1_i32_b64 s62, s[30:31]
	v_mov_b32_e32 v1, s62
	v_mov_b32_e32 v2, v33
	s_waitcnt lgkmcnt(0)
	ds_add_u64 v0, v[1:2]
	s_trap 2
.LBB6_28495:                            ;   in Loop: Header=BB6_28340 Depth=3
	s_or_b64 exec, exec, s[94:95]
	s_trap 2
	ds_read_b64 v[1:2], v0
	s_waitcnt lgkmcnt(0)
	buffer_load_dword v3, off, s[0:3], s33 offset:76 ; 4-byte Folded Reload
	buffer_load_dword v4, off, s[0:3], s33 offset:80 ; 4-byte Folded Reload
	;; [unrolled: 1-line block ×3, first 2 shown]
	s_waitcnt vmcnt(0)
	v_add_co_u32_e32 v3, vcc, v3, v5
	v_addc_co_u32_e32 v4, vcc, 0, v4, vcc
	buffer_store_dword v3, off, s[0:3], s33 offset:76 ; 4-byte Folded Spill
	s_nop 0
	buffer_store_dword v4, off, s[0:3], s33 offset:80 ; 4-byte Folded Spill
	v_cmp_lt_u64_e32 vcc, v[1:2], v[3:4]
	s_and_saveexec_b64 s[94:95], vcc
	s_cbranch_execz .LBB6_28504
; %bb.28496:                            ;   in Loop: Header=BB6_28340 Depth=3
	s_mov_b32 s62, 0
	s_mov_b64 s[30:31], 0
                                        ; implicit-def: $sgpr34_sgpr35
                                        ; implicit-def: $sgpr36_sgpr37
	s_branch .LBB6_28498
.LBB6_28497:                            ;   in Loop: Header=BB6_28498 Depth=4
	s_or_b64 exec, exec, s[48:49]
	s_and_b64 vcc, exec, vcc
	s_or_b64 s[30:31], vcc, s[30:31]
	s_andn2_b64 vcc, s[34:35], exec
	s_and_b64 s[34:35], s[36:37], exec
	s_or_b64 s[34:35], vcc, s[34:35]
	s_andn2_b64 exec, exec, s[30:31]
	s_cbranch_execz .LBB6_28502
.LBB6_28498:                            ;   Parent Loop BB6_47 Depth=1
                                        ;     Parent Loop BB6_28337 Depth=2
                                        ;       Parent Loop BB6_28340 Depth=3
                                        ; =>      This Inner Loop Header: Depth=4
	s_add_i32 s62, s62, 1
	s_cmpk_lg_i32 s62, 0x2710
	s_cselect_b64 s[38:39], -1, 0
	s_and_b64 vcc, exec, s[38:39]
	s_cbranch_vccz .LBB6_28500
; %bb.28499:                            ;   in Loop: Header=BB6_28498 Depth=4
	s_mov_b64 vcc, -1
	s_or_b64 s[36:37], s[36:37], exec
	s_and_saveexec_b64 s[48:49], s[38:39]
	s_cbranch_execz .LBB6_28497
	s_branch .LBB6_28501
.LBB6_28500:                            ;   in Loop: Header=BB6_28498 Depth=4
	s_trap 2
	ds_read_b64 v[1:2], v0
	s_andn2_b64 s[38:39], s[38:39], exec
	s_mov_b32 s62, 0
	s_waitcnt vmcnt(0) lgkmcnt(0)
	flat_load_dword v1, v[1:2] glc
	s_waitcnt vmcnt(0) lgkmcnt(0)
	buffer_wbinvl1_vol
	v_cmp_eq_u32_e32 vcc, 0, v1
	s_and_b64 vcc, vcc, exec
	s_or_b64 s[38:39], s[38:39], vcc
	s_mov_b64 vcc, -1
	s_or_b64 s[36:37], s[36:37], exec
	s_and_saveexec_b64 s[48:49], s[38:39]
	s_cbranch_execz .LBB6_28497
.LBB6_28501:                            ;   in Loop: Header=BB6_28498 Depth=4
	s_sleep 1
	s_trap 2
	ds_read_b64 v[1:2], v0
	s_waitcnt lgkmcnt(0)
	buffer_load_dword v3, off, s[0:3], s33 offset:76 ; 4-byte Folded Reload
	buffer_load_dword v4, off, s[0:3], s33 offset:80 ; 4-byte Folded Reload
	s_andn2_b64 s[36:37], s[36:37], exec
	s_waitcnt vmcnt(0)
	v_cmp_ge_u64_e32 vcc, v[1:2], v[3:4]
	s_orn2_b64 vcc, vcc, exec
	s_branch .LBB6_28497
.LBB6_28502:                            ;   in Loop: Header=BB6_28340 Depth=3
	s_or_b64 exec, exec, s[30:31]
	s_and_saveexec_b64 s[62:63], s[34:35]
	s_xor_b64 s[62:63], exec, s[62:63]
	s_cbranch_execz .LBB6_28504
; %bb.28503:                            ;   in Loop: Header=BB6_28340 Depth=3
	v_mov_b32_e32 v1, 1
	ds_write_b32 v0, v1
	s_trap 2
.LBB6_28504:                            ;   in Loop: Header=BB6_28340 Depth=3
	s_or_b64 exec, exec, s[94:95]
	;;#ASMSTART
	s_wakeup
	;;#ASMEND
.LBB6_28505:                            ;   in Loop: Header=BB6_28340 Depth=3
	s_or_b64 exec, exec, s[40:41]
.LBB6_28506:                            ;   in Loop: Header=BB6_28340 Depth=3
	s_andn2_saveexec_b64 s[28:29], s[28:29]
	s_cbranch_execz .LBB6_28508
; %bb.28507:                            ;   in Loop: Header=BB6_28340 Depth=3
	;;#ASMSTART
	s_waitcnt lgkmcnt(0) vmcnt(0)
	;;#ASMEND
	s_waitcnt vmcnt(0) lgkmcnt(0)
	s_barrier
.LBB6_28508:                            ;   in Loop: Header=BB6_28340 Depth=3
	s_or_b64 exec, exec, s[28:29]
	buffer_load_dword v1, off, s[0:3], s33 offset:72 ; 4-byte Folded Reload
	s_waitcnt vmcnt(0)
	v_and_b32_e32 v1, 16, v1
.LBB6_28509:                            ;   in Loop: Header=BB6_28340 Depth=3
	s_or_b64 exec, exec, s[26:27]
	v_cmp_ne_u32_e32 vcc, 0, v1
	s_xor_b64 s[26:27], s[20:21], -1
	s_and_b64 s[28:29], vcc, s[26:27]
	s_and_saveexec_b64 s[26:27], s[28:29]
	s_cbranch_execz .LBB6_28511
; %bb.28510:                            ;   in Loop: Header=BB6_28340 Depth=3
	buffer_load_dword v1, off, s[0:3], s33 offset:436 ; 4-byte Folded Reload
	buffer_load_dword v2, off, s[0:3], s33 offset:440 ; 4-byte Folded Reload
	v_mov_b32_e32 v3, 1
	s_waitcnt vmcnt(0)
	flat_store_dword v[1:2], v3
.LBB6_28511:                            ;   in Loop: Header=BB6_28340 Depth=3
	s_or_b64 exec, exec, s[26:27]
	buffer_load_dword v1, off, s[0:3], s33 offset:72 ; 4-byte Folded Reload
	s_waitcnt vmcnt(0)
	v_and_b32_e32 v1, 48, v1
	v_cmp_ne_u32_e32 vcc, 0, v1
	s_and_saveexec_b64 s[26:27], vcc
	s_cbranch_execz .LBB6_28339
; %bb.28512:                            ;   in Loop: Header=BB6_28340 Depth=3
	buffer_load_dword v3, off, s[0:3], s33 offset:276 ; 4-byte Folded Reload
	buffer_load_dword v4, off, s[0:3], s33 offset:280 ; 4-byte Folded Reload
	;; [unrolled: 1-line block ×4, first 2 shown]
	s_waitcnt vmcnt(0)
	v_add_co_u32_e32 v3, vcc, 2, v3
	v_addc_co_u32_e32 v4, vcc, 0, v4, vcc
	buffer_store_dword v3, off, s[0:3], s33 offset:276 ; 4-byte Folded Spill
	s_nop 0
	buffer_store_dword v4, off, s[0:3], s33 offset:280 ; 4-byte Folded Spill
	flat_store_dwordx2 v[1:2], v[3:4]
	s_branch .LBB6_28339
.LBB6_28513:                            ;   in Loop: Header=BB6_28337 Depth=2
	s_or_b64 exec, exec, s[42:43]
	v_cmp_gt_i32_e32 vcc, 2, v3
	s_and_saveexec_b64 s[28:29], vcc
	s_cbranch_execz .LBB6_28589
.LBB6_28514:                            ;   in Loop: Header=BB6_28337 Depth=2
	v_cmp_eq_u32_e64 s[42:43], 0, v3
	s_mov_b64 s[40:41], 0
	s_branch .LBB6_28516
.LBB6_28515:                            ;   in Loop: Header=BB6_28516 Depth=3
	s_or_b64 exec, exec, s[26:27]
	v_add_u32_e32 v15, v0, v15
	s_mov_b64 s[42:43], 0
	s_andn2_b64 exec, exec, s[40:41]
	s_cbranch_execz .LBB6_28590
.LBB6_28516:                            ;   Parent Loop BB6_47 Depth=1
                                        ;     Parent Loop BB6_28337 Depth=2
                                        ; =>    This Loop Header: Depth=3
                                        ;         Child Loop BB6_28522 Depth 4
                                        ;         Child Loop BB6_28550 Depth 4
	;; [unrolled: 1-line block ×3, first 2 shown]
	v_sub_u32_e32 v1, v14, v15
	v_min_i32_e32 v0, v0, v1
	buffer_load_dword v1, off, s[0:3], s33 offset:72 ; 4-byte Folded Reload
	s_waitcnt vmcnt(0)
	v_and_b32_e32 v1, 12, v1
	v_cmp_ne_u32_e32 vcc, 0, v1
	s_and_saveexec_b64 s[90:91], vcc
	s_cbranch_execz .LBB6_28542
; %bb.28517:                            ;   in Loop: Header=BB6_28516 Depth=3
	buffer_load_dword v1, off, s[0:3], s33 offset:72 ; 4-byte Folded Reload
	s_waitcnt vmcnt(0)
	v_and_b32_e32 v10, 8, v1
	buffer_load_dword v1, off, s[0:3], s33 offset:56 ; 4-byte Folded Reload
	buffer_load_dword v2, off, s[0:3], s33 offset:60 ; 4-byte Folded Reload
	s_waitcnt vmcnt(0)
	v_add_co_u32_e32 v4, vcc, v1, v10
	v_addc_co_u32_e32 v5, vcc, 0, v2, vcc
	buffer_load_dword v2, off, s[0:3], s33 offset:276 ; 4-byte Folded Reload
	buffer_load_dword v3, off, s[0:3], s33 offset:280 ; 4-byte Folded Reload
	s_waitcnt vmcnt(0)
	v_add_co_u32_e32 v2, vcc, 2, v2
	v_addc_co_u32_e32 v3, vcc, 0, v3, vcc
	v_cmp_lt_u64_e32 vcc, v[4:5], v[2:3]
	s_and_saveexec_b64 s[92:93], vcc
	s_cbranch_execz .LBB6_28529
; %bb.28518:                            ;   in Loop: Header=BB6_28516 Depth=3
	buffer_load_dword v1, off, s[0:3], s33 offset:72 ; 4-byte Folded Reload
	s_mov_b32 s62, 0
	s_mov_b64 s[94:95], 0
                                        ; implicit-def: $sgpr30_sgpr31
                                        ; implicit-def: $sgpr34_sgpr35
                                        ; implicit-def: $sgpr36_sgpr37
	s_waitcnt vmcnt(0)
	v_and_b32_e32 v1, 64, v1
	v_cmp_eq_u32_e32 vcc, 0, v1
	s_branch .LBB6_28522
.LBB6_28519:                            ;   in Loop: Header=BB6_28522 Depth=4
	buffer_load_dword v4, off, s[0:3], s33 offset:56 ; 4-byte Folded Reload
	buffer_load_dword v5, off, s[0:3], s33 offset:60 ; 4-byte Folded Reload
	s_or_b64 s[50:51], s[50:51], exec
	s_waitcnt vmcnt(1)
	v_add_co_u32_e64 v4, s[26:27], v4, v10
	s_waitcnt vmcnt(0)
	v_addc_co_u32_e64 v5, s[26:27], 0, v5, s[26:27]
	v_cmp_ge_u64_e64 s[26:27], v[4:5], v[2:3]
	s_orn2_b64 s[48:49], s[26:27], exec
.LBB6_28520:                            ;   in Loop: Header=BB6_28522 Depth=4
	s_or_b64 exec, exec, s[54:55]
	s_andn2_b64 s[26:27], s[36:37], exec
	s_and_b64 s[36:37], s[50:51], exec
	s_or_b64 s[36:37], s[26:27], s[36:37]
	s_andn2_b64 s[26:27], s[34:35], exec
	s_and_b64 s[34:35], s[48:49], exec
	s_or_b64 s[34:35], s[26:27], s[34:35]
.LBB6_28521:                            ;   in Loop: Header=BB6_28522 Depth=4
	s_or_b64 exec, exec, s[38:39]
	s_and_b64 s[26:27], exec, s[34:35]
	s_or_b64 s[94:95], s[26:27], s[94:95]
	s_andn2_b64 s[26:27], s[30:31], exec
	s_and_b64 s[30:31], s[36:37], exec
	s_or_b64 s[30:31], s[26:27], s[30:31]
	s_andn2_b64 exec, exec, s[94:95]
	s_cbranch_execz .LBB6_28526
.LBB6_28522:                            ;   Parent Loop BB6_47 Depth=1
                                        ;     Parent Loop BB6_28337 Depth=2
                                        ;       Parent Loop BB6_28516 Depth=3
                                        ; =>      This Inner Loop Header: Depth=4
	s_sleep 1
	buffer_load_dword v4, off, s[0:3], s33 offset:64 ; 4-byte Folded Reload
	buffer_load_dword v5, off, s[0:3], s33 offset:68 ; 4-byte Folded Reload
	s_or_b64 s[36:37], s[36:37], exec
	s_or_b64 s[34:35], s[34:35], exec
                                        ; implicit-def: $vgpr1
	s_waitcnt vmcnt(0)
	flat_load_dwordx2 v[4:5], v[4:5] glc
	s_waitcnt vmcnt(0) lgkmcnt(0)
	buffer_store_dword v4, off, s[0:3], s33 offset:56 ; 4-byte Folded Spill
	s_nop 0
	buffer_store_dword v5, off, s[0:3], s33 offset:60 ; 4-byte Folded Spill
	s_and_saveexec_b64 s[38:39], vcc
	s_cbranch_execz .LBB6_28521
; %bb.28523:                            ;   in Loop: Header=BB6_28522 Depth=4
	s_cmpk_lt_i32 s62, 0x270f
	s_cselect_b64 s[52:53], -1, 0
	s_cmpk_gt_i32 s62, 0x270e
	s_mov_b64 s[48:49], -1
	s_cbranch_scc0 .LBB6_28525
; %bb.28524:                            ;   in Loop: Header=BB6_28522 Depth=4
	s_trap 2
	ds_read_b64 v[4:5], v0
	s_andn2_b64 s[52:53], s[52:53], exec
	s_mov_b32 s62, 0
	s_mov_b64 s[50:51], 0
	s_waitcnt vmcnt(0) lgkmcnt(0)
	flat_load_dword v1, v[4:5] glc
	s_waitcnt vmcnt(0) lgkmcnt(0)
	buffer_wbinvl1_vol
	v_cmp_eq_u32_e64 s[26:27], 0, v1
	s_and_b64 s[26:27], s[26:27], exec
	s_or_b64 s[52:53], s[52:53], s[26:27]
	s_and_saveexec_b64 s[54:55], s[52:53]
	s_cbranch_execz .LBB6_28520
	s_branch .LBB6_28519
.LBB6_28525:                            ;   in Loop: Header=BB6_28522 Depth=4
	s_add_i32 s62, s62, 1
	s_mov_b64 s[50:51], -1
                                        ; implicit-def: $vgpr1
	s_and_saveexec_b64 s[54:55], s[52:53]
	s_cbranch_execz .LBB6_28520
	s_branch .LBB6_28519
.LBB6_28526:                            ;   in Loop: Header=BB6_28516 Depth=3
	s_or_b64 exec, exec, s[94:95]
	s_xor_b64 s[26:27], s[30:31], -1
	s_and_saveexec_b64 s[62:63], s[26:27]
	s_xor_b64 s[26:27], exec, s[62:63]
	s_cbranch_execz .LBB6_28528
; %bb.28527:                            ;   in Loop: Header=BB6_28516 Depth=3
	ds_write_b32 v0, v1
	s_trap 2
	buffer_load_dword v1, off, s[0:3], s33 offset:72 ; 4-byte Folded Reload
	s_waitcnt vmcnt(0)
	v_or_b32_e32 v1, 64, v1
	buffer_store_dword v1, off, s[0:3], s33 offset:72 ; 4-byte Folded Spill
.LBB6_28528:                            ;   in Loop: Header=BB6_28516 Depth=3
	s_or_b64 exec, exec, s[26:27]
.LBB6_28529:                            ;   in Loop: Header=BB6_28516 Depth=3
	s_or_b64 exec, exec, s[92:93]
	;;#ASMSTART
	s_wakeup
	;;#ASMEND
	buffer_load_dword v1, off, s[0:3], s33 offset:72 ; 4-byte Folded Reload
                                        ; implicit-def: $vgpr4_vgpr5
	s_waitcnt vmcnt(0)
	v_and_b32_e32 v1, 0x108, v1
	v_cmp_ne_u32_e32 vcc, s69, v1
	s_and_saveexec_b64 s[26:27], vcc
	s_xor_b64 s[26:27], exec, s[26:27]
	s_cbranch_execz .LBB6_28531
; %bb.28530:                            ;   in Loop: Header=BB6_28516 Depth=3
	buffer_load_dword v4, off, s[0:3], s33 offset:276 ; 4-byte Folded Reload
	buffer_load_dword v5, off, s[0:3], s33 offset:280 ; 4-byte Folded Reload
	s_waitcnt vmcnt(0)
	v_mov_b32_e32 v5, v33
                                        ; implicit-def: $vgpr6_vgpr7
                                        ; kill: killed $vgpr6_vgpr7
	v_and_b32_e32 v4, 7, v4
.LBB6_28531:                            ;   in Loop: Header=BB6_28516 Depth=3
	s_andn2_saveexec_b64 s[26:27], s[26:27]
	s_cbranch_execz .LBB6_28533
; %bb.28532:                            ;   in Loop: Header=BB6_28516 Depth=3
	buffer_load_dword v4, off, s[0:3], s33 offset:276 ; 4-byte Folded Reload
	buffer_load_dword v5, off, s[0:3], s33 offset:280 ; 4-byte Folded Reload
	;; [unrolled: 1-line block ×6, first 2 shown]
	v_ashrrev_i32_e32 v1, 31, v0
	s_waitcnt vmcnt(0)
	v_and_b32_e32 v4, 7, v4
	v_mad_u64_u32 v[6:7], s[62:63], v4, 24, v[5:6]
	v_mov_b32_e32 v5, v33
	flat_store_dwordx2 v[6:7], v[0:1] offset:8
.LBB6_28533:                            ;   in Loop: Header=BB6_28516 Depth=3
	s_or_b64 exec, exec, s[26:27]
	buffer_load_dword v1, off, s[0:3], s33 offset:72 ; 4-byte Folded Reload
	s_mov_b64 s[26:27], -1
                                        ; implicit-def: $vgpr6_vgpr7
	s_waitcnt vmcnt(0)
	v_and_b32_e32 v1, 0x100, v1
	v_cmp_ne_u32_e32 vcc, 0, v1
	s_and_saveexec_b64 s[92:93], vcc
	s_cbranch_execz .LBB6_28537
; %bb.28534:                            ;   in Loop: Header=BB6_28516 Depth=3
	buffer_load_dword v6, off, s[0:3], s33 offset:420 ; 4-byte Folded Reload
	buffer_load_dword v7, off, s[0:3], s33 offset:424 ; 4-byte Folded Reload
	;; [unrolled: 1-line block ×4, first 2 shown]
	s_waitcnt vmcnt(0)
	v_mad_u64_u32 v[8:9], s[26:27], v4, 24, v[6:7]
	v_mov_b32_e32 v1, v9
	v_mad_u64_u32 v[6:7], s[26:27], v5, 24, v[1:2]
	v_mov_b32_e32 v9, v6
	flat_load_dword v1, v[8:9]
                                        ; implicit-def: $vgpr6_vgpr7
	s_waitcnt vmcnt(0) lgkmcnt(0)
	v_cmp_ne_u32_e32 vcc, 1, v1
	v_cmp_eq_u32_e64 s[26:27], 1, v1
	s_and_saveexec_b64 s[94:95], s[26:27]
	s_cbranch_execz .LBB6_28536
; %bb.28535:                            ;   in Loop: Header=BB6_28516 Depth=3
	flat_load_dword v6, v[8:9] offset:4 glc
	s_waitcnt vmcnt(0) lgkmcnt(0)
	v_ashrrev_i32_e32 v7, 31, v6
.LBB6_28536:                            ;   in Loop: Header=BB6_28516 Depth=3
	s_or_b64 exec, exec, s[94:95]
	s_orn2_b64 s[26:27], vcc, exec
.LBB6_28537:                            ;   in Loop: Header=BB6_28516 Depth=3
	s_or_b64 exec, exec, s[92:93]
	s_and_saveexec_b64 s[92:93], s[26:27]
	s_cbranch_execz .LBB6_28539
; %bb.28538:                            ;   in Loop: Header=BB6_28516 Depth=3
	buffer_load_dword v6, off, s[0:3], s33 offset:456 ; 4-byte Folded Reload
	s_waitcnt vmcnt(0)
	v_mul_lo_u32 v1, v5, v6
	buffer_load_dword v5, off, s[0:3], s33 offset:476 ; 4-byte Folded Reload
	v_mad_u64_u32 v[6:7], s[26:27], v4, v6, 0
	s_waitcnt vmcnt(0)
	v_mul_lo_u32 v5, v4, v5
	v_add3_u32 v7, v7, v5, v1
.LBB6_28539:                            ;   in Loop: Header=BB6_28516 Depth=3
	s_or_b64 exec, exec, s[92:93]
	v_cmp_eq_u32_e32 vcc, 0, v10
	v_mov_b32_e32 v1, 0xd0
	v_mov_b32_e32 v4, 0x88
	v_cndmask_b32_e32 v1, v1, v4, vcc
	buffer_load_dword v4, off, s[0:3], s33 offset:412 ; 4-byte Folded Reload
	buffer_load_dword v5, off, s[0:3], s33 offset:416 ; 4-byte Folded Reload
	v_add_u32_e32 v1, v0, v1
	s_waitcnt vmcnt(0)
	v_add_co_u32_e32 v4, vcc, v4, v6
	v_addc_co_u32_e32 v5, vcc, v5, v7, vcc
	ds_write_b64 v1, v[4:5] offset:584
	buffer_load_dword v1, off, s[0:3], s33 offset:72 ; 4-byte Folded Reload
	s_waitcnt vmcnt(0)
	v_and_b32_e32 v1, 0x2000, v1
	v_cmp_ne_u32_e32 vcc, 0, v1
	s_and_saveexec_b64 s[26:27], vcc
	s_cbranch_execz .LBB6_28541
; %bb.28540:                            ;   in Loop: Header=BB6_28516 Depth=3
	ds_read_b64 v[4:5], v0 offset:872
	s_waitcnt lgkmcnt(0)
	v_add_co_u32_e32 v4, vcc, 1, v4
	v_addc_co_u32_e32 v5, vcc, 0, v5, vcc
	ds_write_b64 v0, v[4:5] offset:872
.LBB6_28541:                            ;   in Loop: Header=BB6_28516 Depth=3
	s_or_b64 exec, exec, s[26:27]
	buffer_store_dword v2, off, s[0:3], s33 offset:276 ; 4-byte Folded Spill
	s_nop 0
	buffer_store_dword v3, off, s[0:3], s33 offset:280 ; 4-byte Folded Spill
.LBB6_28542:                            ;   in Loop: Header=BB6_28516 Depth=3
	s_or_b64 exec, exec, s[90:91]
	s_xor_b64 s[26:27], s[42:43], -1
	s_and_b64 s[26:27], exec, s[26:27]
	s_or_b64 s[40:41], s[26:27], s[40:41]
	s_and_saveexec_b64 s[26:27], s[12:13]
	s_cbranch_execz .LBB6_28561
; %bb.28543:                            ;   in Loop: Header=BB6_28516 Depth=3
	s_and_saveexec_b64 s[42:43], s[58:59]
	s_xor_b64 s[42:43], exec, s[42:43]
	s_cbranch_execz .LBB6_28558
; %bb.28544:                            ;   in Loop: Header=BB6_28516 Depth=3
	s_and_saveexec_b64 s[90:91], s[6:7]
	s_cbranch_execz .LBB6_28557
; %bb.28545:                            ;   in Loop: Header=BB6_28516 Depth=3
	s_mov_b64 s[94:95], exec
	v_mbcnt_lo_u32_b32 v1, s94, 0
	v_mbcnt_hi_u32_b32 v1, s95, v1
	v_cmp_eq_u32_e32 vcc, 0, v1
	s_waitcnt vmcnt(0) lgkmcnt(0)
	buffer_wbinvl1_vol
	s_and_saveexec_b64 s[92:93], vcc
	s_cbranch_execz .LBB6_28547
; %bb.28546:                            ;   in Loop: Header=BB6_28516 Depth=3
	s_bcnt1_i32_b64 s62, s[94:95]
	v_mov_b32_e32 v1, s62
	v_mov_b32_e32 v2, v33
	ds_add_u64 v0, v[1:2]
	s_trap 2
.LBB6_28547:                            ;   in Loop: Header=BB6_28516 Depth=3
	s_or_b64 exec, exec, s[92:93]
	s_trap 2
	ds_read_b64 v[1:2], v0
	s_waitcnt lgkmcnt(0)
	buffer_load_dword v3, off, s[0:3], s33 offset:76 ; 4-byte Folded Reload
	buffer_load_dword v4, off, s[0:3], s33 offset:80 ; 4-byte Folded Reload
	;; [unrolled: 1-line block ×3, first 2 shown]
	s_waitcnt vmcnt(0)
	v_add_co_u32_e32 v3, vcc, v3, v5
	v_addc_co_u32_e32 v4, vcc, 0, v4, vcc
	buffer_store_dword v3, off, s[0:3], s33 offset:76 ; 4-byte Folded Spill
	s_nop 0
	buffer_store_dword v4, off, s[0:3], s33 offset:80 ; 4-byte Folded Spill
	v_cmp_lt_u64_e32 vcc, v[1:2], v[3:4]
	s_and_saveexec_b64 s[92:93], vcc
	s_cbranch_execz .LBB6_28556
; %bb.28548:                            ;   in Loop: Header=BB6_28516 Depth=3
	s_mov_b32 s62, 0
	s_mov_b64 s[94:95], 0
                                        ; implicit-def: $sgpr30_sgpr31
                                        ; implicit-def: $sgpr34_sgpr35
	s_branch .LBB6_28550
.LBB6_28549:                            ;   in Loop: Header=BB6_28550 Depth=4
	s_or_b64 exec, exec, s[38:39]
	s_and_b64 vcc, exec, vcc
	s_or_b64 s[94:95], vcc, s[94:95]
	s_andn2_b64 vcc, s[30:31], exec
	s_and_b64 s[30:31], s[34:35], exec
	s_or_b64 s[30:31], vcc, s[30:31]
	s_andn2_b64 exec, exec, s[94:95]
	s_cbranch_execz .LBB6_28554
.LBB6_28550:                            ;   Parent Loop BB6_47 Depth=1
                                        ;     Parent Loop BB6_28337 Depth=2
                                        ;       Parent Loop BB6_28516 Depth=3
                                        ; =>      This Inner Loop Header: Depth=4
	s_add_i32 s62, s62, 1
	s_cmpk_lg_i32 s62, 0x2710
	s_cselect_b64 s[36:37], -1, 0
	s_and_b64 vcc, exec, s[36:37]
	s_cbranch_vccz .LBB6_28552
; %bb.28551:                            ;   in Loop: Header=BB6_28550 Depth=4
	s_mov_b64 vcc, -1
	s_or_b64 s[34:35], s[34:35], exec
	s_and_saveexec_b64 s[38:39], s[36:37]
	s_cbranch_execz .LBB6_28549
	s_branch .LBB6_28553
.LBB6_28552:                            ;   in Loop: Header=BB6_28550 Depth=4
	s_trap 2
	ds_read_b64 v[1:2], v0
	s_andn2_b64 s[36:37], s[36:37], exec
	s_mov_b32 s62, 0
	s_waitcnt vmcnt(0) lgkmcnt(0)
	flat_load_dword v1, v[1:2] glc
	s_waitcnt vmcnt(0) lgkmcnt(0)
	buffer_wbinvl1_vol
	v_cmp_eq_u32_e32 vcc, 0, v1
	s_and_b64 vcc, vcc, exec
	s_or_b64 s[36:37], s[36:37], vcc
	s_mov_b64 vcc, -1
	s_or_b64 s[34:35], s[34:35], exec
	s_and_saveexec_b64 s[38:39], s[36:37]
	s_cbranch_execz .LBB6_28549
.LBB6_28553:                            ;   in Loop: Header=BB6_28550 Depth=4
	s_sleep 1
	s_trap 2
	ds_read_b64 v[1:2], v0
	s_waitcnt lgkmcnt(0)
	buffer_load_dword v3, off, s[0:3], s33 offset:76 ; 4-byte Folded Reload
	buffer_load_dword v4, off, s[0:3], s33 offset:80 ; 4-byte Folded Reload
	s_andn2_b64 s[34:35], s[34:35], exec
	s_waitcnt vmcnt(0)
	v_cmp_ge_u64_e32 vcc, v[1:2], v[3:4]
	s_orn2_b64 vcc, vcc, exec
	s_branch .LBB6_28549
.LBB6_28554:                            ;   in Loop: Header=BB6_28516 Depth=3
	s_or_b64 exec, exec, s[94:95]
	s_and_saveexec_b64 s[62:63], s[30:31]
	s_xor_b64 s[62:63], exec, s[62:63]
	s_cbranch_execz .LBB6_28556
; %bb.28555:                            ;   in Loop: Header=BB6_28516 Depth=3
	v_mov_b32_e32 v1, 1
	ds_write_b32 v0, v1
	s_trap 2
.LBB6_28556:                            ;   in Loop: Header=BB6_28516 Depth=3
	s_or_b64 exec, exec, s[92:93]
	;;#ASMSTART
	s_wakeup
	;;#ASMEND
.LBB6_28557:                            ;   in Loop: Header=BB6_28516 Depth=3
	s_or_b64 exec, exec, s[90:91]
.LBB6_28558:                            ;   in Loop: Header=BB6_28516 Depth=3
	s_andn2_saveexec_b64 s[42:43], s[42:43]
	s_cbranch_execz .LBB6_28560
; %bb.28559:                            ;   in Loop: Header=BB6_28516 Depth=3
	s_waitcnt vmcnt(0) lgkmcnt(0)
	buffer_wbinvl1_vol
	s_barrier
.LBB6_28560:                            ;   in Loop: Header=BB6_28516 Depth=3
	s_or_b64 exec, exec, s[42:43]
.LBB6_28561:                            ;   in Loop: Header=BB6_28516 Depth=3
	s_or_b64 exec, exec, s[26:27]
                                        ; implicit-def: $vgpr1
	s_and_saveexec_b64 s[26:27], s[18:19]
	s_xor_b64 s[26:27], exec, s[26:27]
	s_cbranch_execz .LBB6_28565
; %bb.28562:                            ;   in Loop: Header=BB6_28516 Depth=3
	s_trap 2
	buffer_load_dword v2, off, s[0:3], s33 offset:72 ; 4-byte Folded Reload
	ds_read_b32 v1, v0
	v_cmp_lt_i32_e32 vcc, 0, v0
	s_waitcnt lgkmcnt(0)
	v_readfirstlane_b32 s42, v1
	s_cmp_eq_u32 s42, 0
	s_cselect_b64 s[42:43], -1, 0
	s_and_b64 s[42:43], vcc, s[42:43]
	s_waitcnt vmcnt(0)
	v_and_b32_e32 v1, 16, v2
	v_and_b32_e32 v2, 16, v2
	v_cmp_ne_u32_e32 vcc, 0, v2
	s_and_b64 s[62:63], vcc, s[42:43]
	s_and_saveexec_b64 s[42:43], s[62:63]
	s_cbranch_execz .LBB6_28564
; %bb.28563:                            ;   in Loop: Header=BB6_28516 Depth=3
	v_mov_b32_e32 v1, 1
	buffer_wbinvl1_vol
.LBB6_28564:                            ;   in Loop: Header=BB6_28516 Depth=3
	s_or_b64 exec, exec, s[42:43]
	s_andn2_saveexec_b64 s[26:27], s[26:27]
	s_cbranch_execz .LBB6_28584
	s_branch .LBB6_28566
.LBB6_28565:                            ;   in Loop: Header=BB6_28516 Depth=3
	s_andn2_saveexec_b64 s[26:27], s[26:27]
	s_cbranch_execz .LBB6_28584
.LBB6_28566:                            ;   in Loop: Header=BB6_28516 Depth=3
	s_and_saveexec_b64 s[42:43], s[58:59]
	s_xor_b64 s[42:43], exec, s[42:43]
	s_cbranch_execz .LBB6_28581
; %bb.28567:                            ;   in Loop: Header=BB6_28516 Depth=3
	s_and_saveexec_b64 s[90:91], s[6:7]
	s_cbranch_execz .LBB6_28580
; %bb.28568:                            ;   in Loop: Header=BB6_28516 Depth=3
	s_mov_b64 s[94:95], exec
	v_mbcnt_lo_u32_b32 v1, s94, 0
	v_mbcnt_hi_u32_b32 v1, s95, v1
	v_cmp_eq_u32_e32 vcc, 0, v1
	;;#ASMSTART
	s_waitcnt lgkmcnt(0) vmcnt(0)
	;;#ASMEND
	s_and_saveexec_b64 s[92:93], vcc
	s_cbranch_execz .LBB6_28570
; %bb.28569:                            ;   in Loop: Header=BB6_28516 Depth=3
	s_bcnt1_i32_b64 s62, s[94:95]
	v_mov_b32_e32 v1, s62
	v_mov_b32_e32 v2, v33
	s_waitcnt lgkmcnt(0)
	ds_add_u64 v0, v[1:2]
	s_trap 2
.LBB6_28570:                            ;   in Loop: Header=BB6_28516 Depth=3
	s_or_b64 exec, exec, s[92:93]
	s_trap 2
	ds_read_b64 v[1:2], v0
	s_waitcnt lgkmcnt(0)
	buffer_load_dword v3, off, s[0:3], s33 offset:76 ; 4-byte Folded Reload
	buffer_load_dword v4, off, s[0:3], s33 offset:80 ; 4-byte Folded Reload
	;; [unrolled: 1-line block ×3, first 2 shown]
	s_waitcnt vmcnt(0)
	v_add_co_u32_e32 v3, vcc, v3, v5
	v_addc_co_u32_e32 v4, vcc, 0, v4, vcc
	buffer_store_dword v3, off, s[0:3], s33 offset:76 ; 4-byte Folded Spill
	s_nop 0
	buffer_store_dword v4, off, s[0:3], s33 offset:80 ; 4-byte Folded Spill
	v_cmp_lt_u64_e32 vcc, v[1:2], v[3:4]
	s_and_saveexec_b64 s[92:93], vcc
	s_cbranch_execz .LBB6_28579
; %bb.28571:                            ;   in Loop: Header=BB6_28516 Depth=3
	s_mov_b32 s62, 0
	s_mov_b64 s[94:95], 0
                                        ; implicit-def: $sgpr30_sgpr31
                                        ; implicit-def: $sgpr34_sgpr35
	s_branch .LBB6_28573
.LBB6_28572:                            ;   in Loop: Header=BB6_28573 Depth=4
	s_or_b64 exec, exec, s[38:39]
	s_and_b64 vcc, exec, vcc
	s_or_b64 s[94:95], vcc, s[94:95]
	s_andn2_b64 vcc, s[30:31], exec
	s_and_b64 s[30:31], s[34:35], exec
	s_or_b64 s[30:31], vcc, s[30:31]
	s_andn2_b64 exec, exec, s[94:95]
	s_cbranch_execz .LBB6_28577
.LBB6_28573:                            ;   Parent Loop BB6_47 Depth=1
                                        ;     Parent Loop BB6_28337 Depth=2
                                        ;       Parent Loop BB6_28516 Depth=3
                                        ; =>      This Inner Loop Header: Depth=4
	s_add_i32 s62, s62, 1
	s_cmpk_lg_i32 s62, 0x2710
	s_cselect_b64 s[36:37], -1, 0
	s_and_b64 vcc, exec, s[36:37]
	s_cbranch_vccz .LBB6_28575
; %bb.28574:                            ;   in Loop: Header=BB6_28573 Depth=4
	s_mov_b64 vcc, -1
	s_or_b64 s[34:35], s[34:35], exec
	s_and_saveexec_b64 s[38:39], s[36:37]
	s_cbranch_execz .LBB6_28572
	s_branch .LBB6_28576
.LBB6_28575:                            ;   in Loop: Header=BB6_28573 Depth=4
	s_trap 2
	ds_read_b64 v[1:2], v0
	s_andn2_b64 s[36:37], s[36:37], exec
	s_mov_b32 s62, 0
	s_waitcnt vmcnt(0) lgkmcnt(0)
	flat_load_dword v1, v[1:2] glc
	s_waitcnt vmcnt(0) lgkmcnt(0)
	buffer_wbinvl1_vol
	v_cmp_eq_u32_e32 vcc, 0, v1
	s_and_b64 vcc, vcc, exec
	s_or_b64 s[36:37], s[36:37], vcc
	s_mov_b64 vcc, -1
	s_or_b64 s[34:35], s[34:35], exec
	s_and_saveexec_b64 s[38:39], s[36:37]
	s_cbranch_execz .LBB6_28572
.LBB6_28576:                            ;   in Loop: Header=BB6_28573 Depth=4
	s_sleep 1
	s_trap 2
	ds_read_b64 v[1:2], v0
	s_waitcnt lgkmcnt(0)
	buffer_load_dword v3, off, s[0:3], s33 offset:76 ; 4-byte Folded Reload
	buffer_load_dword v4, off, s[0:3], s33 offset:80 ; 4-byte Folded Reload
	s_andn2_b64 s[34:35], s[34:35], exec
	s_waitcnt vmcnt(0)
	v_cmp_ge_u64_e32 vcc, v[1:2], v[3:4]
	s_orn2_b64 vcc, vcc, exec
	s_branch .LBB6_28572
.LBB6_28577:                            ;   in Loop: Header=BB6_28516 Depth=3
	s_or_b64 exec, exec, s[94:95]
	s_and_saveexec_b64 s[62:63], s[30:31]
	s_xor_b64 s[62:63], exec, s[62:63]
	s_cbranch_execz .LBB6_28579
; %bb.28578:                            ;   in Loop: Header=BB6_28516 Depth=3
	v_mov_b32_e32 v1, 1
	ds_write_b32 v0, v1
	s_trap 2
.LBB6_28579:                            ;   in Loop: Header=BB6_28516 Depth=3
	s_or_b64 exec, exec, s[92:93]
	;;#ASMSTART
	s_wakeup
	;;#ASMEND
.LBB6_28580:                            ;   in Loop: Header=BB6_28516 Depth=3
	s_or_b64 exec, exec, s[90:91]
.LBB6_28581:                            ;   in Loop: Header=BB6_28516 Depth=3
	s_andn2_saveexec_b64 s[42:43], s[42:43]
	s_cbranch_execz .LBB6_28583
; %bb.28582:                            ;   in Loop: Header=BB6_28516 Depth=3
	;;#ASMSTART
	s_waitcnt lgkmcnt(0) vmcnt(0)
	;;#ASMEND
	s_waitcnt vmcnt(0) lgkmcnt(0)
	s_barrier
.LBB6_28583:                            ;   in Loop: Header=BB6_28516 Depth=3
	s_or_b64 exec, exec, s[42:43]
	buffer_load_dword v1, off, s[0:3], s33 offset:72 ; 4-byte Folded Reload
	s_waitcnt vmcnt(0)
	v_and_b32_e32 v1, 16, v1
.LBB6_28584:                            ;   in Loop: Header=BB6_28516 Depth=3
	s_or_b64 exec, exec, s[26:27]
	v_cmp_ne_u32_e32 vcc, 0, v1
	s_xor_b64 s[26:27], s[20:21], -1
	s_and_b64 s[42:43], vcc, s[26:27]
	s_and_saveexec_b64 s[26:27], s[42:43]
	s_cbranch_execz .LBB6_28586
; %bb.28585:                            ;   in Loop: Header=BB6_28516 Depth=3
	buffer_load_dword v1, off, s[0:3], s33 offset:436 ; 4-byte Folded Reload
	buffer_load_dword v2, off, s[0:3], s33 offset:440 ; 4-byte Folded Reload
	v_mov_b32_e32 v3, 1
	s_waitcnt vmcnt(0)
	flat_store_dword v[1:2], v3
.LBB6_28586:                            ;   in Loop: Header=BB6_28516 Depth=3
	s_or_b64 exec, exec, s[26:27]
	buffer_load_dword v1, off, s[0:3], s33 offset:72 ; 4-byte Folded Reload
	s_waitcnt vmcnt(0)
	v_and_b32_e32 v1, 48, v1
	v_cmp_ne_u32_e32 vcc, 0, v1
	s_and_saveexec_b64 s[26:27], vcc
	s_cbranch_execz .LBB6_28515
; %bb.28587:                            ;   in Loop: Header=BB6_28516 Depth=3
	buffer_load_dword v3, off, s[0:3], s33 offset:276 ; 4-byte Folded Reload
	buffer_load_dword v4, off, s[0:3], s33 offset:280 ; 4-byte Folded Reload
	;; [unrolled: 1-line block ×4, first 2 shown]
	s_waitcnt vmcnt(0)
	v_add_co_u32_e32 v3, vcc, 2, v3
	v_addc_co_u32_e32 v4, vcc, 0, v4, vcc
	buffer_store_dword v3, off, s[0:3], s33 offset:276 ; 4-byte Folded Spill
	s_nop 0
	buffer_store_dword v4, off, s[0:3], s33 offset:280 ; 4-byte Folded Spill
	flat_store_dwordx2 v[1:2], v[3:4]
	s_branch .LBB6_28515
.LBB6_28588:                            ;   in Loop: Header=BB6_28337 Depth=2
	s_or_b64 exec, exec, s[90:91]
	s_or_b64 exec, exec, s[42:43]
	v_cmp_gt_i32_e32 vcc, 2, v3
	s_and_saveexec_b64 s[28:29], vcc
	s_cbranch_execnz .LBB6_28514
.LBB6_28589:                            ;   in Loop: Header=BB6_28337 Depth=2
	s_or_b64 exec, exec, s[28:29]
	s_add_i32 s26, s64, 1
	s_cmp_eq_u32 s64, s85
	s_cbranch_scc0 .LBB6_28591
	s_branch .LBB6_28592
.LBB6_28590:                            ;   in Loop: Header=BB6_28337 Depth=2
	s_or_b64 exec, exec, s[40:41]
	s_or_b64 exec, exec, s[28:29]
	s_add_i32 s26, s64, 1
	s_cmp_eq_u32 s64, s85
	s_cbranch_scc1 .LBB6_28592
.LBB6_28591:                            ;   in Loop: Header=BB6_28337 Depth=2
	s_mov_b32 s64, s26
	s_branch .LBB6_28337
.LBB6_28592:                            ;   in Loop: Header=BB6_47 Depth=1
	buffer_load_dword v4, off, s[0:3], s33 offset:700 ; 4-byte Folded Reload
	buffer_load_dword v5, off, s[0:3], s33 offset:704 ; 4-byte Folded Reload
	v_readlane_b32 s26, v62, 11
	v_mov_b32_e32 v10, 0
	s_waitcnt vmcnt(0)
	v_mul_lo_u32 v3, v4, s26
	v_mul_lo_u32 v2, v5, s83
	v_mad_u64_u32 v[0:1], s[26:27], v4, s83, 0
	v_add3_u32 v1, v1, v3, v2
	buffer_load_dword v2, off, s[0:3], s33 offset:692 ; 4-byte Folded Reload
	buffer_load_dword v3, off, s[0:3], s33 offset:696 ; 4-byte Folded Reload
	s_waitcnt vmcnt(0)
	v_sub_co_u32_e32 v2, vcc, v2, v0
	v_subb_co_u32_e32 v3, vcc, v3, v1, vcc
	v_cmp_lt_i64_e32 vcc, v[4:5], v[2:3]
	v_cndmask_b32_e32 v3, v2, v4, vcc
	v_max_i32_e32 v8, 0, v3
	v_add_u32_e32 v4, 31, v8
	v_lshrrev_b32_e32 v4, 1, v4
	v_and_b32_e32 v4, 0x3ffffff0, v4
	v_cmp_lt_i32_e32 vcc, 0, v3
	v_mov_b32_e32 v2, 0
	v_max_i32_e32 v9, s81, v4
	s_and_b64 s[26:27], s[74:75], vcc
	s_and_saveexec_b64 s[28:29], s[26:27]
	s_cbranch_execz .LBB6_28730
; %bb.28593:                            ;   in Loop: Header=BB6_47 Depth=1
	buffer_load_dword v2, off, s[0:3], s33 offset:500 ; 4-byte Folded Reload
	s_mov_b32 s64, 1
	s_mov_b64 s[42:43], -1
	v_mov_b32_e32 v10, 0
	s_mov_b64 s[40:41], 0
	s_waitcnt vmcnt(0)
	v_add_co_u32_e32 v11, vcc, v0, v2
	buffer_load_dword v0, off, s[0:3], s33 offset:504 ; 4-byte Folded Reload
	s_waitcnt vmcnt(0)
	v_addc_co_u32_e32 v12, vcc, v1, v0, vcc
	s_branch .LBB6_28595
.LBB6_28594:                            ;   in Loop: Header=BB6_28595 Depth=2
	s_or_b64 exec, exec, s[26:27]
	v_add_u32_e32 v10, v9, v10
	v_cmp_ge_i32_e32 vcc, v10, v8
	s_xor_b64 s[26:27], s[42:43], -1
	s_or_b64 s[26:27], s[26:27], vcc
	s_and_b64 s[26:27], exec, s[26:27]
	s_or_b64 s[40:41], s[26:27], s[40:41]
	s_mov_b64 s[42:43], 0
	v_mov_b32_e32 v2, s64
	s_mov_b32 s64, 2
	s_andn2_b64 exec, exec, s[40:41]
	s_cbranch_execz .LBB6_28729
.LBB6_28595:                            ;   Parent Loop BB6_47 Depth=1
                                        ; =>  This Loop Header: Depth=2
                                        ;       Child Loop BB6_28603 Depth 3
                                        ;       Child Loop BB6_28627 Depth 3
	;; [unrolled: 1-line block ×9, first 2 shown]
	s_and_saveexec_b64 s[26:27], s[4:5]
	s_cbranch_execz .LBB6_28597
; %bb.28596:                            ;   in Loop: Header=BB6_28595 Depth=2
	s_trap 2
	ds_read_b128 v[0:3], v0
	v_ashrrev_i32_e32 v4, 31, v10
	s_waitcnt lgkmcnt(0)
	v_add_co_u32_e32 v0, vcc, v0, v11
	v_addc_co_u32_e32 v1, vcc, v1, v12, vcc
	v_add_co_u32_e32 v0, vcc, v0, v10
	v_addc_co_u32_e32 v1, vcc, v1, v4, vcc
	ds_write_b64 v0, v[0:1]
	v_add_co_u32_e32 v0, vcc, v2, v11
	v_addc_co_u32_e32 v1, vcc, v3, v12, vcc
	v_add_co_u32_e32 v0, vcc, v0, v10
	v_addc_co_u32_e32 v1, vcc, v1, v4, vcc
	v_cmp_ne_u64_e32 vcc, 0, v[2:3]
	v_cndmask_b32_e32 v1, 0, v1, vcc
	v_cndmask_b32_e32 v0, 0, v0, vcc
	ds_write_b64 v0, v[0:1]
.LBB6_28597:                            ;   in Loop: Header=BB6_28595 Depth=2
	s_or_b64 exec, exec, s[26:27]
	buffer_load_dword v0, off, s[0:3], s33 offset:72 ; 4-byte Folded Reload
	s_waitcnt vmcnt(0)
	v_and_b32_e32 v0, 4, v0
	v_cmp_ne_u32_e32 vcc, 0, v0
	s_and_saveexec_b64 s[90:91], vcc
	s_cbranch_execz .LBB6_28619
; %bb.28598:                            ;   in Loop: Header=BB6_28595 Depth=2
	buffer_load_dword v0, off, s[0:3], s33 offset:276 ; 4-byte Folded Reload
	buffer_load_dword v1, off, s[0:3], s33 offset:280 ; 4-byte Folded Reload
	;; [unrolled: 1-line block ×4, first 2 shown]
	s_waitcnt vmcnt(0)
	v_add_co_u32_e32 v0, vcc, 2, v0
	v_addc_co_u32_e32 v1, vcc, 0, v1, vcc
	v_cmp_lt_u64_e32 vcc, v[2:3], v[0:1]
	s_and_saveexec_b64 s[92:93], vcc
	s_cbranch_execz .LBB6_28610
; %bb.28599:                            ;   in Loop: Header=BB6_28595 Depth=2
	buffer_load_dword v2, off, s[0:3], s33 offset:72 ; 4-byte Folded Reload
	s_mov_b32 s62, 0
	s_mov_b64 s[94:95], 0
                                        ; implicit-def: $sgpr30_sgpr31
                                        ; implicit-def: $sgpr34_sgpr35
                                        ; implicit-def: $sgpr36_sgpr37
	s_waitcnt vmcnt(0)
	v_and_b32_e32 v2, 64, v2
	v_cmp_eq_u32_e32 vcc, 0, v2
	s_branch .LBB6_28603
.LBB6_28600:                            ;   in Loop: Header=BB6_28603 Depth=3
	buffer_load_dword v3, off, s[0:3], s33 offset:56 ; 4-byte Folded Reload
	buffer_load_dword v4, off, s[0:3], s33 offset:60 ; 4-byte Folded Reload
	s_or_b64 s[50:51], s[50:51], exec
	s_waitcnt vmcnt(0)
	v_cmp_ge_u64_e64 s[26:27], v[3:4], v[0:1]
	s_orn2_b64 s[48:49], s[26:27], exec
.LBB6_28601:                            ;   in Loop: Header=BB6_28603 Depth=3
	s_or_b64 exec, exec, s[54:55]
	s_andn2_b64 s[26:27], s[36:37], exec
	s_and_b64 s[36:37], s[50:51], exec
	s_or_b64 s[36:37], s[26:27], s[36:37]
	s_andn2_b64 s[26:27], s[34:35], exec
	s_and_b64 s[34:35], s[48:49], exec
	s_or_b64 s[34:35], s[26:27], s[34:35]
.LBB6_28602:                            ;   in Loop: Header=BB6_28603 Depth=3
	s_or_b64 exec, exec, s[38:39]
	s_and_b64 s[26:27], exec, s[34:35]
	s_or_b64 s[94:95], s[26:27], s[94:95]
	s_andn2_b64 s[26:27], s[30:31], exec
	s_and_b64 s[30:31], s[36:37], exec
	s_or_b64 s[30:31], s[26:27], s[30:31]
	s_andn2_b64 exec, exec, s[94:95]
	s_cbranch_execz .LBB6_28607
.LBB6_28603:                            ;   Parent Loop BB6_47 Depth=1
                                        ;     Parent Loop BB6_28595 Depth=2
                                        ; =>    This Inner Loop Header: Depth=3
	s_sleep 1
	buffer_load_dword v2, off, s[0:3], s33 offset:64 ; 4-byte Folded Reload
	buffer_load_dword v3, off, s[0:3], s33 offset:68 ; 4-byte Folded Reload
	s_or_b64 s[36:37], s[36:37], exec
	s_or_b64 s[34:35], s[34:35], exec
	s_waitcnt vmcnt(0)
	flat_load_dwordx2 v[2:3], v[2:3] glc
	s_waitcnt vmcnt(0) lgkmcnt(0)
	buffer_store_dword v2, off, s[0:3], s33 offset:56 ; 4-byte Folded Spill
	s_nop 0
	buffer_store_dword v3, off, s[0:3], s33 offset:60 ; 4-byte Folded Spill
                                        ; implicit-def: $vgpr2
	s_and_saveexec_b64 s[38:39], vcc
	s_cbranch_execz .LBB6_28602
; %bb.28604:                            ;   in Loop: Header=BB6_28603 Depth=3
	s_cmpk_lt_i32 s62, 0x270f
	s_cselect_b64 s[52:53], -1, 0
	s_cmpk_gt_i32 s62, 0x270e
	s_mov_b64 s[48:49], -1
	s_cbranch_scc0 .LBB6_28606
; %bb.28605:                            ;   in Loop: Header=BB6_28603 Depth=3
	s_trap 2
	ds_read_b64 v[2:3], v0
	s_andn2_b64 s[52:53], s[52:53], exec
	s_mov_b32 s62, 0
	s_mov_b64 s[50:51], 0
	s_waitcnt vmcnt(0) lgkmcnt(0)
	flat_load_dword v2, v[2:3] glc
	s_waitcnt vmcnt(0) lgkmcnt(0)
	buffer_wbinvl1_vol
	v_cmp_eq_u32_e64 s[26:27], 0, v2
	s_and_b64 s[26:27], s[26:27], exec
	s_or_b64 s[52:53], s[52:53], s[26:27]
	s_and_saveexec_b64 s[54:55], s[52:53]
	s_cbranch_execz .LBB6_28601
	s_branch .LBB6_28600
.LBB6_28606:                            ;   in Loop: Header=BB6_28603 Depth=3
	s_add_i32 s62, s62, 1
	s_mov_b64 s[50:51], -1
                                        ; implicit-def: $vgpr2
	s_and_saveexec_b64 s[54:55], s[52:53]
	s_cbranch_execz .LBB6_28601
	s_branch .LBB6_28600
.LBB6_28607:                            ;   in Loop: Header=BB6_28595 Depth=2
	s_or_b64 exec, exec, s[94:95]
	s_xor_b64 s[26:27], s[30:31], -1
	s_and_saveexec_b64 s[62:63], s[26:27]
	s_xor_b64 s[26:27], exec, s[62:63]
	s_cbranch_execz .LBB6_28609
; %bb.28608:                            ;   in Loop: Header=BB6_28595 Depth=2
	ds_write_b32 v0, v2
	s_trap 2
	buffer_load_dword v2, off, s[0:3], s33 offset:72 ; 4-byte Folded Reload
	s_waitcnt vmcnt(0)
	v_or_b32_e32 v2, 64, v2
	buffer_store_dword v2, off, s[0:3], s33 offset:72 ; 4-byte Folded Spill
.LBB6_28609:                            ;   in Loop: Header=BB6_28595 Depth=2
	s_or_b64 exec, exec, s[26:27]
.LBB6_28610:                            ;   in Loop: Header=BB6_28595 Depth=2
	s_or_b64 exec, exec, s[92:93]
	;;#ASMSTART
	s_wakeup
	;;#ASMEND
	buffer_load_dword v2, off, s[0:3], s33 offset:72 ; 4-byte Folded Reload
	s_mov_b64 s[26:27], -1
	s_waitcnt vmcnt(0)
	v_and_b32_e32 v2, 0x100, v2
	v_cmp_ne_u32_e32 vcc, 0, v2
	buffer_load_dword v2, off, s[0:3], s33 offset:276 ; 4-byte Folded Reload
	buffer_load_dword v3, off, s[0:3], s33 offset:280 ; 4-byte Folded Reload
	s_waitcnt vmcnt(0)
	v_and_b32_e32 v6, 7, v2
                                        ; implicit-def: $vgpr2_vgpr3
	s_and_saveexec_b64 s[92:93], vcc
	s_cbranch_execz .LBB6_28614
; %bb.28611:                            ;   in Loop: Header=BB6_28595 Depth=2
	buffer_load_dword v2, off, s[0:3], s33 offset:420 ; 4-byte Folded Reload
	buffer_load_dword v3, off, s[0:3], s33 offset:424 ; 4-byte Folded Reload
	;; [unrolled: 1-line block ×4, first 2 shown]
	s_waitcnt vmcnt(0)
	v_mad_u64_u32 v[4:5], s[26:27], v6, 24, v[2:3]
	flat_load_dword v2, v[4:5]
	s_waitcnt vmcnt(0) lgkmcnt(0)
	v_cmp_ne_u32_e32 vcc, 1, v2
	v_cmp_eq_u32_e64 s[26:27], 1, v2
                                        ; implicit-def: $vgpr2_vgpr3
	s_and_saveexec_b64 s[94:95], s[26:27]
	s_cbranch_execz .LBB6_28613
; %bb.28612:                            ;   in Loop: Header=BB6_28595 Depth=2
	flat_load_dword v2, v[4:5] offset:4 glc
	s_waitcnt vmcnt(0) lgkmcnt(0)
	v_ashrrev_i32_e32 v3, 31, v2
.LBB6_28613:                            ;   in Loop: Header=BB6_28595 Depth=2
	s_or_b64 exec, exec, s[94:95]
	s_orn2_b64 s[26:27], vcc, exec
.LBB6_28614:                            ;   in Loop: Header=BB6_28595 Depth=2
	s_or_b64 exec, exec, s[92:93]
	s_and_saveexec_b64 s[92:93], s[26:27]
	s_cbranch_execz .LBB6_28616
; %bb.28615:                            ;   in Loop: Header=BB6_28595 Depth=2
	buffer_load_dword v2, off, s[0:3], s33 offset:456 ; 4-byte Folded Reload
	s_waitcnt vmcnt(0)
	v_mad_i64_i32 v[2:3], s[26:27], v6, v2, 0
.LBB6_28616:                            ;   in Loop: Header=BB6_28595 Depth=2
	s_or_b64 exec, exec, s[92:93]
	buffer_load_dword v4, off, s[0:3], s33 offset:412 ; 4-byte Folded Reload
	buffer_load_dword v5, off, s[0:3], s33 offset:416 ; 4-byte Folded Reload
	s_waitcnt vmcnt(0)
	v_add_co_u32_e32 v2, vcc, v4, v2
	v_addc_co_u32_e32 v3, vcc, v5, v3, vcc
	ds_write_b64 v0, v[2:3] offset:720
	buffer_load_dword v2, off, s[0:3], s33 offset:72 ; 4-byte Folded Reload
	s_waitcnt vmcnt(0)
	v_and_b32_e32 v2, 0x2000, v2
	v_cmp_ne_u32_e32 vcc, 0, v2
	s_and_saveexec_b64 s[26:27], vcc
	s_cbranch_execz .LBB6_28618
; %bb.28617:                            ;   in Loop: Header=BB6_28595 Depth=2
	ds_read_b64 v[2:3], v0 offset:872
	s_waitcnt lgkmcnt(0)
	v_add_co_u32_e32 v2, vcc, 1, v2
	v_addc_co_u32_e32 v3, vcc, 0, v3, vcc
	ds_write_b64 v0, v[2:3] offset:872
.LBB6_28618:                            ;   in Loop: Header=BB6_28595 Depth=2
	s_or_b64 exec, exec, s[26:27]
	buffer_store_dword v0, off, s[0:3], s33 offset:276 ; 4-byte Folded Spill
	s_nop 0
	buffer_store_dword v1, off, s[0:3], s33 offset:280 ; 4-byte Folded Spill
.LBB6_28619:                            ;   in Loop: Header=BB6_28595 Depth=2
	s_or_b64 exec, exec, s[90:91]
	s_and_saveexec_b64 s[26:27], s[12:13]
	s_cbranch_execz .LBB6_28638
; %bb.28620:                            ;   in Loop: Header=BB6_28595 Depth=2
	s_and_saveexec_b64 s[62:63], s[58:59]
	s_xor_b64 s[90:91], exec, s[62:63]
	s_cbranch_execz .LBB6_28635
; %bb.28621:                            ;   in Loop: Header=BB6_28595 Depth=2
	s_and_saveexec_b64 s[92:93], s[6:7]
	s_cbranch_execz .LBB6_28634
; %bb.28622:                            ;   in Loop: Header=BB6_28595 Depth=2
	s_mov_b64 s[30:31], exec
	v_mbcnt_lo_u32_b32 v0, s30, 0
	v_mbcnt_hi_u32_b32 v0, s31, v0
	v_cmp_eq_u32_e32 vcc, 0, v0
	s_waitcnt vmcnt(0) lgkmcnt(0)
	buffer_wbinvl1_vol
	s_and_saveexec_b64 s[94:95], vcc
	s_cbranch_execz .LBB6_28624
; %bb.28623:                            ;   in Loop: Header=BB6_28595 Depth=2
	s_bcnt1_i32_b64 s62, s[30:31]
	v_mov_b32_e32 v0, s62
	v_mov_b32_e32 v1, v33
	ds_add_u64 v0, v[0:1]
	s_trap 2
.LBB6_28624:                            ;   in Loop: Header=BB6_28595 Depth=2
	s_or_b64 exec, exec, s[94:95]
	s_trap 2
	ds_read_b64 v[0:1], v0
	s_waitcnt lgkmcnt(0)
	buffer_load_dword v2, off, s[0:3], s33 offset:76 ; 4-byte Folded Reload
	buffer_load_dword v3, off, s[0:3], s33 offset:80 ; 4-byte Folded Reload
	;; [unrolled: 1-line block ×3, first 2 shown]
	s_waitcnt vmcnt(0)
	v_add_co_u32_e32 v2, vcc, v2, v4
	v_addc_co_u32_e32 v3, vcc, 0, v3, vcc
	buffer_store_dword v2, off, s[0:3], s33 offset:76 ; 4-byte Folded Spill
	s_nop 0
	buffer_store_dword v3, off, s[0:3], s33 offset:80 ; 4-byte Folded Spill
	v_cmp_lt_u64_e32 vcc, v[0:1], v[2:3]
	s_and_saveexec_b64 s[94:95], vcc
	s_cbranch_execz .LBB6_28633
; %bb.28625:                            ;   in Loop: Header=BB6_28595 Depth=2
	s_mov_b32 s62, 0
	s_mov_b64 s[30:31], 0
                                        ; implicit-def: $sgpr34_sgpr35
                                        ; implicit-def: $sgpr36_sgpr37
	s_branch .LBB6_28627
.LBB6_28626:                            ;   in Loop: Header=BB6_28627 Depth=3
	s_or_b64 exec, exec, s[48:49]
	s_and_b64 vcc, exec, vcc
	s_or_b64 s[30:31], vcc, s[30:31]
	s_andn2_b64 vcc, s[34:35], exec
	s_and_b64 s[34:35], s[36:37], exec
	s_or_b64 s[34:35], vcc, s[34:35]
	s_andn2_b64 exec, exec, s[30:31]
	s_cbranch_execz .LBB6_28631
.LBB6_28627:                            ;   Parent Loop BB6_47 Depth=1
                                        ;     Parent Loop BB6_28595 Depth=2
                                        ; =>    This Inner Loop Header: Depth=3
	s_add_i32 s62, s62, 1
	s_cmpk_lg_i32 s62, 0x2710
	s_cselect_b64 s[38:39], -1, 0
	s_and_b64 vcc, exec, s[38:39]
	s_cbranch_vccz .LBB6_28629
; %bb.28628:                            ;   in Loop: Header=BB6_28627 Depth=3
	s_mov_b64 vcc, -1
	s_or_b64 s[36:37], s[36:37], exec
	s_and_saveexec_b64 s[48:49], s[38:39]
	s_cbranch_execz .LBB6_28626
	s_branch .LBB6_28630
.LBB6_28629:                            ;   in Loop: Header=BB6_28627 Depth=3
	s_trap 2
	ds_read_b64 v[0:1], v0
	s_andn2_b64 s[38:39], s[38:39], exec
	s_mov_b32 s62, 0
	s_waitcnt vmcnt(0) lgkmcnt(0)
	flat_load_dword v0, v[0:1] glc
	s_waitcnt vmcnt(0) lgkmcnt(0)
	buffer_wbinvl1_vol
	v_cmp_eq_u32_e32 vcc, 0, v0
	s_and_b64 vcc, vcc, exec
	s_or_b64 s[38:39], s[38:39], vcc
	s_mov_b64 vcc, -1
	s_or_b64 s[36:37], s[36:37], exec
	s_and_saveexec_b64 s[48:49], s[38:39]
	s_cbranch_execz .LBB6_28626
.LBB6_28630:                            ;   in Loop: Header=BB6_28627 Depth=3
	s_sleep 1
	s_trap 2
	ds_read_b64 v[0:1], v0
	s_waitcnt lgkmcnt(0)
	buffer_load_dword v2, off, s[0:3], s33 offset:76 ; 4-byte Folded Reload
	buffer_load_dword v3, off, s[0:3], s33 offset:80 ; 4-byte Folded Reload
	s_andn2_b64 s[36:37], s[36:37], exec
	s_waitcnt vmcnt(0)
	v_cmp_ge_u64_e32 vcc, v[0:1], v[2:3]
	s_orn2_b64 vcc, vcc, exec
	s_branch .LBB6_28626
.LBB6_28631:                            ;   in Loop: Header=BB6_28595 Depth=2
	s_or_b64 exec, exec, s[30:31]
	s_and_saveexec_b64 s[62:63], s[34:35]
	s_xor_b64 s[62:63], exec, s[62:63]
	s_cbranch_execz .LBB6_28633
; %bb.28632:                            ;   in Loop: Header=BB6_28595 Depth=2
	v_mov_b32_e32 v0, 1
	ds_write_b32 v0, v0
	s_trap 2
.LBB6_28633:                            ;   in Loop: Header=BB6_28595 Depth=2
	s_or_b64 exec, exec, s[94:95]
	;;#ASMSTART
	s_wakeup
	;;#ASMEND
.LBB6_28634:                            ;   in Loop: Header=BB6_28595 Depth=2
	s_or_b64 exec, exec, s[92:93]
.LBB6_28635:                            ;   in Loop: Header=BB6_28595 Depth=2
	s_andn2_saveexec_b64 s[90:91], s[90:91]
	s_cbranch_execz .LBB6_28637
; %bb.28636:                            ;   in Loop: Header=BB6_28595 Depth=2
	s_waitcnt vmcnt(0) lgkmcnt(0)
	buffer_wbinvl1_vol
	s_barrier
.LBB6_28637:                            ;   in Loop: Header=BB6_28595 Depth=2
	s_or_b64 exec, exec, s[90:91]
.LBB6_28638:                            ;   in Loop: Header=BB6_28595 Depth=2
	s_or_b64 exec, exec, s[26:27]
	s_trap 2
	ds_read_b32 v4, v0
	buffer_load_dword v0, off, s[0:3], s33 offset:72 ; 4-byte Folded Reload
	s_xor_b64 s[26:27], s[10:11], -1
	s_waitcnt vmcnt(0)
	v_and_b32_e32 v0, 0x4000, v0
	v_cmp_ne_u32_e32 vcc, 0, v0
	s_and_b64 s[62:63], s[26:27], vcc
	s_and_saveexec_b64 s[26:27], s[62:63]
	s_cbranch_execz .LBB6_28657
; %bb.28639:                            ;   in Loop: Header=BB6_28595 Depth=2
	s_and_saveexec_b64 s[62:63], s[58:59]
	s_xor_b64 s[90:91], exec, s[62:63]
	s_cbranch_execz .LBB6_28654
; %bb.28640:                            ;   in Loop: Header=BB6_28595 Depth=2
	s_and_saveexec_b64 s[92:93], s[6:7]
	s_cbranch_execz .LBB6_28653
; %bb.28641:                            ;   in Loop: Header=BB6_28595 Depth=2
	s_mov_b64 s[30:31], exec
	v_mbcnt_lo_u32_b32 v0, s30, 0
	v_mbcnt_hi_u32_b32 v0, s31, v0
	v_cmp_eq_u32_e32 vcc, 0, v0
	s_waitcnt lgkmcnt(0)
	buffer_wbinvl1_vol
	s_and_saveexec_b64 s[94:95], vcc
	s_cbranch_execz .LBB6_28643
; %bb.28642:                            ;   in Loop: Header=BB6_28595 Depth=2
	s_bcnt1_i32_b64 s62, s[30:31]
	v_mov_b32_e32 v0, s62
	v_mov_b32_e32 v1, v33
	ds_add_u64 v0, v[0:1]
	s_trap 2
.LBB6_28643:                            ;   in Loop: Header=BB6_28595 Depth=2
	s_or_b64 exec, exec, s[94:95]
	s_trap 2
	ds_read_b64 v[0:1], v0
	s_waitcnt lgkmcnt(0)
	buffer_load_dword v2, off, s[0:3], s33 offset:76 ; 4-byte Folded Reload
	buffer_load_dword v3, off, s[0:3], s33 offset:80 ; 4-byte Folded Reload
	;; [unrolled: 1-line block ×3, first 2 shown]
	s_waitcnt vmcnt(0)
	v_add_co_u32_e32 v2, vcc, v2, v5
	v_addc_co_u32_e32 v3, vcc, 0, v3, vcc
	buffer_store_dword v2, off, s[0:3], s33 offset:76 ; 4-byte Folded Spill
	s_nop 0
	buffer_store_dword v3, off, s[0:3], s33 offset:80 ; 4-byte Folded Spill
	v_cmp_lt_u64_e32 vcc, v[0:1], v[2:3]
	s_and_saveexec_b64 s[94:95], vcc
	s_cbranch_execz .LBB6_28652
; %bb.28644:                            ;   in Loop: Header=BB6_28595 Depth=2
	s_mov_b32 s62, 0
	s_mov_b64 s[30:31], 0
                                        ; implicit-def: $sgpr34_sgpr35
                                        ; implicit-def: $sgpr36_sgpr37
	s_branch .LBB6_28646
.LBB6_28645:                            ;   in Loop: Header=BB6_28646 Depth=3
	s_or_b64 exec, exec, s[48:49]
	s_and_b64 vcc, exec, vcc
	s_or_b64 s[30:31], vcc, s[30:31]
	s_andn2_b64 vcc, s[34:35], exec
	s_and_b64 s[34:35], s[36:37], exec
	s_or_b64 s[34:35], vcc, s[34:35]
	s_andn2_b64 exec, exec, s[30:31]
	s_cbranch_execz .LBB6_28650
.LBB6_28646:                            ;   Parent Loop BB6_47 Depth=1
                                        ;     Parent Loop BB6_28595 Depth=2
                                        ; =>    This Inner Loop Header: Depth=3
	s_add_i32 s62, s62, 1
	s_cmpk_lg_i32 s62, 0x2710
	s_cselect_b64 s[38:39], -1, 0
	s_and_b64 vcc, exec, s[38:39]
	s_cbranch_vccz .LBB6_28648
; %bb.28647:                            ;   in Loop: Header=BB6_28646 Depth=3
	s_mov_b64 vcc, -1
	s_or_b64 s[36:37], s[36:37], exec
	s_and_saveexec_b64 s[48:49], s[38:39]
	s_cbranch_execz .LBB6_28645
	s_branch .LBB6_28649
.LBB6_28648:                            ;   in Loop: Header=BB6_28646 Depth=3
	s_trap 2
	ds_read_b64 v[0:1], v0
	s_andn2_b64 s[38:39], s[38:39], exec
	s_mov_b32 s62, 0
	s_waitcnt vmcnt(0) lgkmcnt(0)
	flat_load_dword v0, v[0:1] glc
	s_waitcnt vmcnt(0) lgkmcnt(0)
	buffer_wbinvl1_vol
	v_cmp_eq_u32_e32 vcc, 0, v0
	s_and_b64 vcc, vcc, exec
	s_or_b64 s[38:39], s[38:39], vcc
	s_mov_b64 vcc, -1
	s_or_b64 s[36:37], s[36:37], exec
	s_and_saveexec_b64 s[48:49], s[38:39]
	s_cbranch_execz .LBB6_28645
.LBB6_28649:                            ;   in Loop: Header=BB6_28646 Depth=3
	s_sleep 1
	s_trap 2
	ds_read_b64 v[0:1], v0
	s_waitcnt lgkmcnt(0)
	buffer_load_dword v2, off, s[0:3], s33 offset:76 ; 4-byte Folded Reload
	buffer_load_dword v3, off, s[0:3], s33 offset:80 ; 4-byte Folded Reload
	s_andn2_b64 s[36:37], s[36:37], exec
	s_waitcnt vmcnt(0)
	v_cmp_ge_u64_e32 vcc, v[0:1], v[2:3]
	s_orn2_b64 vcc, vcc, exec
	s_branch .LBB6_28645
.LBB6_28650:                            ;   in Loop: Header=BB6_28595 Depth=2
	s_or_b64 exec, exec, s[30:31]
	s_and_saveexec_b64 s[62:63], s[34:35]
	s_xor_b64 s[62:63], exec, s[62:63]
	s_cbranch_execz .LBB6_28652
; %bb.28651:                            ;   in Loop: Header=BB6_28595 Depth=2
	v_mov_b32_e32 v0, 1
	ds_write_b32 v0, v0
	s_trap 2
.LBB6_28652:                            ;   in Loop: Header=BB6_28595 Depth=2
	s_or_b64 exec, exec, s[94:95]
	;;#ASMSTART
	s_wakeup
	;;#ASMEND
.LBB6_28653:                            ;   in Loop: Header=BB6_28595 Depth=2
	s_or_b64 exec, exec, s[92:93]
.LBB6_28654:                            ;   in Loop: Header=BB6_28595 Depth=2
	s_andn2_saveexec_b64 s[90:91], s[90:91]
	s_cbranch_execz .LBB6_28656
; %bb.28655:                            ;   in Loop: Header=BB6_28595 Depth=2
	s_waitcnt vmcnt(0) lgkmcnt(0)
	buffer_wbinvl1_vol
	s_barrier
.LBB6_28656:                            ;   in Loop: Header=BB6_28595 Depth=2
	s_or_b64 exec, exec, s[90:91]
.LBB6_28657:                            ;   in Loop: Header=BB6_28595 Depth=2
	s_or_b64 exec, exec, s[26:27]
	v_sub_u32_e32 v0, v8, v10
	v_min_i32_e32 v9, v9, v0
	s_trap 2
	ds_read_b64 v[0:1], v0
	s_waitcnt lgkmcnt(0)
	v_cmp_eq_u64_e32 vcc, 0, v[0:1]
	s_cbranch_vccnz .LBB6_28665
; %bb.28658:                            ;   in Loop: Header=BB6_28595 Depth=2
	s_trap 2
	ds_read_b64 v[2:3], v0
	s_waitcnt lgkmcnt(0)
	v_cmp_eq_u64_e32 vcc, 0, v[2:3]
	s_cbranch_vccnz .LBB6_28665
; %bb.28659:                            ;   in Loop: Header=BB6_28595 Depth=2
	s_mov_b64 s[26:27], -1
	s_and_saveexec_b64 s[90:91], s[16:17]
	s_cbranch_execz .LBB6_28661
; %bb.28660:                            ;   in Loop: Header=BB6_28595 Depth=2
	ds_read_b32 v5, v0 offset:720
	s_waitcnt lgkmcnt(0)
	v_and_b32_e32 v5, 15, v5
	v_cmp_eq_u32_e32 vcc, 0, v5
	s_orn2_b64 s[26:27], vcc, exec
.LBB6_28661:                            ;   in Loop: Header=BB6_28595 Depth=2
	s_or_b64 exec, exec, s[90:91]
	s_and_saveexec_b64 s[90:91], s[14:15]
	s_cbranch_execz .LBB6_28663
; %bb.28662:                            ;   in Loop: Header=BB6_28595 Depth=2
	ds_read_b32 v5, v0 offset:784
	s_waitcnt lgkmcnt(0)
	v_and_b32_e32 v5, 15, v5
	v_cmp_eq_u32_e32 vcc, 0, v5
	s_and_b64 s[62:63], s[26:27], vcc
	s_andn2_b64 s[26:27], s[26:27], exec
	s_and_b64 s[62:63], s[62:63], exec
	s_or_b64 s[26:27], s[26:27], s[62:63]
.LBB6_28663:                            ;   in Loop: Header=BB6_28595 Depth=2
	s_or_b64 exec, exec, s[90:91]
	buffer_load_dword v6, off, s[0:3], s33 offset:480 ; 4-byte Folded Reload
	v_cmp_eq_u32_e32 vcc, 0, v4
	s_xor_b64 s[26:27], s[26:27], -1
	v_cndmask_b32_e32 v13, 0, v9, vcc
	v_cndmask_b32_e64 v4, 0, 1, s[26:27]
	s_mov_b64 s[92:93], -1
	v_cmp_ne_u32_e32 vcc, 0, v4
	v_mov_b32_e32 v4, 0
	v_mov_b32_e32 v5, v13
	s_cbranch_vccz .LBB6_28670
; %bb.28664:                            ;   in Loop: Header=BB6_28595 Depth=2
	s_and_saveexec_b64 s[26:27], s[92:93]
	s_cbranch_execnz .LBB6_28681
	s_branch .LBB6_28689
.LBB6_28665:                            ;   in Loop: Header=BB6_28595 Depth=2
	s_mov_b64 s[26:27], 0
	s_and_saveexec_b64 s[90:91], s[12:13]
	s_cbranch_execnz .LBB6_28690
.LBB6_28666:                            ;   in Loop: Header=BB6_28595 Depth=2
	s_or_b64 exec, exec, s[90:91]
	s_and_saveexec_b64 s[62:63], s[18:19]
	s_xor_b64 s[90:91], exec, s[62:63]
	s_cbranch_execz .LBB6_28708
.LBB6_28667:                            ;   in Loop: Header=BB6_28595 Depth=2
	buffer_load_dword v0, off, s[0:3], s33 offset:72 ; 4-byte Folded Reload
	s_waitcnt vmcnt(0)
	v_and_b32_e32 v0, 16, v0
	v_cmp_ne_u32_e32 vcc, 0, v0
	s_and_b64 s[62:63], vcc, s[26:27]
	s_and_saveexec_b64 s[26:27], s[62:63]
	s_cbranch_execz .LBB6_28669
; %bb.28668:                            ;   in Loop: Header=BB6_28595 Depth=2
	s_waitcnt lgkmcnt(0)
	buffer_wbinvl1_vol
.LBB6_28669:                            ;   in Loop: Header=BB6_28595 Depth=2
	s_or_b64 exec, exec, s[26:27]
	s_andn2_saveexec_b64 s[26:27], s[90:91]
	s_cbranch_execz .LBB6_28727
	s_branch .LBB6_28709
.LBB6_28670:                            ;   in Loop: Header=BB6_28595 Depth=2
	v_ashrrev_i32_e32 v4, 31, v13
	v_lshrrev_b32_e32 v4, 19, v4
	v_add_u32_e32 v4, v13, v4
	v_ashrrev_i32_e32 v15, 13, v4
	buffer_load_dword v4, off, s[0:3], s33 offset:524 ; 4-byte Folded Reload
	s_waitcnt vmcnt(0)
	v_sub_u32_e32 v14, v15, v4
	v_cmp_lt_i32_e32 vcc, 0, v14
	s_and_saveexec_b64 s[90:91], vcc
	s_cbranch_execz .LBB6_28674
; %bb.28671:                            ;   in Loop: Header=BB6_28595 Depth=2
	buffer_load_dword v32, off, s[0:3], s33 offset:284 ; 4-byte Folded Reload
	buffer_load_dword v46, off, s[0:3], s33 offset:684 ; 4-byte Folded Reload
	;; [unrolled: 1-line block ×3, first 2 shown]
	v_mov_b32_e32 v5, v3
	v_mov_b32_e32 v7, v1
	s_mov_b64 s[92:93], 0
	v_mov_b32_e32 v4, v2
	v_mov_b32_e32 v6, v0
.LBB6_28672:                            ;   Parent Loop BB6_47 Depth=1
                                        ;     Parent Loop BB6_28595 Depth=2
                                        ; =>    This Inner Loop Header: Depth=3
	s_waitcnt vmcnt(0)
	v_add_co_u32_e32 v34, vcc, v47, v6
	v_addc_co_u32_e32 v35, vcc, 0, v7, vcc
	v_add_co_u32_e32 v38, vcc, s9, v34
	v_addc_co_u32_e32 v39, vcc, 0, v35, vcc
	global_load_dwordx4 v[16:19], v[34:35], off glc slc
	global_load_dwordx4 v[20:23], v[34:35], off offset:1024 glc slc
	global_load_dwordx4 v[24:27], v[34:35], off offset:2048 glc slc
	;; [unrolled: 1-line block ×3, first 2 shown]
	s_nop 0
	global_load_dwordx4 v[34:37], v[38:39], off glc slc
	global_load_dwordx4 v[48:51], v[38:39], off offset:1024 glc slc
	global_load_dwordx4 v[52:55], v[38:39], off offset:2048 glc slc
	s_nop 0
	global_load_dwordx4 v[38:41], v[38:39], off offset:3072 glc slc
	v_add_co_u32_e32 v42, vcc, v47, v4
	v_addc_co_u32_e32 v43, vcc, 0, v5, vcc
	v_add_co_u32_e32 v6, vcc, v6, v46
	v_addc_co_u32_e32 v7, vcc, 0, v7, vcc
	v_sub_u32_e32 v14, v14, v32
	v_add_co_u32_e32 v4, vcc, v4, v46
	v_addc_co_u32_e32 v5, vcc, 0, v5, vcc
	v_cmp_gt_i32_e64 s[26:27], 1, v14
	v_add_co_u32_e32 v44, vcc, s9, v42
	s_or_b64 s[92:93], s[26:27], s[92:93]
	v_addc_co_u32_e32 v45, vcc, 0, v43, vcc
	s_waitcnt vmcnt(7)
	global_store_dwordx4 v[42:43], v[16:19], off glc slc
	s_waitcnt vmcnt(7)
	global_store_dwordx4 v[42:43], v[20:23], off offset:1024 glc slc
	s_waitcnt vmcnt(7)
	global_store_dwordx4 v[42:43], v[24:27], off offset:2048 glc slc
	;; [unrolled: 2-line block ×3, first 2 shown]
	s_waitcnt vmcnt(7)
	global_store_dwordx4 v[44:45], v[34:37], off glc slc
	s_waitcnt vmcnt(7)
	global_store_dwordx4 v[44:45], v[48:51], off offset:1024 glc slc
	s_waitcnt vmcnt(7)
	global_store_dwordx4 v[44:45], v[52:55], off offset:2048 glc slc
	;; [unrolled: 2-line block ×3, first 2 shown]
	s_andn2_b64 exec, exec, s[92:93]
	s_cbranch_execnz .LBB6_28672
; %bb.28673:                            ;   in Loop: Header=BB6_28595 Depth=2
	s_or_b64 exec, exec, s[92:93]
.LBB6_28674:                            ;   in Loop: Header=BB6_28595 Depth=2
	s_or_b64 exec, exec, s[90:91]
	v_lshlrev_b32_e32 v7, 13, v15
	v_cmp_ne_u32_e32 vcc, v13, v7
	s_mov_b64 s[92:93], 0
	v_mov_b32_e32 v4, 0
                                        ; implicit-def: $vgpr5
                                        ; implicit-def: $vgpr6
	s_and_saveexec_b64 s[90:91], vcc
	s_cbranch_execz .LBB6_28680
; %bb.28675:                            ;   in Loop: Header=BB6_28595 Depth=2
	buffer_load_dword v6, off, s[0:3], s33 offset:688 ; 4-byte Folded Reload
	v_lshlrev_b32_e32 v4, 6, v14
	v_sub_u32_e32 v5, v13, v7
	s_waitcnt vmcnt(0)
	v_sub_u32_e32 v4, v6, v4
	v_ashrrev_i32_e32 v6, 31, v4
	v_lshrrev_b32_e32 v6, 26, v6
	v_add_u32_e32 v6, v4, v6
	v_ashrrev_i32_e32 v14, 6, v6
	v_and_b32_e32 v6, 0xffffffc0, v6
	v_sub_u32_e32 v6, v4, v6
	v_lshlrev_b32_e32 v4, 4, v6
	v_lshl_add_u32 v16, v14, 10, v4
	v_ashrrev_i32_e32 v4, 31, v5
	v_lshrrev_b32_e32 v4, 22, v4
	v_add_u32_e32 v4, v5, v4
	v_ashrrev_i32_e32 v17, 10, v4
	v_and_b32_e32 v4, 0xfffffc00, v4
	v_sub_u32_e32 v15, v5, v16
	v_sub_u32_e32 v5, v5, v4
	v_cmp_lt_i32_e32 vcc, 15, v5
	v_addc_co_u32_e64 v17, s[26:27], 0, v17, vcc
	v_sub_u32_e32 v14, v17, v14
	v_cmp_lt_i32_e64 s[26:27], 15, v15
	s_and_saveexec_b64 s[92:93], s[26:27]
	s_cbranch_execz .LBB6_28679
; %bb.28676:                            ;   in Loop: Header=BB6_28595 Depth=2
	buffer_load_dword v24, off, s[0:3], s33 offset:284 ; 4-byte Folded Reload
	buffer_load_dword v25, off, s[0:3], s33 offset:444 ; 4-byte Folded Reload
	v_add_u32_e32 v16, v16, v7
	v_ashrrev_i32_e32 v17, 31, v16
	s_mov_b64 s[94:95], 0
.LBB6_28677:                            ;   Parent Loop BB6_47 Depth=1
                                        ;     Parent Loop BB6_28595 Depth=2
                                        ; =>    This Inner Loop Header: Depth=3
	v_add_co_u32_e64 v18, s[26:27], v0, v16
	v_addc_co_u32_e64 v19, s[26:27], v1, v17, s[26:27]
	global_load_dwordx4 v[18:21], v[18:19], off glc slc
	v_add_co_u32_e64 v22, s[26:27], v2, v16
	v_addc_co_u32_e64 v23, s[26:27], v3, v17, s[26:27]
	s_waitcnt vmcnt(1)
	v_add_co_u32_e64 v16, s[26:27], v16, v25
	v_sub_u32_e32 v15, v15, v25
	v_addc_co_u32_e64 v17, s[26:27], 0, v17, s[26:27]
	v_cmp_gt_i32_e64 s[26:27], 16, v15
	v_sub_u32_e32 v14, v14, v24
	s_or_b64 s[94:95], s[26:27], s[94:95]
	s_waitcnt vmcnt(0)
	global_store_dwordx4 v[22:23], v[18:21], off glc slc
	s_andn2_b64 exec, exec, s[94:95]
	s_cbranch_execnz .LBB6_28677
; %bb.28678:                            ;   in Loop: Header=BB6_28595 Depth=2
	s_or_b64 exec, exec, s[94:95]
.LBB6_28679:                            ;   in Loop: Header=BB6_28595 Depth=2
	s_or_b64 exec, exec, s[92:93]
	v_and_b32_e32 v15, 15, v13
	v_sub_u32_e32 v16, v5, v15
	v_cndmask_b32_e32 v16, 0, v16, vcc
	v_add3_u32 v4, v4, v7, v16
	buffer_load_dword v7, off, s[0:3], s33 offset:284 ; 4-byte Folded Reload
	v_cndmask_b32_e32 v5, v5, v15, vcc
	v_cmp_lt_i32_e32 vcc, 0, v14
	s_waitcnt vmcnt(0)
	v_cndmask_b32_e32 v7, 0, v7, vcc
	v_sub_u32_e32 v7, v7, v14
	v_cmp_ne_u32_e32 vcc, 0, v5
	v_lshl_add_u32 v6, v7, 6, v6
	s_and_b64 s[92:93], vcc, exec
.LBB6_28680:                            ;   in Loop: Header=BB6_28595 Depth=2
	s_or_b64 exec, exec, s[90:91]
	s_and_saveexec_b64 s[26:27], s[92:93]
	s_cbranch_execz .LBB6_28689
.LBB6_28681:                            ;   in Loop: Header=BB6_28595 Depth=2
	s_waitcnt vmcnt(0)
	v_ashrrev_i32_e32 v7, 31, v6
	v_ashrrev_i32_e32 v14, 31, v5
	v_lshrrev_b32_e32 v7, 26, v7
	v_lshrrev_b32_e32 v14, 21, v14
	v_add_u32_e32 v16, v6, v7
	v_add_u32_e32 v14, v5, v14
	v_ashrrev_i32_e32 v7, 6, v16
	v_ashrrev_i32_e32 v15, 11, v14
	v_sub_u32_e32 v14, v15, v7
	v_cmp_lt_i32_e32 vcc, 0, v14
	s_and_saveexec_b64 s[90:91], vcc
	s_cbranch_execz .LBB6_28685
; %bb.28682:                            ;   in Loop: Header=BB6_28595 Depth=2
	buffer_load_dword v45, off, s[0:3], s33 offset:284 ; 4-byte Folded Reload
	buffer_load_dword v46, off, s[0:3], s33 offset:396 ; 4-byte Folded Reload
	v_and_b32_e32 v16, 0xffffffc0, v16
	v_sub_u32_e32 v16, v6, v16
	v_lshlrev_b32_e32 v17, 11, v7
	v_add3_u32 v16, v4, v16, v17
	v_ashrrev_i32_e32 v17, 31, v16
	s_mov_b64 s[92:93], 0
.LBB6_28683:                            ;   Parent Loop BB6_47 Depth=1
                                        ;     Parent Loop BB6_28595 Depth=2
                                        ; =>    This Inner Loop Header: Depth=3
	v_add_co_u32_e32 v18, vcc, v16, v0
	v_addc_co_u32_e32 v19, vcc, v17, v1, vcc
	flat_load_ubyte v20, v[18:19] glc slc
	flat_load_ubyte v21, v[18:19] offset:64 glc slc
	flat_load_ubyte v22, v[18:19] offset:128 glc slc
	flat_load_ubyte v23, v[18:19] offset:192 glc slc
	flat_load_ubyte v24, v[18:19] offset:256 glc slc
	flat_load_ubyte v25, v[18:19] offset:320 glc slc
	flat_load_ubyte v26, v[18:19] offset:384 glc slc
	flat_load_ubyte v27, v[18:19] offset:448 glc slc
	flat_load_ubyte v28, v[18:19] offset:512 glc slc
	flat_load_ubyte v29, v[18:19] offset:576 glc slc
	flat_load_ubyte v30, v[18:19] offset:640 glc slc
	flat_load_ubyte v31, v[18:19] offset:704 glc slc
	flat_load_ubyte v32, v[18:19] offset:768 glc slc
	flat_load_ubyte v34, v[18:19] offset:832 glc slc
	flat_load_ubyte v35, v[18:19] offset:896 glc slc
	flat_load_ubyte v36, v[18:19] offset:960 glc slc
	flat_load_ubyte v37, v[18:19] offset:1024 glc slc
	flat_load_ubyte v38, v[18:19] offset:1088 glc slc
	flat_load_ubyte v39, v[18:19] offset:1152 glc slc
	flat_load_ubyte v48, v[18:19] offset:1216 glc slc
	flat_load_ubyte v49, v[18:19] offset:1280 glc slc
	flat_load_ubyte v50, v[18:19] offset:1344 glc slc
	flat_load_ubyte v51, v[18:19] offset:1408 glc slc
	flat_load_ubyte v52, v[18:19] offset:1472 glc slc
	flat_load_ubyte v53, v[18:19] offset:1536 glc slc
	flat_load_ubyte v54, v[18:19] offset:1600 glc slc
	flat_load_ubyte v55, v[18:19] offset:1664 glc slc
	flat_load_ubyte v40, v[18:19] offset:1728 glc slc
	flat_load_ubyte v41, v[18:19] offset:1792 glc slc
	flat_load_ubyte v42, v[18:19] offset:1856 glc slc
	flat_load_ubyte v43, v[18:19] offset:1920 glc slc
	flat_load_ubyte v44, v[18:19] offset:1984 glc slc
	v_add_co_u32_e32 v18, vcc, v16, v2
	v_addc_co_u32_e32 v19, vcc, v17, v3, vcc
	s_waitcnt vmcnt(0)
	v_add_co_u32_e32 v0, vcc, v0, v46
	v_addc_co_u32_e32 v1, vcc, 0, v1, vcc
	v_add_co_u32_e32 v2, vcc, v2, v46
	v_sub_u32_e32 v14, v14, v45
	v_addc_co_u32_e32 v3, vcc, 0, v3, vcc
	v_cmp_gt_i32_e32 vcc, 1, v14
	s_or_b64 s[92:93], vcc, s[92:93]
	s_waitcnt lgkmcnt(0)
	flat_store_byte v[18:19], v20 glc slc
	flat_store_byte v[18:19], v21 offset:64 glc slc
	flat_store_byte v[18:19], v22 offset:128 glc slc
	;; [unrolled: 1-line block ×31, first 2 shown]
	s_andn2_b64 exec, exec, s[92:93]
	s_cbranch_execnz .LBB6_28683
; %bb.28684:                            ;   in Loop: Header=BB6_28595 Depth=2
	s_or_b64 exec, exec, s[92:93]
.LBB6_28685:                            ;   in Loop: Header=BB6_28595 Depth=2
	s_or_b64 exec, exec, s[90:91]
	v_lshlrev_b32_e32 v0, 11, v15
	buffer_load_dword v15, off, s[0:3], s33 offset:404 ; 4-byte Folded Reload
	v_cmp_ne_u32_e32 vcc, v5, v0
	s_and_b64 s[62:63], exec, vcc
	s_mov_b64 exec, s[62:63]
	s_cbranch_execz .LBB6_28689
; %bb.28686:                            ;   in Loop: Header=BB6_28595 Depth=2
	v_lshlrev_b32_e32 v1, 6, v7
	v_sub_u32_e32 v1, v6, v1
	v_lshlrev_b32_e32 v2, 6, v14
	v_sub_u32_e32 v1, v1, v2
	v_add_u32_e32 v0, v0, v1
	v_sub_u32_e32 v2, v5, v0
	v_cmp_lt_i32_e32 vcc, 0, v2
	s_and_b64 exec, exec, vcc
	s_cbranch_execz .LBB6_28689
; %bb.28687:                            ;   in Loop: Header=BB6_28595 Depth=2
	v_add_u32_e32 v3, v0, v4
	s_trap 2
	ds_read_b64 v[0:1], v0
	v_ashrrev_i32_e32 v4, 31, v3
	s_mov_b64 s[90:91], 0
.LBB6_28688:                            ;   Parent Loop BB6_47 Depth=1
                                        ;     Parent Loop BB6_28595 Depth=2
                                        ; =>    This Inner Loop Header: Depth=3
	s_waitcnt lgkmcnt(0)
	v_add_co_u32_e32 v5, vcc, v0, v3
	v_addc_co_u32_e32 v6, vcc, v1, v4, vcc
	flat_load_ubyte v7, v[5:6] glc slc
	s_waitcnt vmcnt(0)
	v_add_co_u32_e32 v3, vcc, v3, v15
	v_sub_u32_e32 v2, v2, v15
	v_addc_co_u32_e32 v4, vcc, 0, v4, vcc
	v_cmp_gt_i32_e32 vcc, 1, v2
	s_or_b64 s[90:91], vcc, s[90:91]
	s_waitcnt lgkmcnt(0)
	flat_store_byte v[5:6], v7 glc slc
	s_andn2_b64 exec, exec, s[90:91]
	s_cbranch_execnz .LBB6_28688
.LBB6_28689:                            ;   in Loop: Header=BB6_28595 Depth=2
	s_or_b64 exec, exec, s[26:27]
	v_cmp_lt_i32_e64 s[26:27], 0, v13
	s_and_saveexec_b64 s[90:91], s[12:13]
	s_cbranch_execz .LBB6_28666
.LBB6_28690:                            ;   in Loop: Header=BB6_28595 Depth=2
	s_and_saveexec_b64 s[62:63], s[58:59]
	s_xor_b64 s[92:93], exec, s[62:63]
	s_cbranch_execz .LBB6_28705
; %bb.28691:                            ;   in Loop: Header=BB6_28595 Depth=2
	s_and_saveexec_b64 s[94:95], s[6:7]
	s_cbranch_execz .LBB6_28704
; %bb.28692:                            ;   in Loop: Header=BB6_28595 Depth=2
	s_mov_b64 s[34:35], exec
	v_mbcnt_lo_u32_b32 v0, s34, 0
	v_mbcnt_hi_u32_b32 v0, s35, v0
	v_cmp_eq_u32_e32 vcc, 0, v0
	s_waitcnt vmcnt(0) lgkmcnt(0)
	buffer_wbinvl1_vol
	s_and_saveexec_b64 s[30:31], vcc
	s_cbranch_execz .LBB6_28694
; %bb.28693:                            ;   in Loop: Header=BB6_28595 Depth=2
	s_bcnt1_i32_b64 s62, s[34:35]
	v_mov_b32_e32 v0, s62
	v_mov_b32_e32 v1, v33
	ds_add_u64 v0, v[0:1]
	s_trap 2
.LBB6_28694:                            ;   in Loop: Header=BB6_28595 Depth=2
	s_or_b64 exec, exec, s[30:31]
	s_trap 2
	ds_read_b64 v[0:1], v0
	s_waitcnt lgkmcnt(0)
	buffer_load_dword v2, off, s[0:3], s33 offset:76 ; 4-byte Folded Reload
	buffer_load_dword v3, off, s[0:3], s33 offset:80 ; 4-byte Folded Reload
	;; [unrolled: 1-line block ×3, first 2 shown]
	s_waitcnt vmcnt(0)
	v_add_co_u32_e32 v2, vcc, v2, v4
	v_addc_co_u32_e32 v3, vcc, 0, v3, vcc
	buffer_store_dword v2, off, s[0:3], s33 offset:76 ; 4-byte Folded Spill
	s_nop 0
	buffer_store_dword v3, off, s[0:3], s33 offset:80 ; 4-byte Folded Spill
	v_cmp_lt_u64_e32 vcc, v[0:1], v[2:3]
	s_and_saveexec_b64 s[30:31], vcc
	s_cbranch_execz .LBB6_28703
; %bb.28695:                            ;   in Loop: Header=BB6_28595 Depth=2
	s_mov_b32 s62, 0
	s_mov_b64 s[34:35], 0
                                        ; implicit-def: $sgpr36_sgpr37
                                        ; implicit-def: $sgpr38_sgpr39
	s_branch .LBB6_28697
.LBB6_28696:                            ;   in Loop: Header=BB6_28697 Depth=3
	s_or_b64 exec, exec, s[50:51]
	s_and_b64 vcc, exec, vcc
	s_or_b64 s[34:35], vcc, s[34:35]
	s_andn2_b64 vcc, s[36:37], exec
	s_and_b64 s[36:37], s[38:39], exec
	s_or_b64 s[36:37], vcc, s[36:37]
	s_andn2_b64 exec, exec, s[34:35]
	s_cbranch_execz .LBB6_28701
.LBB6_28697:                            ;   Parent Loop BB6_47 Depth=1
                                        ;     Parent Loop BB6_28595 Depth=2
                                        ; =>    This Inner Loop Header: Depth=3
	s_add_i32 s62, s62, 1
	s_cmpk_lg_i32 s62, 0x2710
	s_cselect_b64 s[48:49], -1, 0
	s_and_b64 vcc, exec, s[48:49]
	s_cbranch_vccz .LBB6_28699
; %bb.28698:                            ;   in Loop: Header=BB6_28697 Depth=3
	s_mov_b64 vcc, -1
	s_or_b64 s[38:39], s[38:39], exec
	s_and_saveexec_b64 s[50:51], s[48:49]
	s_cbranch_execz .LBB6_28696
	s_branch .LBB6_28700
.LBB6_28699:                            ;   in Loop: Header=BB6_28697 Depth=3
	s_trap 2
	ds_read_b64 v[0:1], v0
	s_andn2_b64 s[48:49], s[48:49], exec
	s_mov_b32 s62, 0
	s_waitcnt vmcnt(0) lgkmcnt(0)
	flat_load_dword v0, v[0:1] glc
	s_waitcnt vmcnt(0) lgkmcnt(0)
	buffer_wbinvl1_vol
	v_cmp_eq_u32_e32 vcc, 0, v0
	s_and_b64 vcc, vcc, exec
	s_or_b64 s[48:49], s[48:49], vcc
	s_mov_b64 vcc, -1
	s_or_b64 s[38:39], s[38:39], exec
	s_and_saveexec_b64 s[50:51], s[48:49]
	s_cbranch_execz .LBB6_28696
.LBB6_28700:                            ;   in Loop: Header=BB6_28697 Depth=3
	s_sleep 1
	s_trap 2
	ds_read_b64 v[0:1], v0
	s_waitcnt lgkmcnt(0)
	buffer_load_dword v2, off, s[0:3], s33 offset:76 ; 4-byte Folded Reload
	buffer_load_dword v3, off, s[0:3], s33 offset:80 ; 4-byte Folded Reload
	s_andn2_b64 s[38:39], s[38:39], exec
	s_waitcnt vmcnt(0)
	v_cmp_ge_u64_e32 vcc, v[0:1], v[2:3]
	s_orn2_b64 vcc, vcc, exec
	s_branch .LBB6_28696
.LBB6_28701:                            ;   in Loop: Header=BB6_28595 Depth=2
	s_or_b64 exec, exec, s[34:35]
	s_and_saveexec_b64 s[62:63], s[36:37]
	s_xor_b64 s[62:63], exec, s[62:63]
	s_cbranch_execz .LBB6_28703
; %bb.28702:                            ;   in Loop: Header=BB6_28595 Depth=2
	v_mov_b32_e32 v0, 1
	ds_write_b32 v0, v0
	s_trap 2
.LBB6_28703:                            ;   in Loop: Header=BB6_28595 Depth=2
	s_or_b64 exec, exec, s[30:31]
	;;#ASMSTART
	s_wakeup
	;;#ASMEND
.LBB6_28704:                            ;   in Loop: Header=BB6_28595 Depth=2
	s_or_b64 exec, exec, s[94:95]
.LBB6_28705:                            ;   in Loop: Header=BB6_28595 Depth=2
	s_andn2_saveexec_b64 s[92:93], s[92:93]
	s_cbranch_execz .LBB6_28707
; %bb.28706:                            ;   in Loop: Header=BB6_28595 Depth=2
	s_waitcnt vmcnt(0) lgkmcnt(0)
	buffer_wbinvl1_vol
	s_barrier
.LBB6_28707:                            ;   in Loop: Header=BB6_28595 Depth=2
	s_or_b64 exec, exec, s[92:93]
	s_or_b64 exec, exec, s[90:91]
	s_and_saveexec_b64 s[62:63], s[18:19]
	s_xor_b64 s[90:91], exec, s[62:63]
	s_cbranch_execnz .LBB6_28667
.LBB6_28708:                            ;   in Loop: Header=BB6_28595 Depth=2
	s_andn2_saveexec_b64 s[26:27], s[90:91]
	s_cbranch_execz .LBB6_28727
.LBB6_28709:                            ;   in Loop: Header=BB6_28595 Depth=2
	s_and_saveexec_b64 s[62:63], s[58:59]
	s_xor_b64 s[90:91], exec, s[62:63]
	s_cbranch_execz .LBB6_28724
; %bb.28710:                            ;   in Loop: Header=BB6_28595 Depth=2
	s_and_saveexec_b64 s[92:93], s[6:7]
	s_cbranch_execz .LBB6_28723
; %bb.28711:                            ;   in Loop: Header=BB6_28595 Depth=2
	s_mov_b64 s[30:31], exec
	v_mbcnt_lo_u32_b32 v0, s30, 0
	v_mbcnt_hi_u32_b32 v0, s31, v0
	v_cmp_eq_u32_e32 vcc, 0, v0
	;;#ASMSTART
	s_waitcnt lgkmcnt(0) vmcnt(0)
	;;#ASMEND
	s_and_saveexec_b64 s[94:95], vcc
	s_cbranch_execz .LBB6_28713
; %bb.28712:                            ;   in Loop: Header=BB6_28595 Depth=2
	s_bcnt1_i32_b64 s62, s[30:31]
	v_mov_b32_e32 v0, s62
	v_mov_b32_e32 v1, v33
	s_waitcnt lgkmcnt(0)
	ds_add_u64 v0, v[0:1]
	s_trap 2
.LBB6_28713:                            ;   in Loop: Header=BB6_28595 Depth=2
	s_or_b64 exec, exec, s[94:95]
	s_trap 2
	ds_read_b64 v[0:1], v0
	s_waitcnt lgkmcnt(0)
	buffer_load_dword v2, off, s[0:3], s33 offset:76 ; 4-byte Folded Reload
	buffer_load_dword v3, off, s[0:3], s33 offset:80 ; 4-byte Folded Reload
	;; [unrolled: 1-line block ×3, first 2 shown]
	s_waitcnt vmcnt(0)
	v_add_co_u32_e32 v2, vcc, v2, v4
	v_addc_co_u32_e32 v3, vcc, 0, v3, vcc
	buffer_store_dword v2, off, s[0:3], s33 offset:76 ; 4-byte Folded Spill
	s_nop 0
	buffer_store_dword v3, off, s[0:3], s33 offset:80 ; 4-byte Folded Spill
	v_cmp_lt_u64_e32 vcc, v[0:1], v[2:3]
	s_and_saveexec_b64 s[94:95], vcc
	s_cbranch_execz .LBB6_28722
; %bb.28714:                            ;   in Loop: Header=BB6_28595 Depth=2
	s_mov_b32 s62, 0
	s_mov_b64 s[30:31], 0
                                        ; implicit-def: $sgpr34_sgpr35
                                        ; implicit-def: $sgpr36_sgpr37
	s_branch .LBB6_28716
.LBB6_28715:                            ;   in Loop: Header=BB6_28716 Depth=3
	s_or_b64 exec, exec, s[48:49]
	s_and_b64 vcc, exec, vcc
	s_or_b64 s[30:31], vcc, s[30:31]
	s_andn2_b64 vcc, s[34:35], exec
	s_and_b64 s[34:35], s[36:37], exec
	s_or_b64 s[34:35], vcc, s[34:35]
	s_andn2_b64 exec, exec, s[30:31]
	s_cbranch_execz .LBB6_28720
.LBB6_28716:                            ;   Parent Loop BB6_47 Depth=1
                                        ;     Parent Loop BB6_28595 Depth=2
                                        ; =>    This Inner Loop Header: Depth=3
	s_add_i32 s62, s62, 1
	s_cmpk_lg_i32 s62, 0x2710
	s_cselect_b64 s[38:39], -1, 0
	s_and_b64 vcc, exec, s[38:39]
	s_cbranch_vccz .LBB6_28718
; %bb.28717:                            ;   in Loop: Header=BB6_28716 Depth=3
	s_mov_b64 vcc, -1
	s_or_b64 s[36:37], s[36:37], exec
	s_and_saveexec_b64 s[48:49], s[38:39]
	s_cbranch_execz .LBB6_28715
	s_branch .LBB6_28719
.LBB6_28718:                            ;   in Loop: Header=BB6_28716 Depth=3
	s_trap 2
	ds_read_b64 v[0:1], v0
	s_andn2_b64 s[38:39], s[38:39], exec
	s_mov_b32 s62, 0
	s_waitcnt vmcnt(0) lgkmcnt(0)
	flat_load_dword v0, v[0:1] glc
	s_waitcnt vmcnt(0) lgkmcnt(0)
	buffer_wbinvl1_vol
	v_cmp_eq_u32_e32 vcc, 0, v0
	s_and_b64 vcc, vcc, exec
	s_or_b64 s[38:39], s[38:39], vcc
	s_mov_b64 vcc, -1
	s_or_b64 s[36:37], s[36:37], exec
	s_and_saveexec_b64 s[48:49], s[38:39]
	s_cbranch_execz .LBB6_28715
.LBB6_28719:                            ;   in Loop: Header=BB6_28716 Depth=3
	s_sleep 1
	s_trap 2
	ds_read_b64 v[0:1], v0
	s_waitcnt lgkmcnt(0)
	buffer_load_dword v2, off, s[0:3], s33 offset:76 ; 4-byte Folded Reload
	buffer_load_dword v3, off, s[0:3], s33 offset:80 ; 4-byte Folded Reload
	s_andn2_b64 s[36:37], s[36:37], exec
	s_waitcnt vmcnt(0)
	v_cmp_ge_u64_e32 vcc, v[0:1], v[2:3]
	s_orn2_b64 vcc, vcc, exec
	s_branch .LBB6_28715
.LBB6_28720:                            ;   in Loop: Header=BB6_28595 Depth=2
	s_or_b64 exec, exec, s[30:31]
	s_and_saveexec_b64 s[62:63], s[34:35]
	s_xor_b64 s[62:63], exec, s[62:63]
	s_cbranch_execz .LBB6_28722
; %bb.28721:                            ;   in Loop: Header=BB6_28595 Depth=2
	v_mov_b32_e32 v0, 1
	ds_write_b32 v0, v0
	s_trap 2
.LBB6_28722:                            ;   in Loop: Header=BB6_28595 Depth=2
	s_or_b64 exec, exec, s[94:95]
	;;#ASMSTART
	s_wakeup
	;;#ASMEND
.LBB6_28723:                            ;   in Loop: Header=BB6_28595 Depth=2
	s_or_b64 exec, exec, s[92:93]
.LBB6_28724:                            ;   in Loop: Header=BB6_28595 Depth=2
	s_andn2_saveexec_b64 s[90:91], s[90:91]
	s_cbranch_execz .LBB6_28726
; %bb.28725:                            ;   in Loop: Header=BB6_28595 Depth=2
	;;#ASMSTART
	s_waitcnt lgkmcnt(0) vmcnt(0)
	;;#ASMEND
	s_waitcnt vmcnt(0) lgkmcnt(0)
	s_barrier
.LBB6_28726:                            ;   in Loop: Header=BB6_28595 Depth=2
	s_or_b64 exec, exec, s[90:91]
.LBB6_28727:                            ;   in Loop: Header=BB6_28595 Depth=2
	s_or_b64 exec, exec, s[26:27]
	buffer_load_dword v0, off, s[0:3], s33 offset:72 ; 4-byte Folded Reload
	s_waitcnt vmcnt(0)
	v_and_b32_e32 v0, 32, v0
	v_cmp_ne_u32_e32 vcc, 0, v0
	s_and_saveexec_b64 s[26:27], vcc
	s_cbranch_execz .LBB6_28594
; %bb.28728:                            ;   in Loop: Header=BB6_28595 Depth=2
	buffer_load_dword v2, off, s[0:3], s33 offset:276 ; 4-byte Folded Reload
	buffer_load_dword v3, off, s[0:3], s33 offset:280 ; 4-byte Folded Reload
	;; [unrolled: 1-line block ×4, first 2 shown]
	s_waitcnt vmcnt(0)
	v_add_co_u32_e32 v2, vcc, 2, v2
	v_addc_co_u32_e32 v3, vcc, 0, v3, vcc
	buffer_store_dword v2, off, s[0:3], s33 offset:276 ; 4-byte Folded Spill
	s_nop 0
	buffer_store_dword v3, off, s[0:3], s33 offset:280 ; 4-byte Folded Spill
	flat_store_dwordx2 v[0:1], v[2:3]
	s_branch .LBB6_28594
.LBB6_28729:                            ;   in Loop: Header=BB6_47 Depth=1
	s_or_b64 exec, exec, s[40:41]
.LBB6_28730:                            ;   in Loop: Header=BB6_47 Depth=1
	s_or_b64 exec, exec, s[28:29]
	v_cmp_gt_i32_e32 vcc, 2, v2
	s_and_saveexec_b64 s[28:29], vcc
	s_cbranch_execnz .LBB6_28731
; %bb.28937:                            ;   in Loop: Header=BB6_47 Depth=1
	s_getpc_b64 s[98:99]
.Lpost_getpc77:
	s_add_u32 s98, s98, (.LBB6_46-.Lpost_getpc77)&4294967295
	s_addc_u32 s99, s99, (.LBB6_46-.Lpost_getpc77)>>32
	s_setpc_b64 s[98:99]
.LBB6_28731:                            ;   in Loop: Header=BB6_47 Depth=1
	v_cmp_eq_u32_e64 s[42:43], 0, v2
	s_mov_b64 s[40:41], 0
	s_branch .LBB6_28733
.LBB6_28732:                            ;   in Loop: Header=BB6_28733 Depth=2
	s_or_b64 exec, exec, s[26:27]
	v_add_u32_e32 v10, v9, v10
	s_mov_b64 s[42:43], 0
	s_andn2_b64 exec, exec, s[40:41]
	s_cbranch_execnz .LBB6_28733
; %bb.28939:                            ;   in Loop: Header=BB6_47 Depth=1
	s_getpc_b64 s[98:99]
.Lpost_getpc78:
	s_add_u32 s98, s98, (.LBB6_45-.Lpost_getpc78)&4294967295
	s_addc_u32 s99, s99, (.LBB6_45-.Lpost_getpc78)>>32
	s_setpc_b64 s[98:99]
.LBB6_28733:                            ;   Parent Loop BB6_47 Depth=1
                                        ; =>  This Loop Header: Depth=2
                                        ;       Child Loop BB6_28739 Depth 3
                                        ;       Child Loop BB6_28763 Depth 3
	;; [unrolled: 1-line block ×3, first 2 shown]
	buffer_load_dword v0, off, s[0:3], s33 offset:72 ; 4-byte Folded Reload
	s_waitcnt vmcnt(0)
	v_and_b32_e32 v0, 4, v0
	v_cmp_ne_u32_e32 vcc, 0, v0
	s_and_saveexec_b64 s[90:91], vcc
	s_cbranch_execz .LBB6_28755
; %bb.28734:                            ;   in Loop: Header=BB6_28733 Depth=2
	buffer_load_dword v0, off, s[0:3], s33 offset:276 ; 4-byte Folded Reload
	buffer_load_dword v1, off, s[0:3], s33 offset:280 ; 4-byte Folded Reload
	buffer_load_dword v2, off, s[0:3], s33 offset:56 ; 4-byte Folded Reload
	buffer_load_dword v3, off, s[0:3], s33 offset:60 ; 4-byte Folded Reload
	s_waitcnt vmcnt(0)
	v_add_co_u32_e32 v0, vcc, 2, v0
	v_addc_co_u32_e32 v1, vcc, 0, v1, vcc
	v_cmp_lt_u64_e32 vcc, v[2:3], v[0:1]
	s_and_saveexec_b64 s[92:93], vcc
	s_cbranch_execz .LBB6_28746
; %bb.28735:                            ;   in Loop: Header=BB6_28733 Depth=2
	buffer_load_dword v2, off, s[0:3], s33 offset:72 ; 4-byte Folded Reload
	s_mov_b32 s62, 0
	s_mov_b64 s[94:95], 0
                                        ; implicit-def: $sgpr30_sgpr31
                                        ; implicit-def: $sgpr34_sgpr35
                                        ; implicit-def: $sgpr36_sgpr37
	s_waitcnt vmcnt(0)
	v_and_b32_e32 v2, 64, v2
	v_cmp_eq_u32_e32 vcc, 0, v2
	s_branch .LBB6_28739
.LBB6_28736:                            ;   in Loop: Header=BB6_28739 Depth=3
	buffer_load_dword v3, off, s[0:3], s33 offset:56 ; 4-byte Folded Reload
	buffer_load_dword v4, off, s[0:3], s33 offset:60 ; 4-byte Folded Reload
	s_or_b64 s[50:51], s[50:51], exec
	s_waitcnt vmcnt(0)
	v_cmp_ge_u64_e64 s[26:27], v[3:4], v[0:1]
	s_orn2_b64 s[48:49], s[26:27], exec
.LBB6_28737:                            ;   in Loop: Header=BB6_28739 Depth=3
	s_or_b64 exec, exec, s[54:55]
	s_andn2_b64 s[26:27], s[36:37], exec
	s_and_b64 s[36:37], s[50:51], exec
	s_or_b64 s[36:37], s[26:27], s[36:37]
	s_andn2_b64 s[26:27], s[34:35], exec
	s_and_b64 s[34:35], s[48:49], exec
	s_or_b64 s[34:35], s[26:27], s[34:35]
.LBB6_28738:                            ;   in Loop: Header=BB6_28739 Depth=3
	s_or_b64 exec, exec, s[38:39]
	s_and_b64 s[26:27], exec, s[34:35]
	s_or_b64 s[94:95], s[26:27], s[94:95]
	s_andn2_b64 s[26:27], s[30:31], exec
	s_and_b64 s[30:31], s[36:37], exec
	s_or_b64 s[30:31], s[26:27], s[30:31]
	s_andn2_b64 exec, exec, s[94:95]
	s_cbranch_execz .LBB6_28743
.LBB6_28739:                            ;   Parent Loop BB6_47 Depth=1
                                        ;     Parent Loop BB6_28733 Depth=2
                                        ; =>    This Inner Loop Header: Depth=3
	s_sleep 1
	buffer_load_dword v2, off, s[0:3], s33 offset:64 ; 4-byte Folded Reload
	buffer_load_dword v3, off, s[0:3], s33 offset:68 ; 4-byte Folded Reload
	s_or_b64 s[36:37], s[36:37], exec
	s_or_b64 s[34:35], s[34:35], exec
	s_waitcnt vmcnt(0)
	flat_load_dwordx2 v[2:3], v[2:3] glc
	s_waitcnt vmcnt(0) lgkmcnt(0)
	buffer_store_dword v2, off, s[0:3], s33 offset:56 ; 4-byte Folded Spill
	s_nop 0
	buffer_store_dword v3, off, s[0:3], s33 offset:60 ; 4-byte Folded Spill
                                        ; implicit-def: $vgpr2
	s_and_saveexec_b64 s[38:39], vcc
	s_cbranch_execz .LBB6_28738
; %bb.28740:                            ;   in Loop: Header=BB6_28739 Depth=3
	s_cmpk_lt_i32 s62, 0x270f
	s_cselect_b64 s[52:53], -1, 0
	s_cmpk_gt_i32 s62, 0x270e
	s_mov_b64 s[48:49], -1
	s_cbranch_scc0 .LBB6_28742
; %bb.28741:                            ;   in Loop: Header=BB6_28739 Depth=3
	s_trap 2
	ds_read_b64 v[2:3], v0
	s_andn2_b64 s[52:53], s[52:53], exec
	s_mov_b32 s62, 0
	s_mov_b64 s[50:51], 0
	s_waitcnt vmcnt(0) lgkmcnt(0)
	flat_load_dword v2, v[2:3] glc
	s_waitcnt vmcnt(0) lgkmcnt(0)
	buffer_wbinvl1_vol
	v_cmp_eq_u32_e64 s[26:27], 0, v2
	s_and_b64 s[26:27], s[26:27], exec
	s_or_b64 s[52:53], s[52:53], s[26:27]
	s_and_saveexec_b64 s[54:55], s[52:53]
	s_cbranch_execz .LBB6_28737
	s_branch .LBB6_28736
.LBB6_28742:                            ;   in Loop: Header=BB6_28739 Depth=3
	s_add_i32 s62, s62, 1
	s_mov_b64 s[50:51], -1
                                        ; implicit-def: $vgpr2
	s_and_saveexec_b64 s[54:55], s[52:53]
	s_cbranch_execz .LBB6_28737
	s_branch .LBB6_28736
.LBB6_28743:                            ;   in Loop: Header=BB6_28733 Depth=2
	s_or_b64 exec, exec, s[94:95]
	s_xor_b64 s[26:27], s[30:31], -1
	s_and_saveexec_b64 s[62:63], s[26:27]
	s_xor_b64 s[26:27], exec, s[62:63]
	s_cbranch_execz .LBB6_28745
; %bb.28744:                            ;   in Loop: Header=BB6_28733 Depth=2
	ds_write_b32 v0, v2
	s_trap 2
	buffer_load_dword v2, off, s[0:3], s33 offset:72 ; 4-byte Folded Reload
	s_waitcnt vmcnt(0)
	v_or_b32_e32 v2, 64, v2
	buffer_store_dword v2, off, s[0:3], s33 offset:72 ; 4-byte Folded Spill
.LBB6_28745:                            ;   in Loop: Header=BB6_28733 Depth=2
	s_or_b64 exec, exec, s[26:27]
.LBB6_28746:                            ;   in Loop: Header=BB6_28733 Depth=2
	s_or_b64 exec, exec, s[92:93]
	;;#ASMSTART
	s_wakeup
	;;#ASMEND
	buffer_load_dword v2, off, s[0:3], s33 offset:72 ; 4-byte Folded Reload
	s_mov_b64 s[26:27], -1
	s_waitcnt vmcnt(0)
	v_and_b32_e32 v2, 0x100, v2
	v_cmp_ne_u32_e32 vcc, 0, v2
	buffer_load_dword v2, off, s[0:3], s33 offset:276 ; 4-byte Folded Reload
	buffer_load_dword v3, off, s[0:3], s33 offset:280 ; 4-byte Folded Reload
	s_waitcnt vmcnt(0)
	v_and_b32_e32 v6, 7, v2
                                        ; implicit-def: $vgpr2_vgpr3
	s_and_saveexec_b64 s[92:93], vcc
	s_cbranch_execz .LBB6_28750
; %bb.28747:                            ;   in Loop: Header=BB6_28733 Depth=2
	buffer_load_dword v2, off, s[0:3], s33 offset:420 ; 4-byte Folded Reload
	buffer_load_dword v3, off, s[0:3], s33 offset:424 ; 4-byte Folded Reload
	buffer_load_dword v4, off, s[0:3], s33 offset:428 ; 4-byte Folded Reload
	buffer_load_dword v5, off, s[0:3], s33 offset:432 ; 4-byte Folded Reload
	s_waitcnt vmcnt(0)
	v_mad_u64_u32 v[4:5], s[26:27], v6, 24, v[2:3]
	flat_load_dword v2, v[4:5]
	s_waitcnt vmcnt(0) lgkmcnt(0)
	v_cmp_ne_u32_e32 vcc, 1, v2
	v_cmp_eq_u32_e64 s[26:27], 1, v2
                                        ; implicit-def: $vgpr2_vgpr3
	s_and_saveexec_b64 s[94:95], s[26:27]
	s_cbranch_execz .LBB6_28749
; %bb.28748:                            ;   in Loop: Header=BB6_28733 Depth=2
	flat_load_dword v2, v[4:5] offset:4 glc
	s_waitcnt vmcnt(0) lgkmcnt(0)
	v_ashrrev_i32_e32 v3, 31, v2
.LBB6_28749:                            ;   in Loop: Header=BB6_28733 Depth=2
	s_or_b64 exec, exec, s[94:95]
	s_orn2_b64 s[26:27], vcc, exec
.LBB6_28750:                            ;   in Loop: Header=BB6_28733 Depth=2
	s_or_b64 exec, exec, s[92:93]
	s_and_saveexec_b64 s[92:93], s[26:27]
	s_cbranch_execz .LBB6_28752
; %bb.28751:                            ;   in Loop: Header=BB6_28733 Depth=2
	buffer_load_dword v2, off, s[0:3], s33 offset:456 ; 4-byte Folded Reload
	s_waitcnt vmcnt(0)
	v_mad_i64_i32 v[2:3], s[26:27], v6, v2, 0
.LBB6_28752:                            ;   in Loop: Header=BB6_28733 Depth=2
	s_or_b64 exec, exec, s[92:93]
	buffer_load_dword v4, off, s[0:3], s33 offset:412 ; 4-byte Folded Reload
	buffer_load_dword v5, off, s[0:3], s33 offset:416 ; 4-byte Folded Reload
	s_waitcnt vmcnt(0)
	v_add_co_u32_e32 v2, vcc, v4, v2
	v_addc_co_u32_e32 v3, vcc, v5, v3, vcc
	ds_write_b64 v0, v[2:3] offset:720
	buffer_load_dword v2, off, s[0:3], s33 offset:72 ; 4-byte Folded Reload
	s_waitcnt vmcnt(0)
	v_and_b32_e32 v2, 0x2000, v2
	v_cmp_ne_u32_e32 vcc, 0, v2
	s_and_saveexec_b64 s[26:27], vcc
	s_cbranch_execz .LBB6_28754
; %bb.28753:                            ;   in Loop: Header=BB6_28733 Depth=2
	ds_read_b64 v[2:3], v0 offset:872
	s_waitcnt lgkmcnt(0)
	v_add_co_u32_e32 v2, vcc, 1, v2
	v_addc_co_u32_e32 v3, vcc, 0, v3, vcc
	ds_write_b64 v0, v[2:3] offset:872
.LBB6_28754:                            ;   in Loop: Header=BB6_28733 Depth=2
	s_or_b64 exec, exec, s[26:27]
	buffer_store_dword v0, off, s[0:3], s33 offset:276 ; 4-byte Folded Spill
	s_nop 0
	buffer_store_dword v1, off, s[0:3], s33 offset:280 ; 4-byte Folded Spill
.LBB6_28755:                            ;   in Loop: Header=BB6_28733 Depth=2
	s_or_b64 exec, exec, s[90:91]
	s_xor_b64 s[26:27], s[42:43], -1
	s_and_b64 s[26:27], exec, s[26:27]
	s_or_b64 s[40:41], s[26:27], s[40:41]
	s_and_saveexec_b64 s[26:27], s[12:13]
	s_cbranch_execz .LBB6_28774
; %bb.28756:                            ;   in Loop: Header=BB6_28733 Depth=2
	s_and_saveexec_b64 s[42:43], s[58:59]
	s_xor_b64 s[42:43], exec, s[42:43]
	s_cbranch_execz .LBB6_28771
; %bb.28757:                            ;   in Loop: Header=BB6_28733 Depth=2
	s_and_saveexec_b64 s[90:91], s[6:7]
	s_cbranch_execz .LBB6_28770
; %bb.28758:                            ;   in Loop: Header=BB6_28733 Depth=2
	s_mov_b64 s[94:95], exec
	v_mbcnt_lo_u32_b32 v0, s94, 0
	v_mbcnt_hi_u32_b32 v0, s95, v0
	v_cmp_eq_u32_e32 vcc, 0, v0
	s_waitcnt vmcnt(0) lgkmcnt(0)
	buffer_wbinvl1_vol
	s_and_saveexec_b64 s[92:93], vcc
	s_cbranch_execz .LBB6_28760
; %bb.28759:                            ;   in Loop: Header=BB6_28733 Depth=2
	s_bcnt1_i32_b64 s62, s[94:95]
	v_mov_b32_e32 v0, s62
	v_mov_b32_e32 v1, v33
	ds_add_u64 v0, v[0:1]
	s_trap 2
.LBB6_28760:                            ;   in Loop: Header=BB6_28733 Depth=2
	s_or_b64 exec, exec, s[92:93]
	s_trap 2
	ds_read_b64 v[0:1], v0
	s_waitcnt lgkmcnt(0)
	buffer_load_dword v2, off, s[0:3], s33 offset:76 ; 4-byte Folded Reload
	buffer_load_dword v3, off, s[0:3], s33 offset:80 ; 4-byte Folded Reload
	;; [unrolled: 1-line block ×3, first 2 shown]
	s_waitcnt vmcnt(0)
	v_add_co_u32_e32 v2, vcc, v2, v4
	v_addc_co_u32_e32 v3, vcc, 0, v3, vcc
	buffer_store_dword v2, off, s[0:3], s33 offset:76 ; 4-byte Folded Spill
	s_nop 0
	buffer_store_dword v3, off, s[0:3], s33 offset:80 ; 4-byte Folded Spill
	v_cmp_lt_u64_e32 vcc, v[0:1], v[2:3]
	s_and_saveexec_b64 s[92:93], vcc
	s_cbranch_execz .LBB6_28769
; %bb.28761:                            ;   in Loop: Header=BB6_28733 Depth=2
	s_mov_b32 s62, 0
	s_mov_b64 s[94:95], 0
                                        ; implicit-def: $sgpr30_sgpr31
                                        ; implicit-def: $sgpr34_sgpr35
	s_branch .LBB6_28763
.LBB6_28762:                            ;   in Loop: Header=BB6_28763 Depth=3
	s_or_b64 exec, exec, s[38:39]
	s_and_b64 vcc, exec, vcc
	s_or_b64 s[94:95], vcc, s[94:95]
	s_andn2_b64 vcc, s[30:31], exec
	s_and_b64 s[30:31], s[34:35], exec
	s_or_b64 s[30:31], vcc, s[30:31]
	s_andn2_b64 exec, exec, s[94:95]
	s_cbranch_execz .LBB6_28767
.LBB6_28763:                            ;   Parent Loop BB6_47 Depth=1
                                        ;     Parent Loop BB6_28733 Depth=2
                                        ; =>    This Inner Loop Header: Depth=3
	s_add_i32 s62, s62, 1
	s_cmpk_lg_i32 s62, 0x2710
	s_cselect_b64 s[36:37], -1, 0
	s_and_b64 vcc, exec, s[36:37]
	s_cbranch_vccz .LBB6_28765
; %bb.28764:                            ;   in Loop: Header=BB6_28763 Depth=3
	s_mov_b64 vcc, -1
	s_or_b64 s[34:35], s[34:35], exec
	s_and_saveexec_b64 s[38:39], s[36:37]
	s_cbranch_execz .LBB6_28762
	s_branch .LBB6_28766
.LBB6_28765:                            ;   in Loop: Header=BB6_28763 Depth=3
	s_trap 2
	ds_read_b64 v[0:1], v0
	s_andn2_b64 s[36:37], s[36:37], exec
	s_mov_b32 s62, 0
	s_waitcnt vmcnt(0) lgkmcnt(0)
	flat_load_dword v0, v[0:1] glc
	s_waitcnt vmcnt(0) lgkmcnt(0)
	buffer_wbinvl1_vol
	v_cmp_eq_u32_e32 vcc, 0, v0
	s_and_b64 vcc, vcc, exec
	s_or_b64 s[36:37], s[36:37], vcc
	s_mov_b64 vcc, -1
	s_or_b64 s[34:35], s[34:35], exec
	s_and_saveexec_b64 s[38:39], s[36:37]
	s_cbranch_execz .LBB6_28762
.LBB6_28766:                            ;   in Loop: Header=BB6_28763 Depth=3
	s_sleep 1
	s_trap 2
	ds_read_b64 v[0:1], v0
	s_waitcnt lgkmcnt(0)
	buffer_load_dword v2, off, s[0:3], s33 offset:76 ; 4-byte Folded Reload
	buffer_load_dword v3, off, s[0:3], s33 offset:80 ; 4-byte Folded Reload
	s_andn2_b64 s[34:35], s[34:35], exec
	s_waitcnt vmcnt(0)
	v_cmp_ge_u64_e32 vcc, v[0:1], v[2:3]
	s_orn2_b64 vcc, vcc, exec
	s_branch .LBB6_28762
.LBB6_28767:                            ;   in Loop: Header=BB6_28733 Depth=2
	s_or_b64 exec, exec, s[94:95]
	s_and_saveexec_b64 s[62:63], s[30:31]
	s_xor_b64 s[62:63], exec, s[62:63]
	s_cbranch_execz .LBB6_28769
; %bb.28768:                            ;   in Loop: Header=BB6_28733 Depth=2
	v_mov_b32_e32 v0, 1
	ds_write_b32 v0, v0
	s_trap 2
.LBB6_28769:                            ;   in Loop: Header=BB6_28733 Depth=2
	s_or_b64 exec, exec, s[92:93]
	;;#ASMSTART
	s_wakeup
	;;#ASMEND
.LBB6_28770:                            ;   in Loop: Header=BB6_28733 Depth=2
	s_or_b64 exec, exec, s[90:91]
.LBB6_28771:                            ;   in Loop: Header=BB6_28733 Depth=2
	s_andn2_saveexec_b64 s[42:43], s[42:43]
	s_cbranch_execz .LBB6_28773
; %bb.28772:                            ;   in Loop: Header=BB6_28733 Depth=2
	s_waitcnt vmcnt(0) lgkmcnt(0)
	buffer_wbinvl1_vol
	s_barrier
.LBB6_28773:                            ;   in Loop: Header=BB6_28733 Depth=2
	s_or_b64 exec, exec, s[42:43]
.LBB6_28774:                            ;   in Loop: Header=BB6_28733 Depth=2
	s_or_b64 exec, exec, s[26:27]
	v_sub_u32_e32 v0, v8, v10
	v_min_i32_e32 v9, v9, v0
	s_and_saveexec_b64 s[26:27], s[18:19]
	s_xor_b64 s[26:27], exec, s[26:27]
	s_cbranch_execz .LBB6_28778
; %bb.28775:                            ;   in Loop: Header=BB6_28733 Depth=2
	s_trap 2
	ds_read_b32 v0, v0
	v_cmp_lt_i32_e32 vcc, 0, v9
	s_waitcnt lgkmcnt(0)
	v_readfirstlane_b32 s42, v0
	buffer_load_dword v0, off, s[0:3], s33 offset:72 ; 4-byte Folded Reload
	s_cmp_eq_u32 s42, 0
	s_cselect_b64 s[42:43], -1, 0
	s_and_b64 s[42:43], vcc, s[42:43]
	s_waitcnt vmcnt(0)
	v_and_b32_e32 v0, 16, v0
	v_cmp_ne_u32_e32 vcc, 0, v0
	s_and_b64 s[62:63], vcc, s[42:43]
	s_and_saveexec_b64 s[42:43], s[62:63]
	s_cbranch_execz .LBB6_28777
; %bb.28776:                            ;   in Loop: Header=BB6_28733 Depth=2
	buffer_wbinvl1_vol
.LBB6_28777:                            ;   in Loop: Header=BB6_28733 Depth=2
	s_or_b64 exec, exec, s[42:43]
.LBB6_28778:                            ;   in Loop: Header=BB6_28733 Depth=2
	s_andn2_saveexec_b64 s[26:27], s[26:27]
	s_cbranch_execz .LBB6_28797
; %bb.28779:                            ;   in Loop: Header=BB6_28733 Depth=2
	s_and_saveexec_b64 s[42:43], s[58:59]
	s_xor_b64 s[42:43], exec, s[42:43]
	s_cbranch_execz .LBB6_28794
; %bb.28780:                            ;   in Loop: Header=BB6_28733 Depth=2
	s_and_saveexec_b64 s[90:91], s[6:7]
	s_cbranch_execz .LBB6_28793
; %bb.28781:                            ;   in Loop: Header=BB6_28733 Depth=2
	s_mov_b64 s[94:95], exec
	v_mbcnt_lo_u32_b32 v0, s94, 0
	v_mbcnt_hi_u32_b32 v0, s95, v0
	v_cmp_eq_u32_e32 vcc, 0, v0
	;;#ASMSTART
	s_waitcnt lgkmcnt(0) vmcnt(0)
	;;#ASMEND
	s_and_saveexec_b64 s[92:93], vcc
	s_cbranch_execz .LBB6_28783
; %bb.28782:                            ;   in Loop: Header=BB6_28733 Depth=2
	s_bcnt1_i32_b64 s62, s[94:95]
	v_mov_b32_e32 v0, s62
	v_mov_b32_e32 v1, v33
	s_waitcnt lgkmcnt(0)
	ds_add_u64 v0, v[0:1]
	s_trap 2
.LBB6_28783:                            ;   in Loop: Header=BB6_28733 Depth=2
	s_or_b64 exec, exec, s[92:93]
	s_trap 2
	ds_read_b64 v[0:1], v0
	s_waitcnt lgkmcnt(0)
	buffer_load_dword v2, off, s[0:3], s33 offset:76 ; 4-byte Folded Reload
	buffer_load_dword v3, off, s[0:3], s33 offset:80 ; 4-byte Folded Reload
	;; [unrolled: 1-line block ×3, first 2 shown]
	s_waitcnt vmcnt(0)
	v_add_co_u32_e32 v2, vcc, v2, v4
	v_addc_co_u32_e32 v3, vcc, 0, v3, vcc
	buffer_store_dword v2, off, s[0:3], s33 offset:76 ; 4-byte Folded Spill
	s_nop 0
	buffer_store_dword v3, off, s[0:3], s33 offset:80 ; 4-byte Folded Spill
	v_cmp_lt_u64_e32 vcc, v[0:1], v[2:3]
	s_and_saveexec_b64 s[92:93], vcc
	s_cbranch_execz .LBB6_28792
; %bb.28784:                            ;   in Loop: Header=BB6_28733 Depth=2
	s_mov_b32 s62, 0
	s_mov_b64 s[94:95], 0
                                        ; implicit-def: $sgpr30_sgpr31
                                        ; implicit-def: $sgpr34_sgpr35
	s_branch .LBB6_28786
.LBB6_28785:                            ;   in Loop: Header=BB6_28786 Depth=3
	s_or_b64 exec, exec, s[38:39]
	s_and_b64 vcc, exec, vcc
	s_or_b64 s[94:95], vcc, s[94:95]
	s_andn2_b64 vcc, s[30:31], exec
	s_and_b64 s[30:31], s[34:35], exec
	s_or_b64 s[30:31], vcc, s[30:31]
	s_andn2_b64 exec, exec, s[94:95]
	s_cbranch_execz .LBB6_28790
.LBB6_28786:                            ;   Parent Loop BB6_47 Depth=1
                                        ;     Parent Loop BB6_28733 Depth=2
                                        ; =>    This Inner Loop Header: Depth=3
	s_add_i32 s62, s62, 1
	s_cmpk_lg_i32 s62, 0x2710
	s_cselect_b64 s[36:37], -1, 0
	s_and_b64 vcc, exec, s[36:37]
	s_cbranch_vccz .LBB6_28788
; %bb.28787:                            ;   in Loop: Header=BB6_28786 Depth=3
	s_mov_b64 vcc, -1
	s_or_b64 s[34:35], s[34:35], exec
	s_and_saveexec_b64 s[38:39], s[36:37]
	s_cbranch_execz .LBB6_28785
	s_branch .LBB6_28789
.LBB6_28788:                            ;   in Loop: Header=BB6_28786 Depth=3
	s_trap 2
	ds_read_b64 v[0:1], v0
	s_andn2_b64 s[36:37], s[36:37], exec
	s_mov_b32 s62, 0
	s_waitcnt vmcnt(0) lgkmcnt(0)
	flat_load_dword v0, v[0:1] glc
	s_waitcnt vmcnt(0) lgkmcnt(0)
	buffer_wbinvl1_vol
	v_cmp_eq_u32_e32 vcc, 0, v0
	s_and_b64 vcc, vcc, exec
	s_or_b64 s[36:37], s[36:37], vcc
	s_mov_b64 vcc, -1
	s_or_b64 s[34:35], s[34:35], exec
	s_and_saveexec_b64 s[38:39], s[36:37]
	s_cbranch_execz .LBB6_28785
.LBB6_28789:                            ;   in Loop: Header=BB6_28786 Depth=3
	s_sleep 1
	s_trap 2
	ds_read_b64 v[0:1], v0
	s_waitcnt lgkmcnt(0)
	buffer_load_dword v2, off, s[0:3], s33 offset:76 ; 4-byte Folded Reload
	buffer_load_dword v3, off, s[0:3], s33 offset:80 ; 4-byte Folded Reload
	s_andn2_b64 s[34:35], s[34:35], exec
	s_waitcnt vmcnt(0)
	v_cmp_ge_u64_e32 vcc, v[0:1], v[2:3]
	s_orn2_b64 vcc, vcc, exec
	s_branch .LBB6_28785
.LBB6_28790:                            ;   in Loop: Header=BB6_28733 Depth=2
	s_or_b64 exec, exec, s[94:95]
	s_and_saveexec_b64 s[62:63], s[30:31]
	s_xor_b64 s[62:63], exec, s[62:63]
	s_cbranch_execz .LBB6_28792
; %bb.28791:                            ;   in Loop: Header=BB6_28733 Depth=2
	v_mov_b32_e32 v0, 1
	ds_write_b32 v0, v0
	s_trap 2
.LBB6_28792:                            ;   in Loop: Header=BB6_28733 Depth=2
	s_or_b64 exec, exec, s[92:93]
	;;#ASMSTART
	s_wakeup
	;;#ASMEND
.LBB6_28793:                            ;   in Loop: Header=BB6_28733 Depth=2
	s_or_b64 exec, exec, s[90:91]
.LBB6_28794:                            ;   in Loop: Header=BB6_28733 Depth=2
	s_andn2_saveexec_b64 s[42:43], s[42:43]
	s_cbranch_execz .LBB6_28796
; %bb.28795:                            ;   in Loop: Header=BB6_28733 Depth=2
	;;#ASMSTART
	s_waitcnt lgkmcnt(0) vmcnt(0)
	;;#ASMEND
	s_waitcnt vmcnt(0) lgkmcnt(0)
	s_barrier
.LBB6_28796:                            ;   in Loop: Header=BB6_28733 Depth=2
	s_or_b64 exec, exec, s[42:43]
.LBB6_28797:                            ;   in Loop: Header=BB6_28733 Depth=2
	s_or_b64 exec, exec, s[26:27]
	buffer_load_dword v0, off, s[0:3], s33 offset:72 ; 4-byte Folded Reload
	s_waitcnt vmcnt(0)
	v_and_b32_e32 v0, 32, v0
	v_cmp_ne_u32_e32 vcc, 0, v0
	s_and_saveexec_b64 s[26:27], vcc
	s_cbranch_execz .LBB6_28732
; %bb.28798:                            ;   in Loop: Header=BB6_28733 Depth=2
	buffer_load_dword v2, off, s[0:3], s33 offset:276 ; 4-byte Folded Reload
	buffer_load_dword v3, off, s[0:3], s33 offset:280 ; 4-byte Folded Reload
	;; [unrolled: 1-line block ×4, first 2 shown]
	s_waitcnt vmcnt(0)
	v_add_co_u32_e32 v2, vcc, 2, v2
	v_addc_co_u32_e32 v3, vcc, 0, v3, vcc
	buffer_store_dword v2, off, s[0:3], s33 offset:276 ; 4-byte Folded Spill
	s_nop 0
	buffer_store_dword v3, off, s[0:3], s33 offset:280 ; 4-byte Folded Spill
	flat_store_dwordx2 v[0:1], v[2:3]
	s_branch .LBB6_28732
.LBB6_28799:
	s_or_b64 exec, exec, s[60:61]
	buffer_load_dword v1, off, s[0:3], s33 offset:796 ; 4-byte Folded Reload
	buffer_load_dword v31, off, s[0:3], s33 offset:800 ; 4-byte Folded Reload
	v_readlane_b32 s28, v62, 4
	v_readlane_b32 s29, v62, 5
.LBB6_28800:
	v_readlane_b32 s4, v62, 2
	v_readlane_b32 s5, v62, 3
	s_or_b64 exec, exec, s[4:5]
	buffer_load_dword v2, off, s[0:3], s33 offset:72 ; 4-byte Folded Reload
	s_waitcnt vmcnt(0)
	v_and_b32_e32 v0, 0x800, v2
	v_cmp_eq_u32_e32 vcc, 0, v0
	s_and_saveexec_b64 s[6:7], vcc
	s_cbranch_execz .LBB6_28833
; %bb.28801:
	v_and_b32_e32 v0, 48, v2
	v_cmp_ne_u32_e32 vcc, 0, v0
	s_and_saveexec_b64 s[4:5], vcc
	s_cbranch_execz .LBB6_28803
; %bb.28802:
	buffer_load_dword v2, off, s[0:3], s33 offset:784 ; 4-byte Folded Reload
	buffer_load_dword v3, off, s[0:3], s33 offset:788 ; 4-byte Folded Reload
	buffer_load_dword v4, off, s[0:3], s33 offset:276 ; 4-byte Folded Reload
	buffer_load_dword v5, off, s[0:3], s33 offset:280 ; 4-byte Folded Reload
	s_waitcnt vmcnt(0)
	flat_store_dwordx2 v[2:3], v[4:5] offset:104
.LBB6_28803:
	s_or_b64 exec, exec, s[4:5]
	buffer_load_dword v7, off, s[0:3], s33 offset:72 ; 4-byte Folded Reload
	s_movk_i32 s4, 0x88
	s_waitcnt vmcnt(0)
	v_and_b32_e32 v0, 0x88, v7
	v_cmp_eq_u32_e32 vcc, s4, v0
	s_and_saveexec_b64 s[10:11], vcc
	s_cbranch_execz .LBB6_28813
; %bb.28804:
	buffer_load_dword v2, off, s[0:3], s33 offset:276 ; 4-byte Folded Reload
	buffer_load_dword v3, off, s[0:3], s33 offset:280 ; 4-byte Folded Reload
	s_mov_b32 s8, 0
	s_waitcnt vmcnt(0)
	v_add_u32_e32 v0, 6, v2
	buffer_load_dword v2, off, s[0:3], s33 offset:420 ; 4-byte Folded Reload
	buffer_load_dword v3, off, s[0:3], s33 offset:424 ; 4-byte Folded Reload
	buffer_load_dword v4, off, s[0:3], s33 offset:428 ; 4-byte Folded Reload
	buffer_load_dword v5, off, s[0:3], s33 offset:432 ; 4-byte Folded Reload
	v_and_b32_e32 v0, 7, v0
	s_waitcnt vmcnt(0)
	v_and_b32_e32 v4, 64, v7
	v_mad_u64_u32 v[5:6], s[4:5], v0, 24, v[2:3]
	v_cmp_eq_u32_e64 s[4:5], 0, v4
	flat_load_dwordx2 v[2:3], v[5:6] offset:8 glc
	s_waitcnt vmcnt(0) lgkmcnt(0)
	v_cmp_ne_u64_e32 vcc, -1, v[2:3]
	s_and_b64 s[4:5], vcc, s[4:5]
	s_and_b64 exec, exec, s[4:5]
	s_cbranch_execz .LBB6_28813
; %bb.28805:
	s_mov_b64 s[4:5], 0
                                        ; implicit-def: $sgpr12_sgpr13
                                        ; implicit-def: $sgpr14_sgpr15
	s_branch .LBB6_28808
.LBB6_28806:                            ;   in Loop: Header=BB6_28808 Depth=1
	flat_load_dwordx2 v[3:4], v[5:6] offset:8 glc
	s_waitcnt vmcnt(0)
	s_andn2_b64 s[14:15], s[14:15], exec
	s_waitcnt lgkmcnt(0)
	v_cmp_eq_u64_e32 vcc, -1, v[3:4]
	s_orn2_b64 s[18:19], vcc, exec
.LBB6_28807:                            ;   in Loop: Header=BB6_28808 Depth=1
	s_or_b64 exec, exec, s[20:21]
	s_and_b64 s[16:17], exec, s[18:19]
	s_or_b64 s[4:5], s[16:17], s[4:5]
	s_andn2_b64 s[12:13], s[12:13], exec
	s_and_b64 s[16:17], s[14:15], exec
	s_or_b64 s[12:13], s[12:13], s[16:17]
	s_andn2_b64 exec, exec, s[4:5]
	s_cbranch_execz .LBB6_28811
.LBB6_28808:                            ; =>This Inner Loop Header: Depth=1
	s_cmpk_lt_i32 s8, 0x270f
	s_cselect_b64 s[16:17], -1, 0
	s_and_b64 vcc, exec, s[16:17]
	s_cbranch_vccnz .LBB6_28810
; %bb.28809:                            ;   in Loop: Header=BB6_28808 Depth=1
	s_trap 2
	ds_read_b64 v[2:3], v0
	s_andn2_b64 s[16:17], s[16:17], exec
	s_mov_b32 s8, 0
	s_waitcnt lgkmcnt(0)
	flat_load_dword v2, v[2:3] glc
	s_waitcnt vmcnt(0) lgkmcnt(0)
	buffer_wbinvl1_vol
	v_cmp_eq_u32_e32 vcc, 0, v2
	s_and_b64 s[18:19], vcc, exec
	s_or_b64 s[16:17], s[16:17], s[18:19]
	s_mov_b64 s[18:19], -1
	s_or_b64 s[14:15], s[14:15], exec
	s_and_saveexec_b64 s[20:21], s[16:17]
	s_cbranch_execz .LBB6_28807
	s_branch .LBB6_28806
.LBB6_28810:                            ;   in Loop: Header=BB6_28808 Depth=1
	s_add_i32 s8, s8, 1
                                        ; implicit-def: $vgpr2
	s_mov_b64 s[18:19], -1
	s_or_b64 s[14:15], s[14:15], exec
	s_and_saveexec_b64 s[20:21], s[16:17]
	s_cbranch_execz .LBB6_28807
	s_branch .LBB6_28806
.LBB6_28811:
	s_or_b64 exec, exec, s[4:5]
	s_mov_b64 s[4:5], exec
	buffer_load_dword v7, off, s[0:3], s33 offset:72 ; 4-byte Folded Reload
	s_and_b64 s[8:9], s[4:5], s[12:13]
	s_xor_b64 s[4:5], s[8:9], s[4:5]
	s_mov_b64 exec, s[8:9]
	s_cbranch_execz .LBB6_28813
; %bb.28812:
	ds_write_b32 v0, v2
	s_trap 2
.LBB6_28813:
	s_or_b64 exec, exec, s[10:11]
	s_waitcnt vmcnt(0)
	v_and_b32_e32 v0, 0x2000, v7
	v_cmp_ne_u32_e32 vcc, 0, v0
	s_and_saveexec_b64 s[4:5], vcc
	s_cbranch_execz .LBB6_28815
; %bb.28814:
	s_trap 2
	ds_read_b64 v[2:3], v0
	buffer_load_dword v4, off, s[0:3], s33 offset:804 ; 4-byte Folded Reload
	buffer_load_dword v5, off, s[0:3], s33 offset:808 ; 4-byte Folded Reload
	s_waitcnt vmcnt(0) lgkmcnt(0)
	flat_store_dwordx2 v[4:5], v[2:3] offset:16
.LBB6_28815:
	s_or_b64 exec, exec, s[4:5]
	v_cmp_ne_u32_e32 vcc, 64, v1
	s_and_b64 exec, exec, vcc
	s_cbranch_execz .LBB6_28833
; %bb.28816:
	buffer_load_dword v0, off, s[0:3], s33 offset:792 ; 4-byte Folded Reload
	s_waitcnt vmcnt(0)
	v_cmp_ne_u32_sdwa s[4:5], v1, v0 src0_sel:DWORD src1_sel:WORD_0
	s_and_saveexec_b64 s[8:9], s[4:5]
	s_xor_b64 s[4:5], exec, s[8:9]
	s_cbranch_execz .LBB6_28831
; %bb.28817:
	v_and_b32_e32 v0, 63, v31
	v_cmp_eq_u32_e32 vcc, 0, v0
	s_and_saveexec_b64 s[10:11], vcc
	s_cbranch_execz .LBB6_28830
; %bb.28818:
	s_mov_b64 s[14:15], exec
	v_mbcnt_lo_u32_b32 v0, s14, 0
	v_mbcnt_hi_u32_b32 v0, s15, v0
	v_cmp_eq_u32_e32 vcc, 0, v0
	s_waitcnt lgkmcnt(0)
	buffer_wbinvl1_vol
	s_and_saveexec_b64 s[12:13], vcc
	s_cbranch_execz .LBB6_28820
; %bb.28819:
	s_bcnt1_i32_b64 s8, s[14:15]
	v_mov_b32_e32 v2, s8
	v_mov_b32_e32 v3, 0
	ds_add_u64 v0, v[2:3]
	s_trap 2
.LBB6_28820:
	s_or_b64 exec, exec, s[12:13]
	v_lshrrev_b32_e32 v0, 6, v1
	s_trap 2
	ds_read_b64 v[2:3], v0
	s_waitcnt lgkmcnt(0)
	buffer_load_dword v4, off, s[0:3], s33 offset:76 ; 4-byte Folded Reload
	buffer_load_dword v5, off, s[0:3], s33 offset:80 ; 4-byte Folded Reload
	s_waitcnt vmcnt(1)
	v_add_co_u32_e32 v0, vcc, v4, v0
	s_waitcnt vmcnt(0)
	v_addc_co_u32_e32 v1, vcc, 0, v5, vcc
	v_cmp_lt_u64_e32 vcc, v[2:3], v[0:1]
	s_and_saveexec_b64 s[12:13], vcc
	s_cbranch_execz .LBB6_28829
; %bb.28821:
	s_mov_b32 s8, 0
	s_mov_b64 s[14:15], 0
                                        ; implicit-def: $sgpr16_sgpr17
                                        ; implicit-def: $sgpr18_sgpr19
	s_branch .LBB6_28823
.LBB6_28822:                            ;   in Loop: Header=BB6_28823 Depth=1
	s_or_b64 exec, exec, s[22:23]
	s_and_b64 s[20:21], exec, s[24:25]
	s_or_b64 s[14:15], s[20:21], s[14:15]
	s_andn2_b64 s[16:17], s[16:17], exec
	s_and_b64 s[20:21], s[18:19], exec
	s_or_b64 s[16:17], s[16:17], s[20:21]
	s_andn2_b64 exec, exec, s[14:15]
	s_cbranch_execz .LBB6_28827
.LBB6_28823:                            ; =>This Inner Loop Header: Depth=1
	s_add_i32 s8, s8, 1
	s_cmpk_lg_i32 s8, 0x2710
	s_cselect_b64 s[20:21], -1, 0
	s_and_b64 vcc, exec, s[20:21]
	s_cbranch_vccz .LBB6_28825
; %bb.28824:                            ;   in Loop: Header=BB6_28823 Depth=1
	s_mov_b64 s[24:25], -1
	s_or_b64 s[18:19], s[18:19], exec
	s_and_saveexec_b64 s[22:23], s[20:21]
	s_cbranch_execz .LBB6_28822
	s_branch .LBB6_28826
.LBB6_28825:                            ;   in Loop: Header=BB6_28823 Depth=1
	s_trap 2
	ds_read_b64 v[2:3], v0
	s_andn2_b64 s[20:21], s[20:21], exec
	s_mov_b32 s8, 0
	s_waitcnt lgkmcnt(0)
	flat_load_dword v2, v[2:3] glc
	s_waitcnt vmcnt(0) lgkmcnt(0)
	buffer_wbinvl1_vol
	v_cmp_eq_u32_e32 vcc, 0, v2
	s_and_b64 s[22:23], vcc, exec
	s_or_b64 s[20:21], s[20:21], s[22:23]
	s_mov_b64 s[24:25], -1
	s_or_b64 s[18:19], s[18:19], exec
	s_and_saveexec_b64 s[22:23], s[20:21]
	s_cbranch_execz .LBB6_28822
.LBB6_28826:                            ;   in Loop: Header=BB6_28823 Depth=1
	s_sleep 1
	s_trap 2
	ds_read_b64 v[2:3], v0
	s_waitcnt lgkmcnt(0)
	s_andn2_b64 s[18:19], s[18:19], exec
	v_cmp_ge_u64_e32 vcc, v[2:3], v[0:1]
	s_orn2_b64 s[24:25], vcc, exec
	s_branch .LBB6_28822
.LBB6_28827:
	s_or_b64 exec, exec, s[14:15]
	s_and_saveexec_b64 s[8:9], s[16:17]
	s_xor_b64 s[8:9], exec, s[8:9]
	s_cbranch_execz .LBB6_28829
; %bb.28828:
	v_mov_b32_e32 v0, 1
	ds_write_b32 v0, v0
	s_trap 2
.LBB6_28829:
	s_or_b64 exec, exec, s[12:13]
	;;#ASMSTART
	s_wakeup
	;;#ASMEND
.LBB6_28830:
	s_or_b64 exec, exec, s[10:11]
.LBB6_28831:
	s_andn2_saveexec_b64 s[4:5], s[4:5]
	s_cbranch_execz .LBB6_28833
; %bb.28832:
	s_waitcnt lgkmcnt(0)
	buffer_wbinvl1_vol
	s_barrier
.LBB6_28833:
	s_or_b64 exec, exec, s[6:7]
.LBB6_28834:
	v_readlane_b32 s4, v62, 0
	v_readlane_b32 s5, v62, 1
	s_andn2_saveexec_b64 s[26:27], s[4:5]
	s_cbranch_execz .LBB6_28836
; %bb.28835:
	s_getpc_b64 s[4:5]
	s_add_u32 s4, s4, __PRETTY_FUNCTION__._ZN10PrimitivesI14__hip_fp8_e5m213FuncPreMulSumIS0_E12FanSymmetricILi1EELi0E11ProtoSimpleILi2ELi2ELi0ELi4ELi0ELi0EELi0ELb0ELi0ELi0ELi0EEC2EiiPKiS9_PKvPvmhhhP15ncclDevWorkCollP14ncclDevWorkP2pii@rel32@lo+4
	s_addc_u32 s5, s5, __PRETTY_FUNCTION__._ZN10PrimitivesI14__hip_fp8_e5m213FuncPreMulSumIS0_E12FanSymmetricILi1EELi0E11ProtoSimpleILi2ELi2ELi0ELi4ELi0ELi0EELi0ELb0ELi0ELi0ELi0EEC2EiiPKiS9_PKvPvmhhhP15ncclDevWorkCollP14ncclDevWorkP2pii@rel32@hi+12
	s_getpc_b64 s[6:7]
	s_add_u32 s6, s6, __assert_fail@rel32@lo+4
	s_addc_u32 s7, s7, __assert_fail@rel32@hi+12
	s_mov_b64 s[8:9], s[28:29]
	v_mov_b32_e32 v0, s4
	v_mov_b32_e32 v1, s5
	s_swappc_b64 s[30:31], s[6:7]
	; divergent unreachable
.LBB6_28836:
	s_or_b64 exec, exec, s[26:27]
	buffer_load_dword v61, off, s[0:3], s33 ; 4-byte Folded Reload
	buffer_load_dword v60, off, s[0:3], s33 offset:4 ; 4-byte Folded Reload
	buffer_load_dword v59, off, s[0:3], s33 offset:8 ; 4-byte Folded Reload
	;; [unrolled: 1-line block ×13, first 2 shown]
	v_readlane_b32 s30, v63, 32
	v_readlane_b32 s31, v63, 33
	;; [unrolled: 1-line block ×34, first 2 shown]
	s_mov_b32 s32, s33
	v_readlane_b32 s4, v63, 34
	s_or_saveexec_b64 s[6:7], -1
	buffer_load_dword v63, off, s[0:3], s33 offset:812 ; 4-byte Folded Reload
	buffer_load_dword v62, off, s[0:3], s33 offset:816 ; 4-byte Folded Reload
	s_mov_b64 exec, s[6:7]
	s_mov_b32 s33, s4
	s_waitcnt vmcnt(0) lgkmcnt(0)
	s_setpc_b64 s[30:31]
.Lfunc_end6:
	.size	_ZN12_GLOBAL__N_17runRingI14__hip_fp8_e5m213FuncPreMulSumIS1_E11ProtoSimpleILi2ELi2ELi0ELi4ELi0ELi0EELi0ELi0ELi4ELi0EEEviiP15ncclDevWorkColl, .Lfunc_end6-_ZN12_GLOBAL__N_17runRingI14__hip_fp8_e5m213FuncPreMulSumIS1_E11ProtoSimpleILi2ELi2ELi0ELi4ELi0ELi0EELi0ELi0ELi4ELi0EEEviiP15ncclDevWorkColl
                                        ; -- End function
	.set .L_ZN12_GLOBAL__N_17runRingI14__hip_fp8_e5m213FuncPreMulSumIS1_E11ProtoSimpleILi2ELi2ELi0ELi4ELi0ELi0EELi0ELi0ELi4ELi0EEEviiP15ncclDevWorkColl.num_vgpr, max(64, .L__assert_fail.num_vgpr)
	.set .L_ZN12_GLOBAL__N_17runRingI14__hip_fp8_e5m213FuncPreMulSumIS1_E11ProtoSimpleILi2ELi2ELi0ELi4ELi0ELi0EELi0ELi0ELi4ELi0EEEviiP15ncclDevWorkColl.num_agpr, max(0, .L__assert_fail.num_agpr)
	.set .L_ZN12_GLOBAL__N_17runRingI14__hip_fp8_e5m213FuncPreMulSumIS1_E11ProtoSimpleILi2ELi2ELi0ELi4ELi0ELi0EELi0ELi0ELi4ELi0EEEviiP15ncclDevWorkColl.numbered_sgpr, max(100, .L__assert_fail.numbered_sgpr)
	.set .L_ZN12_GLOBAL__N_17runRingI14__hip_fp8_e5m213FuncPreMulSumIS1_E11ProtoSimpleILi2ELi2ELi0ELi4ELi0ELi0EELi0ELi0ELi4ELi0EEEviiP15ncclDevWorkColl.num_named_barrier, max(0, .L__assert_fail.num_named_barrier)
	.set .L_ZN12_GLOBAL__N_17runRingI14__hip_fp8_e5m213FuncPreMulSumIS1_E11ProtoSimpleILi2ELi2ELi0ELi4ELi0ELi0EELi0ELi0ELi4ELi0EEEviiP15ncclDevWorkColl.private_seg_size, 832+max(.L__assert_fail.private_seg_size)
	.set .L_ZN12_GLOBAL__N_17runRingI14__hip_fp8_e5m213FuncPreMulSumIS1_E11ProtoSimpleILi2ELi2ELi0ELi4ELi0ELi0EELi0ELi0ELi4ELi0EEEviiP15ncclDevWorkColl.uses_vcc, or(1, .L__assert_fail.uses_vcc)
	.set .L_ZN12_GLOBAL__N_17runRingI14__hip_fp8_e5m213FuncPreMulSumIS1_E11ProtoSimpleILi2ELi2ELi0ELi4ELi0ELi0EELi0ELi0ELi4ELi0EEEviiP15ncclDevWorkColl.uses_flat_scratch, or(0, .L__assert_fail.uses_flat_scratch)
	.set .L_ZN12_GLOBAL__N_17runRingI14__hip_fp8_e5m213FuncPreMulSumIS1_E11ProtoSimpleILi2ELi2ELi0ELi4ELi0ELi0EELi0ELi0ELi4ELi0EEEviiP15ncclDevWorkColl.has_dyn_sized_stack, or(0, .L__assert_fail.has_dyn_sized_stack)
	.set .L_ZN12_GLOBAL__N_17runRingI14__hip_fp8_e5m213FuncPreMulSumIS1_E11ProtoSimpleILi2ELi2ELi0ELi4ELi0ELi0EELi0ELi0ELi4ELi0EEEviiP15ncclDevWorkColl.has_recursion, or(1, .L__assert_fail.has_recursion)
	.set .L_ZN12_GLOBAL__N_17runRingI14__hip_fp8_e5m213FuncPreMulSumIS1_E11ProtoSimpleILi2ELi2ELi0ELi4ELi0ELi0EELi0ELi0ELi4ELi0EEEviiP15ncclDevWorkColl.has_indirect_call, or(0, .L__assert_fail.has_indirect_call)
	.section	.AMDGPU.csdata,"",@progbits
; Function info:
; codeLenInByte = 800160
; TotalNumSgprs: 104
; NumVgprs: 64
; ScratchSize: 896
; MemoryBound: 1
	.text
	.p2align	2                               ; -- Begin function _Z56ncclDevFunc_AllReduce_RING_SIMPLE_PreMulSum_f8e5m2_0_0_4v
	.type	_Z56ncclDevFunc_AllReduce_RING_SIMPLE_PreMulSum_f8e5m2_0_0_4v,@function
_Z56ncclDevFunc_AllReduce_RING_SIMPLE_PreMulSum_f8e5m2_0_0_4v: ; @_Z56ncclDevFunc_AllReduce_RING_SIMPLE_PreMulSum_f8e5m2_0_0_4v
; %bb.0:
	s_waitcnt vmcnt(0) expcnt(0) lgkmcnt(0)
	s_mov_b32 s4, s33
	s_mov_b32 s33, s32
	s_or_saveexec_b64 s[6:7], -1
	buffer_store_dword v43, off, s[0:3], s33 offset:20 ; 4-byte Folded Spill
	buffer_store_dword v44, off, s[0:3], s33 offset:24 ; 4-byte Folded Spill
	s_mov_b64 exec, s[6:7]
	v_writelane_b32 v44, s4, 38
	v_writelane_b32 v44, s100, 36
	;; [unrolled: 1-line block ×3, first 2 shown]
	s_addk_i32 s32, 0x800
	buffer_store_dword v40, off, s[0:3], s33 offset:12 ; 4-byte Folded Spill
	buffer_store_dword v41, off, s[0:3], s33 offset:8 ; 4-byte Folded Spill
	;; [unrolled: 1-line block ×3, first 2 shown]
	buffer_store_dword v62, off, s[0:3], s33 ; 4-byte Folded Spill
	v_writelane_b32 v44, s34, 0
	v_writelane_b32 v44, s35, 1
	;; [unrolled: 1-line block ×36, first 2 shown]
	s_trap 2
	ds_read_b32 v0, v0
	v_mov_b32_e32 v40, v31
                                        ; implicit-def: $vgpr43 : SGPR spill to VGPR lane
	v_and_b32_e32 v41, 0x3ff, v40
	v_writelane_b32 v43, s12, 0
	v_writelane_b32 v43, s8, 1
	s_waitcnt lgkmcnt(0)
	v_cmp_lt_i32_e32 vcc, v41, v0
	v_writelane_b32 v43, s9, 2
	s_and_saveexec_b64 s[4:5], vcc
	s_cbranch_execz .LBB7_5
; %bb.1:
	v_readlane_b32 s8, v43, 1
	v_readlane_b32 s9, v43, 2
	s_load_dword s6, s[8:9], 0x0
	v_readlane_b32 s7, v43, 0
	v_mov_b32_e32 v1, 0
	s_mov_b32 s10, 0
	v_mov_b32_e32 v4, v41
	s_waitcnt lgkmcnt(0)
	s_cmp_lt_u32 s7, s6
	s_cselect_b32 s6, 12, 18
	s_add_u32 s6, s8, s6
	s_addc_u32 s7, s9, 0
	global_load_ushort v1, v1, s[6:7]
	s_trap 2
	ds_read_b32 v2, v0
	s_mov_b64 s[6:7], 0
                                        ; implicit-def: $vgpr3
	s_waitcnt vmcnt(0) lgkmcnt(0)
	v_mul_lo_u32 v2, v2, v1
	s_branch .LBB7_3
.LBB7_2:                                ;   in Loop: Header=BB7_3 Depth=1
	s_or_b64 exec, exec, s[8:9]
	v_add_u32_e32 v4, v4, v1
	v_cmp_ge_i32_e32 vcc, v4, v0
	s_or_b64 s[6:7], vcc, s[6:7]
	v_add_u32_e32 v3, v3, v2
	s_andn2_b64 exec, exec, s[6:7]
	s_cbranch_execz .LBB7_5
.LBB7_3:                                ; =>This Inner Loop Header: Depth=1
	ds_read_b32 v5, v3
	s_waitcnt lgkmcnt(0)
	v_and_b32_e32 v5, 0x1000000, v5
	v_cmp_ne_u32_e32 vcc, 0, v5
	s_and_saveexec_b64 s[8:9], vcc
	s_cbranch_execz .LBB7_2
; %bb.4:                                ;   in Loop: Header=BB7_3 Depth=1
	ds_read_b64 v[5:6], v3 offset:104
	s_waitcnt lgkmcnt(0)
	flat_load_ubyte v5, v[5:6]
	v_mov_b32_e32 v6, s10
	s_waitcnt vmcnt(0) lgkmcnt(0)
	v_and_b32_e32 v5, 0xffff, v5
	ds_write_b64 v3, v[5:6] offset:104
	s_branch .LBB7_2
.LBB7_5:
	s_or_b64 exec, exec, s[4:5]
	s_waitcnt vmcnt(0) lgkmcnt(0)
	s_barrier
	s_trap 2
	ds_read_b32 v0, v0
	s_waitcnt lgkmcnt(0)
	v_cmp_gt_i32_e32 vcc, 1, v0
	s_cbranch_vccnz .LBB7_13
; %bb.6:
	s_mov_b32 s6, 0
	v_mov_b32_e32 v42, 6
	s_branch .LBB7_8
.LBB7_7:                                ;   in Loop: Header=BB7_8 Depth=1
	s_or_b64 exec, exec, s[8:9]
	s_trap 2
	ds_read_b32 v0, v0
	s_add_i32 s6, s6, 1
	s_waitcnt lgkmcnt(0)
	v_cmp_lt_i32_e32 vcc, s6, v0
	s_cbranch_vccz .LBB7_13
.LBB7_8:                                ; =>This Inner Loop Header: Depth=1
	s_trap 2
	ds_read_b32 v0, v0
	s_cmp_eq_u32 s6, 0
	s_cbranch_scc1 .LBB7_11
; %bb.9:                                ;   in Loop: Header=BB7_8 Depth=1
	s_trap 2
	s_waitcnt lgkmcnt(0)
	ds_read_b32 v1, v0
	s_waitcnt lgkmcnt(0)
	v_xor_b32_e32 v1, v1, v0
	v_and_b32_e32 v1, 0xff0000, v1
	v_cmp_eq_u32_e32 vcc, 0, v1
	s_cbranch_vccnz .LBB7_11
; %bb.10:                               ;   in Loop: Header=BB7_8 Depth=1
	s_barrier
	ds_read_b32 v0, v0
.LBB7_11:                               ;   in Loop: Header=BB7_8 Depth=1
	s_waitcnt lgkmcnt(0)
	v_lshlrev_b32_sdwa v1, v42, v0 dst_sel:DWORD dst_unused:UNUSED_PAD src0_sel:DWORD src1_sel:BYTE_2
	v_cmp_lt_u32_e32 vcc, v41, v1
	s_and_saveexec_b64 s[8:9], vcc
	s_cbranch_execz .LBB7_7
; %bb.12:                               ;   in Loop: Header=BB7_8 Depth=1
	v_writelane_b32 v43, s6, 3
	v_writelane_b32 v43, s8, 4
	s_mov_b64 s[4:5], src_shared_base
	s_getpc_b64 s[6:7]
	s_add_u32 s6, s6, _ZN12_GLOBAL__N_17runRingI14__hip_fp8_e5m213FuncPreMulSumIS1_E11ProtoSimpleILi2ELi2ELi0ELi4ELi0ELi0EELi0ELi0ELi4ELi0EEEviiP15ncclDevWorkColl@rel32@lo+4
	s_addc_u32 s7, s7, _ZN12_GLOBAL__N_17runRingI14__hip_fp8_e5m213FuncPreMulSumIS1_E11ProtoSimpleILi2ELi2ELi0ELi4ELi0ELi0EELi0ELi0ELi4ELi0EEEviiP15ncclDevWorkColl@rel32@hi+12
	v_writelane_b32 v43, s9, 5
	s_or_saveexec_b64 s[100:101], -1
	buffer_store_dword v43, off, s[0:3], s33 offset:16 ; 4-byte Folded Spill
	s_mov_b64 exec, s[100:101]
	v_readlane_b32 s8, v43, 1
	v_readlane_b32 s9, v43, 2
	;; [unrolled: 1-line block ×3, first 2 shown]
	v_mov_b32_e32 v31, v40
	v_mov_b32_e32 v0, v41
	;; [unrolled: 1-line block ×3, first 2 shown]
	s_swappc_b64 s[30:31], s[6:7]
	s_or_saveexec_b64 s[100:101], -1
	buffer_load_dword v43, off, s[0:3], s33 offset:16 ; 4-byte Folded Reload
	s_mov_b64 exec, s[100:101]
	s_waitcnt vmcnt(0)
	v_readlane_b32 s8, v43, 4
	v_readlane_b32 s9, v43, 5
	;; [unrolled: 1-line block ×3, first 2 shown]
	s_branch .LBB7_7
.LBB7_13:
	buffer_load_dword v62, off, s[0:3], s33 ; 4-byte Folded Reload
	buffer_load_dword v42, off, s[0:3], s33 offset:4 ; 4-byte Folded Reload
	buffer_load_dword v41, off, s[0:3], s33 offset:8 ; 4-byte Folded Reload
	;; [unrolled: 1-line block ×3, first 2 shown]
	v_readlane_b32 s30, v44, 34
	v_readlane_b32 s31, v44, 35
	;; [unrolled: 1-line block ×36, first 2 shown]
	s_mov_b32 s32, s33
	v_readlane_b32 s4, v44, 38
	v_readlane_b32 s100, v44, 36
	;; [unrolled: 1-line block ×3, first 2 shown]
	s_or_saveexec_b64 s[6:7], -1
	buffer_load_dword v43, off, s[0:3], s33 offset:20 ; 4-byte Folded Reload
	buffer_load_dword v44, off, s[0:3], s33 offset:24 ; 4-byte Folded Reload
	s_mov_b64 exec, s[6:7]
	s_mov_b32 s33, s4
	s_waitcnt vmcnt(0)
	s_setpc_b64 s[30:31]
.Lfunc_end7:
	.size	_Z56ncclDevFunc_AllReduce_RING_SIMPLE_PreMulSum_f8e5m2_0_0_4v, .Lfunc_end7-_Z56ncclDevFunc_AllReduce_RING_SIMPLE_PreMulSum_f8e5m2_0_0_4v
                                        ; -- End function
	.set .L_Z56ncclDevFunc_AllReduce_RING_SIMPLE_PreMulSum_f8e5m2_0_0_4v.num_vgpr, max(63, .L_ZN12_GLOBAL__N_17runRingI14__hip_fp8_e5m213FuncPreMulSumIS1_E11ProtoSimpleILi2ELi2ELi0ELi4ELi0ELi0EELi0ELi0ELi4ELi0EEEviiP15ncclDevWorkColl.num_vgpr)
	.set .L_Z56ncclDevFunc_AllReduce_RING_SIMPLE_PreMulSum_f8e5m2_0_0_4v.num_agpr, max(0, .L_ZN12_GLOBAL__N_17runRingI14__hip_fp8_e5m213FuncPreMulSumIS1_E11ProtoSimpleILi2ELi2ELi0ELi4ELi0ELi0EELi0ELi0ELi4ELi0EEEviiP15ncclDevWorkColl.num_agpr)
	.set .L_Z56ncclDevFunc_AllReduce_RING_SIMPLE_PreMulSum_f8e5m2_0_0_4v.numbered_sgpr, max(102, .L_ZN12_GLOBAL__N_17runRingI14__hip_fp8_e5m213FuncPreMulSumIS1_E11ProtoSimpleILi2ELi2ELi0ELi4ELi0ELi0EELi0ELi0ELi4ELi0EEEviiP15ncclDevWorkColl.numbered_sgpr)
	.set .L_Z56ncclDevFunc_AllReduce_RING_SIMPLE_PreMulSum_f8e5m2_0_0_4v.num_named_barrier, max(0, .L_ZN12_GLOBAL__N_17runRingI14__hip_fp8_e5m213FuncPreMulSumIS1_E11ProtoSimpleILi2ELi2ELi0ELi4ELi0ELi0EELi0ELi0ELi4ELi0EEEviiP15ncclDevWorkColl.num_named_barrier)
	.set .L_Z56ncclDevFunc_AllReduce_RING_SIMPLE_PreMulSum_f8e5m2_0_0_4v.private_seg_size, 32+max(.L_ZN12_GLOBAL__N_17runRingI14__hip_fp8_e5m213FuncPreMulSumIS1_E11ProtoSimpleILi2ELi2ELi0ELi4ELi0ELi0EELi0ELi0ELi4ELi0EEEviiP15ncclDevWorkColl.private_seg_size)
	.set .L_Z56ncclDevFunc_AllReduce_RING_SIMPLE_PreMulSum_f8e5m2_0_0_4v.uses_vcc, or(1, .L_ZN12_GLOBAL__N_17runRingI14__hip_fp8_e5m213FuncPreMulSumIS1_E11ProtoSimpleILi2ELi2ELi0ELi4ELi0ELi0EELi0ELi0ELi4ELi0EEEviiP15ncclDevWorkColl.uses_vcc)
	.set .L_Z56ncclDevFunc_AllReduce_RING_SIMPLE_PreMulSum_f8e5m2_0_0_4v.uses_flat_scratch, or(0, .L_ZN12_GLOBAL__N_17runRingI14__hip_fp8_e5m213FuncPreMulSumIS1_E11ProtoSimpleILi2ELi2ELi0ELi4ELi0ELi0EELi0ELi0ELi4ELi0EEEviiP15ncclDevWorkColl.uses_flat_scratch)
	.set .L_Z56ncclDevFunc_AllReduce_RING_SIMPLE_PreMulSum_f8e5m2_0_0_4v.has_dyn_sized_stack, or(0, .L_ZN12_GLOBAL__N_17runRingI14__hip_fp8_e5m213FuncPreMulSumIS1_E11ProtoSimpleILi2ELi2ELi0ELi4ELi0ELi0EELi0ELi0ELi4ELi0EEEviiP15ncclDevWorkColl.has_dyn_sized_stack)
	.set .L_Z56ncclDevFunc_AllReduce_RING_SIMPLE_PreMulSum_f8e5m2_0_0_4v.has_recursion, or(1, .L_ZN12_GLOBAL__N_17runRingI14__hip_fp8_e5m213FuncPreMulSumIS1_E11ProtoSimpleILi2ELi2ELi0ELi4ELi0ELi0EELi0ELi0ELi4ELi0EEEviiP15ncclDevWorkColl.has_recursion)
	.set .L_Z56ncclDevFunc_AllReduce_RING_SIMPLE_PreMulSum_f8e5m2_0_0_4v.has_indirect_call, or(0, .L_ZN12_GLOBAL__N_17runRingI14__hip_fp8_e5m213FuncPreMulSumIS1_E11ProtoSimpleILi2ELi2ELi0ELi4ELi0ELi0EELi0ELi0ELi4ELi0EEEviiP15ncclDevWorkColl.has_indirect_call)
	.section	.AMDGPU.csdata,"",@progbits
; Function info:
; codeLenInByte = 1372
; TotalNumSgprs: 106
; NumVgprs: 64
; ScratchSize: 928
; MemoryBound: 0
	.section	.AMDGPU.gpr_maximums,"",@progbits
	.set amdgpu.max_num_vgpr, 64
	.set amdgpu.max_num_agpr, 0
	.set amdgpu.max_num_sgpr, 102
	.section	.AMDGPU.csdata,"",@progbits
	.type	__const.__assert_fail.fmt,@object ; @__const.__assert_fail.fmt
	.section	.rodata.str1.16,"aMS",@progbits,1
	.p2align	4, 0x0
__const.__assert_fail.fmt:
	.asciz	"%s:%u: %s: Device-side assertion `%s' failed.\n"
	.size	__const.__assert_fail.fmt, 47

	.type	.str.3,@object                  ; @.str.3
	.section	.rodata.str1.1,"aMS",@progbits,1
.str.3:
	.asciz	"2*(nrecv+nsend) <= nthreads"
	.size	.str.3, 28

	.type	.str.4,@object                  ; @.str.4
.str.4:
	.asciz	"/root/src/amdgpu-assembly/repos/ROCm__rccl/hipify/src/device/prims_simple.h"
	.size	.str.4, 76

	.type	__PRETTY_FUNCTION__._ZN10PrimitivesI14__hip_fp8_e5m213FuncPreMulSumIS0_E12FanSymmetricILi1EELi0E11ProtoSimpleILi2ELi2ELi0ELi1ELi0ELi0EELi0ELb0ELi0ELi0ELi0EEC2EiiPKiS9_PKvPvmhhhP15ncclDevWorkCollP14ncclDevWorkP2pii,@object ; @__PRETTY_FUNCTION__._ZN10PrimitivesI14__hip_fp8_e5m213FuncPreMulSumIS0_E12FanSymmetricILi1EELi0E11ProtoSimpleILi2ELi2ELi0ELi1ELi0ELi0EELi0ELb0ELi0ELi0ELi0EEC2EiiPKiS9_PKvPvmhhhP15ncclDevWorkCollP14ncclDevWorkP2pii
__PRETTY_FUNCTION__._ZN10PrimitivesI14__hip_fp8_e5m213FuncPreMulSumIS0_E12FanSymmetricILi1EELi0E11ProtoSimpleILi2ELi2ELi0ELi1ELi0ELi0EELi0ELb0ELi0ELi0ELi0EEC2EiiPKiS9_PKvPvmhhhP15ncclDevWorkCollP14ncclDevWorkP2pii:
	.asciz	"Primitives<__hip_fp8_e5m2, FuncPreMulSum<rccl_bfloat8>, FanSymmetric<1>, 0, ProtoSimple<2, 2, 0, 1>, 0>::Primitives(int, int, const int *, const int *, const void *, void *, uint64_t, uint8_t, uint8_t, uint8_t, struct ncclDevWorkColl *, struct ncclDevWorkP2p *, int, int) [T = __hip_fp8_e5m2, RedOp = FuncPreMulSum<rccl_bfloat8>, Fan = FanSymmetric<1>, Direct = 0, Proto = ProtoSimple<2, 2, 0, 1>, P2p = 0, isNetOffload = false, Metadata = 0, Pipeline = 0, useAcc = 0]"
	.size	__PRETTY_FUNCTION__._ZN10PrimitivesI14__hip_fp8_e5m213FuncPreMulSumIS0_E12FanSymmetricILi1EELi0E11ProtoSimpleILi2ELi2ELi0ELi1ELi0ELi0EELi0ELb0ELi0ELi0ELi0EEC2EiiPKiS9_PKvPvmhhhP15ncclDevWorkCollP14ncclDevWorkP2pii, 469

	.type	__PRETTY_FUNCTION__._ZN10PrimitivesI14__hip_fp8_e5m213FuncPreMulSumIS0_E12FanSymmetricILi1EELi0E11ProtoSimpleILi2ELi2ELi0ELi2ELi0ELi0EELi0ELb0ELi0ELi0ELi0EEC2EiiPKiS9_PKvPvmhhhP15ncclDevWorkCollP14ncclDevWorkP2pii,@object ; @__PRETTY_FUNCTION__._ZN10PrimitivesI14__hip_fp8_e5m213FuncPreMulSumIS0_E12FanSymmetricILi1EELi0E11ProtoSimpleILi2ELi2ELi0ELi2ELi0ELi0EELi0ELb0ELi0ELi0ELi0EEC2EiiPKiS9_PKvPvmhhhP15ncclDevWorkCollP14ncclDevWorkP2pii
__PRETTY_FUNCTION__._ZN10PrimitivesI14__hip_fp8_e5m213FuncPreMulSumIS0_E12FanSymmetricILi1EELi0E11ProtoSimpleILi2ELi2ELi0ELi2ELi0ELi0EELi0ELb0ELi0ELi0ELi0EEC2EiiPKiS9_PKvPvmhhhP15ncclDevWorkCollP14ncclDevWorkP2pii:
	.asciz	"Primitives<__hip_fp8_e5m2, FuncPreMulSum<rccl_bfloat8>, FanSymmetric<1>, 0, ProtoSimple<2, 2, 0, 2>, 0>::Primitives(int, int, const int *, const int *, const void *, void *, uint64_t, uint8_t, uint8_t, uint8_t, struct ncclDevWorkColl *, struct ncclDevWorkP2p *, int, int) [T = __hip_fp8_e5m2, RedOp = FuncPreMulSum<rccl_bfloat8>, Fan = FanSymmetric<1>, Direct = 0, Proto = ProtoSimple<2, 2, 0, 2>, P2p = 0, isNetOffload = false, Metadata = 0, Pipeline = 0, useAcc = 0]"
	.size	__PRETTY_FUNCTION__._ZN10PrimitivesI14__hip_fp8_e5m213FuncPreMulSumIS0_E12FanSymmetricILi1EELi0E11ProtoSimpleILi2ELi2ELi0ELi2ELi0ELi0EELi0ELb0ELi0ELi0ELi0EEC2EiiPKiS9_PKvPvmhhhP15ncclDevWorkCollP14ncclDevWorkP2pii, 469

	.type	__PRETTY_FUNCTION__._ZN10PrimitivesI14__hip_fp8_e5m213FuncPreMulSumIS0_E12FanSymmetricILi1EELi0E11ProtoSimpleILi2ELi2ELi0ELi4ELi0ELi0EELi0ELb0ELi0ELi0ELi0EEC2EiiPKiS9_PKvPvmhhhP15ncclDevWorkCollP14ncclDevWorkP2pii,@object ; @__PRETTY_FUNCTION__._ZN10PrimitivesI14__hip_fp8_e5m213FuncPreMulSumIS0_E12FanSymmetricILi1EELi0E11ProtoSimpleILi2ELi2ELi0ELi4ELi0ELi0EELi0ELb0ELi0ELi0ELi0EEC2EiiPKiS9_PKvPvmhhhP15ncclDevWorkCollP14ncclDevWorkP2pii
__PRETTY_FUNCTION__._ZN10PrimitivesI14__hip_fp8_e5m213FuncPreMulSumIS0_E12FanSymmetricILi1EELi0E11ProtoSimpleILi2ELi2ELi0ELi4ELi0ELi0EELi0ELb0ELi0ELi0ELi0EEC2EiiPKiS9_PKvPvmhhhP15ncclDevWorkCollP14ncclDevWorkP2pii:
	.asciz	"Primitives<__hip_fp8_e5m2, FuncPreMulSum<rccl_bfloat8>, FanSymmetric<1>, 0, ProtoSimple<2, 2, 0, 4>, 0>::Primitives(int, int, const int *, const int *, const void *, void *, uint64_t, uint8_t, uint8_t, uint8_t, struct ncclDevWorkColl *, struct ncclDevWorkP2p *, int, int) [T = __hip_fp8_e5m2, RedOp = FuncPreMulSum<rccl_bfloat8>, Fan = FanSymmetric<1>, Direct = 0, Proto = ProtoSimple<2, 2, 0, 4>, P2p = 0, isNetOffload = false, Metadata = 0, Pipeline = 0, useAcc = 0]"
	.size	__PRETTY_FUNCTION__._ZN10PrimitivesI14__hip_fp8_e5m213FuncPreMulSumIS0_E12FanSymmetricILi1EELi0E11ProtoSimpleILi2ELi2ELi0ELi4ELi0ELi0EELi0ELb0ELi0ELi0ELi0EEC2EiiPKiS9_PKvPvmhhhP15ncclDevWorkCollP14ncclDevWorkP2pii, 469

	.type	__hip_cuid_c82ffb379cefc7e5,@object ; @__hip_cuid_c82ffb379cefc7e5
	.section	.bss,"aw",@nobits
	.globl	__hip_cuid_c82ffb379cefc7e5
__hip_cuid_c82ffb379cefc7e5:
	.byte	0                               ; 0x0
	.size	__hip_cuid_c82ffb379cefc7e5, 1

	.ident	"AMD clang version 22.0.0git (https://github.com/RadeonOpenCompute/llvm-project roc-7.2.4 26084 f58b06dce1f9c15707c5f808fd002e18c2accf7e)"
	.section	".note.GNU-stack","",@progbits
	.addrsig
	.addrsig_sym _Z56ncclDevFunc_AllReduce_RING_SIMPLE_PreMulSum_f8e5m2_0_0_1v
	.addrsig_sym _Z56ncclDevFunc_AllReduce_RING_SIMPLE_PreMulSum_f8e5m2_0_0_2v
	.addrsig_sym _Z56ncclDevFunc_AllReduce_RING_SIMPLE_PreMulSum_f8e5m2_0_0_4v
	.addrsig_sym ncclShmem
	.addrsig_sym __hip_cuid_c82ffb379cefc7e5
	.amdgpu_metadata
---
amdhsa.kernels:  []
amdhsa.target:   amdgcn-amd-amdhsa--gfx906
amdhsa.version:
  - 1
  - 2
...

	.end_amdgpu_metadata
